;; amdgpu-corpus repo=ROCm/rocBLAS kind=compiled arch=gfx1250 opt=O3
	.amdgcn_target "amdgcn-amd-amdhsa--gfx1250"
	.amdhsa_code_object_version 6
	.section	.text._ZL23rocblas_set_matrix_trsmILi128ELi8EfPfEvlliT2_llT1_li,"axG",@progbits,_ZL23rocblas_set_matrix_trsmILi128ELi8EfPfEvlliT2_llT1_li,comdat
	.globl	_ZL23rocblas_set_matrix_trsmILi128ELi8EfPfEvlliT2_llT1_li ; -- Begin function _ZL23rocblas_set_matrix_trsmILi128ELi8EfPfEvlliT2_llT1_li
	.p2align	8
	.type	_ZL23rocblas_set_matrix_trsmILi128ELi8EfPfEvlliT2_llT1_li,@function
_ZL23rocblas_set_matrix_trsmILi128ELi8EfPfEvlliT2_llT1_li: ; @_ZL23rocblas_set_matrix_trsmILi128ELi8EfPfEvlliT2_llT1_li
; %bb.0:
	s_load_b32 s8, s[0:1], 0x40
	s_bfe_u32 s2, ttmp6, 0x40014
	s_lshr_b32 s3, ttmp7, 16
	s_add_co_i32 s2, s2, 1
	s_bfe_u32 s4, ttmp6, 0x40008
	s_mul_i32 s2, s3, s2
	s_getreg_b32 s9, hwreg(HW_REG_IB_STS2, 6, 4)
	s_add_co_i32 s4, s4, s2
	s_cmp_eq_u32 s9, 0
	s_cselect_b32 s2, s3, s4
	s_mov_b32 s3, 0
	s_wait_kmcnt 0x0
	s_cmp_ge_u32 s2, s8
	s_cbranch_scc1 .LBB0_5
; %bb.1:
	s_clause 0x1
	s_load_b64 s[10:11], s[0:1], 0x38
	s_load_b128 s[4:7], s[0:1], 0x18
	s_bfe_u32 s13, ttmp6, 0x4000c
	s_bfe_u32 s15, ttmp6, 0x40010
	s_and_b32 s14, ttmp7, 0xffff
	s_add_co_i32 s13, s13, 1
	s_add_co_i32 s15, s15, 1
	s_and_b32 s12, ttmp6, 15
	s_bfe_u32 s16, ttmp6, 0x40004
	s_mul_i32 s13, ttmp9, s13
	s_mul_i32 s15, s14, s15
	v_bfe_u32 v1, v0, 10, 10
	s_add_co_i32 s17, s12, s13
	s_add_co_i32 s16, s16, s15
	v_mov_b32_e32 v3, 0
	v_and_b32_e32 v0, 0x3ff, v0
	s_wait_kmcnt 0x0
	s_lshl_b64 s[10:11], s[10:11], 2
	s_cmp_eq_u32 s9, 0
	s_cselect_b32 s9, s14, s16
	s_load_b128 s[12:15], s[0:1], 0x0
	v_lshl_add_u32 v2, s9, 3, v1
	v_mov_b32_e32 v1, v3
	s_delay_alu instid0(VALU_DEP_2) | instskip(SKIP_3) | instid1(SALU_CYCLE_1)
	v_mul_u64_e32 v[4:5], s[6:7], v[2:3]
	s_load_b64 s[6:7], s[0:1], 0x28
	s_wait_xcnt 0x0
	s_cselect_b32 s0, ttmp9, s17
	v_lshl_add_u32 v0, s0, 7, v0
	s_add_nc_u64 s[0:1], s[4:5], s[10:11]
	s_wait_kmcnt 0x0
	s_delay_alu instid0(VALU_DEP_1) | instskip(NEXT) | instid1(VALU_DEP_3)
	v_cmp_gt_u64_e32 vcc_lo, s[12:13], v[0:1]
	v_lshl_add_u64 v[4:5], v[4:5], 2, s[0:1]
	v_cmp_gt_u64_e64 s0, s[14:15], v[2:3]
	s_delay_alu instid0(VALU_DEP_2)
	v_lshl_add_u64 v[0:1], v[0:1], 2, v[4:5]
	s_and_b32 s0, vcc_lo, s0
	s_branch .LBB0_3
.LBB0_2:                                ;   in Loop: Header=BB0_3 Depth=1
	s_wait_xcnt 0x0
	s_or_b32 exec_lo, exec_lo, s1
	s_add_co_i32 s2, s2, 0x10000
	s_delay_alu instid0(SALU_CYCLE_1)
	s_cmp_lt_u32 s2, s8
	s_cbranch_scc0 .LBB0_5
.LBB0_3:                                ; =>This Inner Loop Header: Depth=1
	s_and_saveexec_b32 s1, s0
	s_cbranch_execz .LBB0_2
; %bb.4:                                ;   in Loop: Header=BB0_3 Depth=1
	s_mul_u64 s[4:5], s[6:7], s[2:3]
	s_delay_alu instid0(SALU_CYCLE_1)
	v_lshl_add_u64 v[4:5], s[4:5], 2, v[0:1]
	global_store_b32 v[4:5], v3, off
	s_branch .LBB0_2
.LBB0_5:
	s_endpgm
	.section	.rodata,"a",@progbits
	.p2align	6, 0x0
	.amdhsa_kernel _ZL23rocblas_set_matrix_trsmILi128ELi8EfPfEvlliT2_llT1_li
		.amdhsa_group_segment_fixed_size 0
		.amdhsa_private_segment_fixed_size 0
		.amdhsa_kernarg_size 68
		.amdhsa_user_sgpr_count 2
		.amdhsa_user_sgpr_dispatch_ptr 0
		.amdhsa_user_sgpr_queue_ptr 0
		.amdhsa_user_sgpr_kernarg_segment_ptr 1
		.amdhsa_user_sgpr_dispatch_id 0
		.amdhsa_user_sgpr_kernarg_preload_length 0
		.amdhsa_user_sgpr_kernarg_preload_offset 0
		.amdhsa_user_sgpr_private_segment_size 0
		.amdhsa_wavefront_size32 1
		.amdhsa_uses_dynamic_stack 0
		.amdhsa_enable_private_segment 0
		.amdhsa_system_sgpr_workgroup_id_x 1
		.amdhsa_system_sgpr_workgroup_id_y 1
		.amdhsa_system_sgpr_workgroup_id_z 1
		.amdhsa_system_sgpr_workgroup_info 0
		.amdhsa_system_vgpr_workitem_id 1
		.amdhsa_next_free_vgpr 6
		.amdhsa_next_free_sgpr 18
		.amdhsa_named_barrier_count 0
		.amdhsa_reserve_vcc 1
		.amdhsa_float_round_mode_32 0
		.amdhsa_float_round_mode_16_64 0
		.amdhsa_float_denorm_mode_32 3
		.amdhsa_float_denorm_mode_16_64 3
		.amdhsa_fp16_overflow 0
		.amdhsa_memory_ordered 1
		.amdhsa_forward_progress 1
		.amdhsa_inst_pref_size 3
		.amdhsa_round_robin_scheduling 0
		.amdhsa_exception_fp_ieee_invalid_op 0
		.amdhsa_exception_fp_denorm_src 0
		.amdhsa_exception_fp_ieee_div_zero 0
		.amdhsa_exception_fp_ieee_overflow 0
		.amdhsa_exception_fp_ieee_underflow 0
		.amdhsa_exception_fp_ieee_inexact 0
		.amdhsa_exception_int_div_zero 0
	.end_amdhsa_kernel
	.section	.text._ZL23rocblas_set_matrix_trsmILi128ELi8EfPfEvlliT2_llT1_li,"axG",@progbits,_ZL23rocblas_set_matrix_trsmILi128ELi8EfPfEvlliT2_llT1_li,comdat
.Lfunc_end0:
	.size	_ZL23rocblas_set_matrix_trsmILi128ELi8EfPfEvlliT2_llT1_li, .Lfunc_end0-_ZL23rocblas_set_matrix_trsmILi128ELi8EfPfEvlliT2_llT1_li
                                        ; -- End function
	.set _ZL23rocblas_set_matrix_trsmILi128ELi8EfPfEvlliT2_llT1_li.num_vgpr, 6
	.set _ZL23rocblas_set_matrix_trsmILi128ELi8EfPfEvlliT2_llT1_li.num_agpr, 0
	.set _ZL23rocblas_set_matrix_trsmILi128ELi8EfPfEvlliT2_llT1_li.numbered_sgpr, 18
	.set _ZL23rocblas_set_matrix_trsmILi128ELi8EfPfEvlliT2_llT1_li.num_named_barrier, 0
	.set _ZL23rocblas_set_matrix_trsmILi128ELi8EfPfEvlliT2_llT1_li.private_seg_size, 0
	.set _ZL23rocblas_set_matrix_trsmILi128ELi8EfPfEvlliT2_llT1_li.uses_vcc, 1
	.set _ZL23rocblas_set_matrix_trsmILi128ELi8EfPfEvlliT2_llT1_li.uses_flat_scratch, 0
	.set _ZL23rocblas_set_matrix_trsmILi128ELi8EfPfEvlliT2_llT1_li.has_dyn_sized_stack, 0
	.set _ZL23rocblas_set_matrix_trsmILi128ELi8EfPfEvlliT2_llT1_li.has_recursion, 0
	.set _ZL23rocblas_set_matrix_trsmILi128ELi8EfPfEvlliT2_llT1_li.has_indirect_call, 0
	.section	.AMDGPU.csdata,"",@progbits
; Kernel info:
; codeLenInByte = 360
; TotalNumSgprs: 20
; NumVgprs: 6
; ScratchSize: 0
; MemoryBound: 0
; FloatMode: 240
; IeeeMode: 1
; LDSByteSize: 0 bytes/workgroup (compile time only)
; SGPRBlocks: 0
; VGPRBlocks: 0
; NumSGPRsForWavesPerEU: 20
; NumVGPRsForWavesPerEU: 6
; NamedBarCnt: 0
; Occupancy: 16
; WaveLimiterHint : 0
; COMPUTE_PGM_RSRC2:SCRATCH_EN: 0
; COMPUTE_PGM_RSRC2:USER_SGPR: 2
; COMPUTE_PGM_RSRC2:TRAP_HANDLER: 0
; COMPUTE_PGM_RSRC2:TGID_X_EN: 1
; COMPUTE_PGM_RSRC2:TGID_Y_EN: 1
; COMPUTE_PGM_RSRC2:TGID_Z_EN: 1
; COMPUTE_PGM_RSRC2:TIDIG_COMP_CNT: 1
	.section	.text._ZL38rocblas_trsm_small_left_device_sharedBILi4ELi4ELb0EffPKfPfEv13rocblas_fill_18rocblas_operation_17rocblas_diagonal_iiT3_T4_lilT5_lili,"axG",@progbits,_ZL38rocblas_trsm_small_left_device_sharedBILi4ELi4ELb0EffPKfPfEv13rocblas_fill_18rocblas_operation_17rocblas_diagonal_iiT3_T4_lilT5_lili,comdat
	.globl	_ZL38rocblas_trsm_small_left_device_sharedBILi4ELi4ELb0EffPKfPfEv13rocblas_fill_18rocblas_operation_17rocblas_diagonal_iiT3_T4_lilT5_lili ; -- Begin function _ZL38rocblas_trsm_small_left_device_sharedBILi4ELi4ELb0EffPKfPfEv13rocblas_fill_18rocblas_operation_17rocblas_diagonal_iiT3_T4_lilT5_lili
	.p2align	8
	.type	_ZL38rocblas_trsm_small_left_device_sharedBILi4ELi4ELb0EffPKfPfEv13rocblas_fill_18rocblas_operation_17rocblas_diagonal_iiT3_T4_lilT5_lili,@function
_ZL38rocblas_trsm_small_left_device_sharedBILi4ELi4ELb0EffPKfPfEv13rocblas_fill_18rocblas_operation_17rocblas_diagonal_iiT3_T4_lilT5_lili: ; @_ZL38rocblas_trsm_small_left_device_sharedBILi4ELi4ELb0EffPKfPfEv13rocblas_fill_18rocblas_operation_17rocblas_diagonal_iiT3_T4_lilT5_lili
; %bb.0:
	s_load_b32 s18, s[0:1], 0x58
	s_bfe_u32 s2, ttmp6, 0x40014
	s_lshr_b32 s3, ttmp7, 16
	s_add_co_i32 s2, s2, 1
	s_bfe_u32 s5, ttmp6, 0x40008
	s_mul_i32 s4, s3, s2
	s_getreg_b32 s2, hwreg(HW_REG_IB_STS2, 6, 4)
	s_add_co_i32 s5, s5, s4
	s_cmp_eq_u32 s2, 0
	s_mov_b32 s13, 0
	s_cselect_b32 s12, s3, s5
	s_wait_kmcnt 0x0
	s_cmp_ge_u32 s12, s18
	s_cbranch_scc1 .LBB1_62
; %bb.1:
	s_clause 0x4
	s_load_b32 s14, s[0:1], 0x28
	s_load_b96 s[8:10], s[0:1], 0x40
	s_load_b128 s[4:7], s[0:1], 0x4
	s_load_b32 s3, s[0:1], 0x60
	s_load_b128 s[28:31], s[0:1], 0x30
	v_dual_mov_b32 v11, 0 :: v_dual_lshlrev_b32 v10, 2, v0
	s_clause 0x1
	s_load_b32 s19, s[0:1], 0x14
	s_load_b128 s[36:39], s[0:1], 0x18
	s_delay_alu instid0(VALU_DEP_1) | instskip(SKIP_3) | instid1(SALU_CYCLE_1)
	v_dual_lshlrev_b32 v6, 4, v0 :: v_dual_bitop2_b32 v16, 64, v10 bitop3:0x54
	v_dual_mov_b32 v2, v11 :: v_dual_mov_b32 v5, v11
	s_wait_kmcnt 0x0
	s_ashr_i32 s15, s14, 31
	s_cmp_eq_u64 s[14:15], 1
	s_cselect_b32 s11, -1, 0
	s_bfe_u32 s16, ttmp6, 0x4000c
	s_min_i32 s20, s6, 4
	s_add_co_i32 s16, s16, 1
	s_and_b32 s17, ttmp6, 15
	s_mul_i32 s16, ttmp9, s16
	s_ashr_i32 s33, s10, 31
	s_add_co_i32 s3, s3, -1
	s_add_co_i32 s21, s20, -1
	s_add_co_i32 s17, s17, s16
	s_cmp_eq_u32 s2, 0
	s_cselect_b32 s16, ttmp9, s17
	s_delay_alu instid0(SALU_CYCLE_1) | instskip(NEXT) | instid1(SALU_CYCLE_1)
	s_lshl_b32 s2, s16, 2
	s_sub_co_i32 s7, s7, s2
	s_cmp_ge_u32 s16, s3
	s_load_b64 s[16:17], s[0:1], 0x50
	s_cselect_b32 s7, s7, 4
	s_ashr_i32 s3, s2, 31
	s_cmp_lg_u32 s5, 0x84
	v_cmp_gt_i32_e32 vcc_lo, s7, v0
	s_cselect_b32 s22, -1, 0
	s_cmp_gt_i32 s6, 0
	s_wait_xcnt 0x0
	v_cmp_gt_i32_e64 s0, s20, v0
	s_cselect_b32 s5, -1, 0
	s_cmp_lg_u32 s4, 0x6f
	s_cselect_b32 s23, -1, 0
	s_and_b32 s24, vcc_lo, s5
	s_cmp_gt_u32 s20, 1
	s_cselect_b32 s4, -1, 0
	s_and_b32 s25, s20, -2
	s_and_b32 s26, s4, s11
	s_cmp_lg_u32 s20, s25
	s_cselect_b32 s27, -1, 0
	s_lshl_b64 s[2:3], s[2:3], 2
	s_lshl_b64 s[4:5], s[8:9], 2
	v_or_b32_e32 v3, s2, v10
	s_add_nc_u64 s[4:5], s[30:31], s[4:5]
	s_lshl_b64 s[6:7], s[14:15], 2
	s_get_pc_i64 s[8:9]
	s_add_nc_u64 s[8:9], s[8:9], __const._ZL38rocblas_trsm_small_left_device_sharedBILi4ELi4ELb0EffPKfPfEv13rocblas_fill_18rocblas_operation_17rocblas_diagonal_iiT3_T4_lilT5_lili.step_sizes@rel64+4
	v_mad_nc_u64_u32 v[12:13], v3, s10, s[4:5]
	s_lshl_b64 s[4:5], s[28:29], 2
	s_lshl_b32 s28, s20, 4
	s_delay_alu instid0(SALU_CYCLE_1) | instskip(NEXT) | instid1(VALU_DEP_1)
	s_add_co_i32 s28, s28, -16
	v_mad_u32 v4, s3, s10, v13
	s_lshl_b64 s[2:3], s[38:39], 2
	s_wait_kmcnt 0x0
	s_lshl_b64 s[10:11], s[16:17], 2
	s_add_nc_u64 s[2:3], s[36:37], s[2:3]
	s_delay_alu instid0(SALU_CYCLE_1) | instskip(NEXT) | instid1(VALU_DEP_2)
	v_add_nc_u64_e32 v[0:1], s[2:3], v[10:11]
	v_mad_u32 v13, v3, s33, v4
	v_dual_mov_b32 v3, v11 :: v_dual_mov_b32 v4, v11
	v_add_nc_u32_e32 v11, v10, v6
	s_branch .LBB1_3
.LBB1_2:                                ;   in Loop: Header=BB1_3 Depth=1
	s_or_b32 exec_lo, exec_lo, s1
	s_delay_alu instid0(VALU_DEP_1) | instskip(SKIP_2) | instid1(SALU_CYCLE_1)
	v_mov_b64_e32 v[2:3], v[6:7]
	v_mov_b64_e32 v[4:5], v[8:9]
	s_add_co_i32 s12, s12, 0x10000
	s_cmp_lt_u32 s12, s18
	s_cbranch_scc0 .LBB1_62
.LBB1_3:                                ; =>This Loop Header: Depth=1
                                        ;     Child Loop BB1_6 Depth 2
                                        ;     Child Loop BB1_10 Depth 2
	;; [unrolled: 1-line block ×4, first 2 shown]
                                        ;       Child Loop BB1_22 Depth 3
                                        ;         Child Loop BB1_23 Depth 4
                                        ;         Child Loop BB1_26 Depth 4
                                        ;           Child Loop BB1_27 Depth 5
                                        ;         Child Loop BB1_32 Depth 4
                                        ;           Child Loop BB1_34 Depth 5
                                        ;     Child Loop BB1_43 Depth 2
                                        ;       Child Loop BB1_44 Depth 3
                                        ;       Child Loop BB1_46 Depth 3
                                        ;         Child Loop BB1_47 Depth 4
                                        ;       Child Loop BB1_52 Depth 3
                                        ;         Child Loop BB1_54 Depth 4
                                        ;     Child Loop BB1_56 Depth 2
                                        ;     Child Loop BB1_61 Depth 2
	s_and_saveexec_b32 s1, s0
	s_cbranch_execz .LBB1_14
; %bb.4:                                ;   in Loop: Header=BB1_3 Depth=1
	s_and_not1_b32 vcc_lo, exec_lo, s26
	s_mul_u64 s[2:3], s[4:5], s[12:13]
	s_cbranch_vccnz .LBB1_8
; %bb.5:                                ;   in Loop: Header=BB1_3 Depth=1
	v_add_nc_u64_e32 v[6:7], s[2:3], v[0:1]
	s_mov_b32 s15, 1
	s_mov_b32 s16, 0
	;; [unrolled: 1-line block ×3, first 2 shown]
.LBB1_6:                                ;   Parent Loop BB1_3 Depth=1
                                        ; =>  This Inner Loop Header: Depth=2
	global_load_b64 v[8:9], v[6:7], off
	s_wait_xcnt 0x0
	v_add_nc_u64_e32 v[6:7], 8, v[6:7]
	v_lshl_or_b32 v14, s16, 4, v10
	v_lshl_or_b32 v15, s15, 4, v10
	s_add_co_i32 s17, s17, -2
	s_add_co_i32 s16, s16, 2
	s_add_co_i32 s15, s15, 2
	s_mov_b32 s14, s25
	s_mov_b32 s29, s27
	s_cmp_lg_u32 s17, 0
	s_wait_loadcnt 0x0
	ds_store_b32 v14, v8
	ds_store_b32 v15, v9
	s_cbranch_scc1 .LBB1_6
; %bb.7:                                ;   in Loop: Header=BB1_3 Depth=1
	s_and_b32 vcc_lo, exec_lo, s29
	s_cbranch_vccnz .LBB1_9
	s_branch .LBB1_11
.LBB1_8:                                ;   in Loop: Header=BB1_3 Depth=1
	s_mov_b32 s14, 0
	s_cbranch_execz .LBB1_11
.LBB1_9:                                ;   in Loop: Header=BB1_3 Depth=1
	s_mov_b32 s15, s13
	v_lshl_or_b32 v8, s14, 4, v10
	s_mul_u64 s[16:17], s[6:7], s[14:15]
	s_delay_alu instid0(SALU_CYCLE_1) | instskip(NEXT) | instid1(SALU_CYCLE_1)
	s_add_nc_u64 s[2:3], s[16:17], s[2:3]
	v_add_nc_u64_e32 v[6:7], s[2:3], v[0:1]
	s_sub_co_i32 s2, s20, s14
.LBB1_10:                               ;   Parent Loop BB1_3 Depth=1
                                        ; =>  This Inner Loop Header: Depth=2
	global_load_b32 v9, v[6:7], off
	s_wait_xcnt 0x0
	v_add_nc_u64_e32 v[6:7], s[6:7], v[6:7]
	s_add_co_i32 s2, s2, -1
	s_delay_alu instid0(SALU_CYCLE_1)
	s_cmp_eq_u32 s2, 0
	s_wait_loadcnt 0x0
	ds_store_b32 v8, v9
	v_add_nc_u32_e32 v8, 16, v8
	s_cbranch_scc0 .LBB1_10
.LBB1_11:                               ;   in Loop: Header=BB1_3 Depth=1
	v_mov_b32_e32 v6, 1.0
	s_and_b32 vcc_lo, exec_lo, s22
	s_cbranch_vccz .LBB1_13
; %bb.12:                               ;   in Loop: Header=BB1_3 Depth=1
	ds_load_b32 v6, v11
	s_wait_dscnt 0x0
	v_div_scale_f32 v7, null, v6, v6, 1.0
	s_delay_alu instid0(VALU_DEP_1) | instskip(SKIP_1) | instid1(TRANS32_DEP_1)
	v_rcp_f32_e32 v8, v7
	v_nop
	v_fma_f32 v9, -v7, v8, 1.0
	s_delay_alu instid0(VALU_DEP_1) | instskip(SKIP_1) | instid1(VALU_DEP_1)
	v_fmac_f32_e32 v8, v9, v8
	v_div_scale_f32 v9, vcc_lo, 1.0, v6, 1.0
	v_mul_f32_e32 v14, v9, v8
	s_delay_alu instid0(VALU_DEP_1) | instskip(NEXT) | instid1(VALU_DEP_1)
	v_fma_f32 v15, -v7, v14, v9
	v_fmac_f32_e32 v14, v15, v8
	s_delay_alu instid0(VALU_DEP_1) | instskip(NEXT) | instid1(VALU_DEP_1)
	v_fma_f32 v7, -v7, v14, v9
	v_div_fmas_f32 v7, v7, v8, v14
	s_delay_alu instid0(VALU_DEP_1)
	v_div_fixup_f32 v6, v7, v6, 1.0
.LBB1_13:                               ;   in Loop: Header=BB1_3 Depth=1
	ds_store_b32 v11, v6
.LBB1_14:                               ;   in Loop: Header=BB1_3 Depth=1
	s_or_b32 exec_lo, exec_lo, s1
	s_delay_alu instid0(VALU_DEP_3) | instskip(NEXT) | instid1(VALU_DEP_1)
	v_mad_nc_u64_u32 v[14:15], s10, s12, v[12:13]
	v_mad_u32 v15, s11, s12, v15
	s_and_saveexec_b32 s1, s24
	s_cbranch_execz .LBB1_17
; %bb.15:                               ;   in Loop: Header=BB1_3 Depth=1
	s_delay_alu instid0(VALU_DEP_1)
	v_mov_b64_e32 v[6:7], v[14:15]
	v_mov_b32_e32 v8, v16
	s_mov_b32 s2, s20
.LBB1_16:                               ;   Parent Loop BB1_3 Depth=1
                                        ; =>  This Inner Loop Header: Depth=2
	global_load_b32 v9, v[6:7], off
	s_wait_xcnt 0x0
	v_add_nc_u64_e32 v[6:7], 4, v[6:7]
	s_add_co_i32 s2, s2, -1
	s_delay_alu instid0(SALU_CYCLE_1)
	s_cmp_lg_u32 s2, 0
	s_wait_loadcnt 0x0
	v_mul_f32_e32 v9, s19, v9
	ds_store_b32 v8, v9
	v_add_nc_u32_e32 v8, 16, v8
	s_cbranch_scc1 .LBB1_16
.LBB1_17:                               ;   in Loop: Header=BB1_3 Depth=1
	s_or_b32 exec_lo, exec_lo, s1
	s_delay_alu instid0(SALU_CYCLE_1)
	s_and_not1_b32 vcc_lo, exec_lo, s23
	s_mov_b32 s1, -1
	s_wait_dscnt 0x0
	; wave barrier
                                        ; implicit-def: $vgpr6_vgpr7_vgpr8_vgpr9
	s_cbranch_vccnz .LBB1_39
; %bb.18:                               ;   in Loop: Header=BB1_3 Depth=1
	v_mov_b64_e32 v[8:9], v[4:5]
	v_mov_b64_e32 v[6:7], v[2:3]
	s_wait_xcnt 0x0
	s_mov_b32 s30, 0
	s_mov_b32 s29, 0
.LBB1_19:                               ;   Parent Loop BB1_3 Depth=1
                                        ; =>  This Loop Header: Depth=2
                                        ;       Child Loop BB1_22 Depth 3
                                        ;         Child Loop BB1_23 Depth 4
                                        ;         Child Loop BB1_26 Depth 4
                                        ;           Child Loop BB1_27 Depth 5
                                        ;         Child Loop BB1_32 Depth 4
                                        ;           Child Loop BB1_34 Depth 5
	s_load_b32 s31, s[8:9], s30 offset:0x0 scale_offset
	s_wait_kmcnt 0x0
	s_add_co_i32 s33, s31, -1
	s_delay_alu instid0(SALU_CYCLE_1) | instskip(NEXT) | instid1(SALU_CYCLE_1)
	s_add_co_i32 s1, s33, s29
	s_cmp_ge_i32 s1, s20
	s_cbranch_scc1 .LBB1_36
; %bb.20:                               ;   in Loop: Header=BB1_19 Depth=2
	s_lshl_b32 s34, s29, 4
	s_max_i32 s35, s31, 1
	v_add_nc_u32_e32 v17, s34, v16
	s_lshl_b32 s36, s31, 4
	s_mul_i32 s37, s29, 20
	s_mul_i32 s38, s31, 20
	s_branch .LBB1_22
.LBB1_21:                               ;   in Loop: Header=BB1_22 Depth=3
	s_add_co_i32 s29, s29, s31
	v_add_nc_u32_e32 v17, s36, v17
	s_add_co_i32 s1, s33, s29
	s_add_co_i32 s34, s34, s36
	;; [unrolled: 1-line block ×3, first 2 shown]
	s_cmp_ge_i32 s1, s20
	s_cbranch_scc1 .LBB1_36
.LBB1_22:                               ;   Parent Loop BB1_3 Depth=1
                                        ;     Parent Loop BB1_19 Depth=2
                                        ; =>    This Loop Header: Depth=3
                                        ;         Child Loop BB1_23 Depth 4
                                        ;         Child Loop BB1_26 Depth 4
                                        ;           Child Loop BB1_27 Depth 5
                                        ;         Child Loop BB1_32 Depth 4
                                        ;           Child Loop BB1_34 Depth 5
	v_mov_b32_e32 v18, v17
	s_mov_b64 s[14:15], 0
.LBB1_23:                               ;   Parent Loop BB1_3 Depth=1
                                        ;     Parent Loop BB1_19 Depth=2
                                        ;       Parent Loop BB1_22 Depth=3
                                        ; =>      This Inner Loop Header: Depth=4
	ds_load_b32 v19, v18
	s_cmp_eq_u32 s14, 3
	s_cselect_b32 vcc_lo, -1, 0
	s_cmp_eq_u32 s14, 2
	v_add_nc_u32_e32 v18, 16, v18
	s_cselect_b32 s1, -1, 0
	s_cmp_eq_u32 s14, 1
	s_cselect_b32 s2, -1, 0
	s_cmp_eq_u32 s14, 0
	s_add_nc_u64 s[14:15], s[14:15], 1
	s_cselect_b32 s3, -1, 0
	s_cmp_eq_u32 s35, s14
	s_wait_dscnt 0x0
	v_dual_cndmask_b32 v9, v9, v19, vcc_lo :: v_dual_cndmask_b32 v8, v8, v19, s1
	v_dual_cndmask_b32 v7, v7, v19, s2 :: v_dual_cndmask_b32 v6, v6, v19, s3
	s_cbranch_scc0 .LBB1_23
; %bb.24:                               ;   in Loop: Header=BB1_22 Depth=3
	s_cmp_lt_i32 s29, 1
	s_cbranch_scc1 .LBB1_29
; %bb.25:                               ;   in Loop: Header=BB1_22 Depth=3
	s_mov_b32 s16, 0
	s_mov_b32 s17, s34
.LBB1_26:                               ;   Parent Loop BB1_3 Depth=1
                                        ;     Parent Loop BB1_19 Depth=2
                                        ;       Parent Loop BB1_22 Depth=3
                                        ; =>      This Loop Header: Depth=4
                                        ;           Child Loop BB1_27 Depth 5
	v_lshl_add_u32 v18, s16, 4, v16
	s_mov_b64 s[14:15], 0
	s_mov_b32 s39, s17
	ds_load_b32 v18, v18
.LBB1_27:                               ;   Parent Loop BB1_3 Depth=1
                                        ;     Parent Loop BB1_19 Depth=2
                                        ;       Parent Loop BB1_22 Depth=3
                                        ;         Parent Loop BB1_26 Depth=4
                                        ; =>        This Inner Loop Header: Depth=5
	s_cmp_eq_u32 s14, 1
	s_cselect_b32 vcc_lo, -1, 0
	s_delay_alu instid0(VALU_DEP_1)
	v_dual_mov_b32 v19, s39 :: v_dual_cndmask_b32 v20, v6, v7
	s_cmp_eq_u32 s14, 2
	s_cselect_b32 s1, -1, 0
	ds_load_b32 v19, v19
	s_cmp_eq_u32 s14, 3
	s_cselect_b32 s2, -1, 0
	v_cndmask_b32_e64 v20, v20, v8, s1
	s_cmp_eq_u32 s14, 0
	s_add_nc_u64 s[14:15], s[14:15], 1
	s_cselect_b32 s3, -1, 0
	s_add_co_i32 s39, s39, 16
	v_cndmask_b32_e64 v20, v20, v9, s2
	s_cmp_eq_u32 s35, s14
	s_wait_dscnt 0x0
	s_delay_alu instid0(VALU_DEP_1) | instskip(NEXT) | instid1(VALU_DEP_1)
	v_fma_f32 v19, -v18, v19, v20
	v_dual_cndmask_b32 v9, v9, v19, s2 :: v_dual_cndmask_b32 v8, v8, v19, s1
	v_dual_cndmask_b32 v6, v6, v19, s3 :: v_dual_cndmask_b32 v7, v7, v19, vcc_lo
	s_cbranch_scc0 .LBB1_27
; %bb.28:                               ;   in Loop: Header=BB1_26 Depth=4
	s_add_co_i32 s16, s16, 1
	s_add_co_i32 s17, s17, 4
	s_cmp_eq_u32 s16, s29
	s_cbranch_scc0 .LBB1_26
.LBB1_29:                               ;   in Loop: Header=BB1_22 Depth=3
	s_lshl_b32 s39, s29, 4
	s_mov_b64 s[14:15], 0
	s_mov_b32 s40, s37
	s_branch .LBB1_32
.LBB1_30:                               ;   in Loop: Header=BB1_32 Depth=4
	s_mov_b32 s42, s29
	s_mov_b64 s[16:17], 0
	s_mov_b32 s41, s39
.LBB1_31:                               ;   in Loop: Header=BB1_32 Depth=4
	s_mul_i32 s1, s42, 20
	s_cmp_eq_u32 s16, 1
	s_add_nc_u64 s[14:15], s[14:15], 1
	s_cselect_b32 vcc_lo, -1, 0
	v_dual_mov_b32 v18, s1 :: v_dual_cndmask_b32 v19, v6, v7
	s_cmp_eq_u32 s16, 2
	s_cselect_b32 s1, -1, 0
	ds_load_b32 v18, v18
	s_cmp_eq_u32 s16, 3
	s_cselect_b32 s2, -1, 0
	v_cndmask_b32_e64 v19, v19, v8, s1
	s_cmp_eq_u32 s16, 0
	s_delay_alu instid0(VALU_DEP_1) | instskip(SKIP_1) | instid1(VALU_DEP_1)
	v_cndmask_b32_e64 v19, v19, v9, s2
	s_wait_dscnt 0x0
	v_dual_mul_f32 v18, v19, v18 :: v_dual_add_nc_u32 v19, s41, v16
	s_delay_alu instid0(VALU_DEP_1)
	v_cndmask_b32_e32 v7, v7, v18, vcc_lo
	s_cselect_b32 vcc_lo, -1, 0
	v_dual_cndmask_b32 v9, v9, v18, s2 :: v_dual_cndmask_b32 v8, v8, v18, s1
	v_cndmask_b32_e32 v6, v6, v18, vcc_lo
	s_add_co_i32 s40, s40, 16
	s_cmp_eq_u32 s14, s35
	ds_store_b32 v19, v18
	s_cbranch_scc1 .LBB1_21
.LBB1_32:                               ;   Parent Loop BB1_3 Depth=1
                                        ;     Parent Loop BB1_19 Depth=2
                                        ;       Parent Loop BB1_22 Depth=3
                                        ; =>      This Loop Header: Depth=4
                                        ;           Child Loop BB1_34 Depth 5
	s_cmp_eq_u32 s14, 0
	s_cbranch_scc1 .LBB1_30
; %bb.33:                               ;   in Loop: Header=BB1_32 Depth=4
	s_add_co_i32 s42, s14, s29
	s_mov_b64 s[16:17], 0
	s_lshl_b32 s41, s42, 4
	s_mov_b32 s43, s40
.LBB1_34:                               ;   Parent Loop BB1_3 Depth=1
                                        ;     Parent Loop BB1_19 Depth=2
                                        ;       Parent Loop BB1_22 Depth=3
                                        ;         Parent Loop BB1_32 Depth=4
                                        ; =>        This Inner Loop Header: Depth=5
	s_cmp_eq_u32 s16, 1
	s_cselect_b32 vcc_lo, -1, 0
	s_delay_alu instid0(VALU_DEP_1)
	v_dual_mov_b32 v18, s43 :: v_dual_cndmask_b32 v19, v6, v7
	s_cmp_eq_u32 s16, 2
	s_cselect_b32 vcc_lo, -1, 0
	s_cmp_eq_u32 s16, 3
	ds_load_b32 v18, v18
	v_cndmask_b32_e32 v19, v19, v8, vcc_lo
	s_cselect_b32 vcc_lo, -1, 0
	s_cmp_eq_u32 s14, 1
	s_add_nc_u64 s[16:17], s[16:17], 1
	s_cselect_b32 s1, -1, 0
	s_cmp_eq_u32 s14, 2
	v_cndmask_b32_e64 v20, v6, v7, s1
	s_cselect_b32 s2, -1, 0
	v_cndmask_b32_e32 v19, v19, v9, vcc_lo
	s_cmp_eq_u32 s14, 3
	s_delay_alu instid0(VALU_DEP_2) | instskip(SKIP_3) | instid1(VALU_DEP_1)
	v_cndmask_b32_e64 v20, v20, v8, s2
	s_cselect_b32 vcc_lo, -1, 0
	s_cmp_eq_u32 s14, 0
	s_cselect_b32 s3, -1, 0
	v_cndmask_b32_e32 v20, v20, v9, vcc_lo
	s_add_co_i32 s43, s43, 4
	s_cmp_eq_u32 s14, s16
	s_wait_dscnt 0x0
	s_delay_alu instid0(VALU_DEP_1) | instskip(NEXT) | instid1(VALU_DEP_1)
	v_fma_f32 v18, -v19, v18, v20
	v_dual_cndmask_b32 v9, v9, v18, vcc_lo :: v_dual_cndmask_b32 v8, v8, v18, s2
	v_dual_cndmask_b32 v7, v7, v18, s1 :: v_dual_cndmask_b32 v6, v6, v18, s3
	s_cbranch_scc0 .LBB1_34
; %bb.35:                               ;   in Loop: Header=BB1_32 Depth=4
	s_mov_b64 s[16:17], s[14:15]
	s_branch .LBB1_31
.LBB1_36:                               ;   in Loop: Header=BB1_19 Depth=2
	s_cmp_lt_i32 s29, s20
	s_cselect_b32 s2, -1, 0
	s_add_co_i32 s1, s30, 1
	s_cmp_lt_u32 s30, 2
	s_cselect_b32 s3, -1, 0
	s_delay_alu instid0(SALU_CYCLE_1) | instskip(NEXT) | instid1(SALU_CYCLE_1)
	s_and_b32 s2, s2, s3
	s_and_b32 vcc_lo, exec_lo, s2
	s_cbranch_vccz .LBB1_38
; %bb.37:                               ;   in Loop: Header=BB1_19 Depth=2
	s_wait_xcnt 0x0
	s_mov_b32 s30, s1
	s_branch .LBB1_19
.LBB1_38:                               ;   in Loop: Header=BB1_3 Depth=1
	s_mov_b32 s1, 0
.LBB1_39:                               ;   in Loop: Header=BB1_3 Depth=1
	s_delay_alu instid0(SALU_CYCLE_1)
	s_and_b32 vcc_lo, exec_lo, s1
	s_cbranch_vccz .LBB1_59
; %bb.40:                               ;   in Loop: Header=BB1_3 Depth=1
	s_wait_xcnt 0x0
	s_mov_b32 s30, 0
	s_mov_b32 s29, s21
	s_load_b32 s31, s[8:9], s30 offset:0x0 scale_offset
	s_wait_kmcnt 0x0
	s_add_co_i32 s33, s31, -1
	s_delay_alu instid0(SALU_CYCLE_1)
	s_cmp_lt_i32 s29, s33
	s_cbranch_scc1 .LBB1_56
.LBB1_41:                               ;   in Loop: Header=BB1_3 Depth=1
	s_lshl_b32 s1, s31, 4
	v_lshl_add_u32 v6, s29, 4, v16
	s_sub_co_i32 s35, 0, s1
	s_lshl_b32 s1, s29, 2
	s_lshl_b32 s2, s31, 2
	s_max_i32 s34, s31, 1
	s_add_co_i32 s36, s28, s1
	s_sub_co_i32 s37, 0, s2
	s_mul_i32 s38, s29, 20
	s_mul_i32 s39, s31, 0xffffffec
	s_branch .LBB1_43
.LBB1_42:                               ;   in Loop: Header=BB1_43 Depth=2
	v_add_nc_u32_e32 v6, s35, v6
	s_sub_co_i32 s29, s29, s31
	s_add_co_i32 s36, s36, s37
	s_add_co_i32 s38, s38, s39
	s_cmp_lt_i32 s29, s33
	s_cbranch_scc1 .LBB1_56
.LBB1_43:                               ;   Parent Loop BB1_3 Depth=1
                                        ; =>  This Loop Header: Depth=2
                                        ;       Child Loop BB1_44 Depth 3
                                        ;       Child Loop BB1_46 Depth 3
                                        ;         Child Loop BB1_47 Depth 4
                                        ;       Child Loop BB1_52 Depth 3
                                        ;         Child Loop BB1_54 Depth 4
	v_mov_b32_e32 v7, v6
	s_mov_b64 s[14:15], 0
.LBB1_44:                               ;   Parent Loop BB1_3 Depth=1
                                        ;     Parent Loop BB1_43 Depth=2
                                        ; =>    This Inner Loop Header: Depth=3
	ds_load_b32 v8, v7
	s_cmp_eq_u32 s14, 3
	s_cselect_b32 vcc_lo, -1, 0
	s_cmp_eq_u32 s14, 2
	v_add_nc_u32_e32 v7, -16, v7
	s_cselect_b32 s1, -1, 0
	s_cmp_eq_u32 s14, 1
	s_cselect_b32 s2, -1, 0
	s_cmp_eq_u32 s14, 0
	s_add_nc_u64 s[14:15], s[14:15], 1
	s_cselect_b32 s3, -1, 0
	s_cmp_eq_u32 s34, s14
	s_wait_dscnt 0x0
	v_dual_cndmask_b32 v5, v5, v8, vcc_lo :: v_dual_cndmask_b32 v4, v4, v8, s1
	v_dual_cndmask_b32 v3, v3, v8, s2 :: v_dual_cndmask_b32 v2, v2, v8, s3
	s_cbranch_scc0 .LBB1_44
; %bb.45:                               ;   in Loop: Header=BB1_43 Depth=2
	s_cmp_le_i32 s21, s29
	s_mov_b32 s16, s36
	s_mov_b32 s17, s21
	s_cbranch_scc1 .LBB1_49
.LBB1_46:                               ;   Parent Loop BB1_3 Depth=1
                                        ;     Parent Loop BB1_43 Depth=2
                                        ; =>    This Loop Header: Depth=3
                                        ;         Child Loop BB1_47 Depth 4
	v_lshl_add_u32 v7, s17, 4, v16
	s_mov_b64 s[14:15], 0
	s_mov_b32 s40, s16
	ds_load_b32 v7, v7
.LBB1_47:                               ;   Parent Loop BB1_3 Depth=1
                                        ;     Parent Loop BB1_43 Depth=2
                                        ;       Parent Loop BB1_46 Depth=3
                                        ; =>      This Inner Loop Header: Depth=4
	s_cmp_eq_u32 s14, 1
	s_cselect_b32 vcc_lo, -1, 0
	s_delay_alu instid0(VALU_DEP_1)
	v_dual_mov_b32 v8, s40 :: v_dual_cndmask_b32 v9, v2, v3
	s_cmp_eq_u32 s14, 2
	s_cselect_b32 s1, -1, 0
	ds_load_b32 v8, v8
	v_cndmask_b32_e64 v9, v9, v4, s1
	s_cmp_eq_u32 s14, 3
	s_cselect_b32 s2, -1, 0
	s_cmp_eq_u32 s14, 0
	s_delay_alu instid0(VALU_DEP_1)
	v_cndmask_b32_e64 v9, v9, v5, s2
	s_cselect_b32 s3, -1, 0
	s_add_nc_u64 s[14:15], s[14:15], 1
	s_add_co_i32 s40, s40, -4
	s_cmp_eq_u32 s34, s14
	s_wait_dscnt 0x0
	v_fma_f32 v8, -v7, v8, v9
	s_delay_alu instid0(VALU_DEP_1)
	v_dual_cndmask_b32 v5, v5, v8, s2 :: v_dual_cndmask_b32 v3, v3, v8, vcc_lo
	v_dual_cndmask_b32 v4, v4, v8, s1 :: v_dual_cndmask_b32 v2, v2, v8, s3
	s_cbranch_scc0 .LBB1_47
; %bb.48:                               ;   in Loop: Header=BB1_46 Depth=3
	s_add_co_i32 s17, s17, -1
	s_add_co_i32 s16, s16, -16
	s_cmp_le_i32 s17, s29
	s_cbranch_scc0 .LBB1_46
.LBB1_49:                               ;   in Loop: Header=BB1_43 Depth=2
	s_mov_b64 s[14:15], 0
	s_mov_b32 s40, s38
	s_branch .LBB1_52
.LBB1_50:                               ;   in Loop: Header=BB1_52 Depth=3
	s_mov_b32 s41, s29
	s_mov_b64 s[16:17], 0
.LBB1_51:                               ;   in Loop: Header=BB1_52 Depth=3
	s_mul_i32 s1, s41, 20
	s_cmp_eq_u32 s16, 1
	s_add_nc_u64 s[14:15], s[14:15], 1
	s_cselect_b32 vcc_lo, -1, 0
	v_dual_mov_b32 v7, s1 :: v_dual_cndmask_b32 v8, v2, v3
	s_cmp_eq_u32 s16, 2
	s_cselect_b32 s1, -1, 0
	ds_load_b32 v7, v7
	s_cmp_eq_u32 s16, 3
	s_cselect_b32 s2, -1, 0
	v_cndmask_b32_e64 v8, v8, v4, s1
	s_cmp_eq_u32 s16, 0
	s_delay_alu instid0(VALU_DEP_1) | instskip(SKIP_1) | instid1(VALU_DEP_1)
	v_cndmask_b32_e64 v8, v8, v5, s2
	s_wait_dscnt 0x0
	v_mul_f32_e32 v7, v8, v7
	v_lshl_add_u32 v8, s41, 4, v16
	s_delay_alu instid0(VALU_DEP_2)
	v_cndmask_b32_e32 v3, v3, v7, vcc_lo
	s_cselect_b32 vcc_lo, -1, 0
	v_dual_cndmask_b32 v5, v5, v7, s2 :: v_dual_cndmask_b32 v4, v4, v7, s1
	v_cndmask_b32_e32 v2, v2, v7, vcc_lo
	s_add_co_i32 s40, s40, -4
	s_cmp_eq_u32 s14, s34
	ds_store_b32 v8, v7
	s_cbranch_scc1 .LBB1_42
.LBB1_52:                               ;   Parent Loop BB1_3 Depth=1
                                        ;     Parent Loop BB1_43 Depth=2
                                        ; =>    This Loop Header: Depth=3
                                        ;         Child Loop BB1_54 Depth 4
	s_cmp_eq_u32 s14, 0
	s_cbranch_scc1 .LBB1_50
; %bb.53:                               ;   in Loop: Header=BB1_52 Depth=3
	s_sub_co_i32 s41, s29, s14
	s_mov_b64 s[16:17], 0
	s_mov_b32 s42, s40
.LBB1_54:                               ;   Parent Loop BB1_3 Depth=1
                                        ;     Parent Loop BB1_43 Depth=2
                                        ;       Parent Loop BB1_52 Depth=3
                                        ; =>      This Inner Loop Header: Depth=4
	s_cmp_eq_u32 s16, 1
	s_cselect_b32 vcc_lo, -1, 0
	s_delay_alu instid0(VALU_DEP_1)
	v_dual_mov_b32 v7, s42 :: v_dual_cndmask_b32 v8, v2, v3
	s_cmp_eq_u32 s16, 2
	s_cselect_b32 vcc_lo, -1, 0
	s_cmp_eq_u32 s16, 3
	ds_load_b32 v7, v7
	v_cndmask_b32_e32 v8, v8, v4, vcc_lo
	s_cselect_b32 vcc_lo, -1, 0
	s_cmp_eq_u32 s14, 1
	s_add_nc_u64 s[16:17], s[16:17], 1
	s_cselect_b32 s1, -1, 0
	s_cmp_eq_u32 s14, 2
	v_cndmask_b32_e64 v9, v2, v3, s1
	s_cselect_b32 s2, -1, 0
	v_cndmask_b32_e32 v8, v8, v5, vcc_lo
	s_cmp_eq_u32 s14, 3
	s_delay_alu instid0(VALU_DEP_2) | instskip(SKIP_3) | instid1(VALU_DEP_1)
	v_cndmask_b32_e64 v9, v9, v4, s2
	s_cselect_b32 vcc_lo, -1, 0
	s_cmp_eq_u32 s14, 0
	s_cselect_b32 s3, -1, 0
	v_cndmask_b32_e32 v9, v9, v5, vcc_lo
	s_add_co_i32 s42, s42, -16
	s_cmp_eq_u32 s14, s16
	s_wait_dscnt 0x0
	s_delay_alu instid0(VALU_DEP_1) | instskip(NEXT) | instid1(VALU_DEP_1)
	v_fma_f32 v7, -v8, v7, v9
	v_dual_cndmask_b32 v5, v5, v7, vcc_lo :: v_dual_cndmask_b32 v3, v3, v7, s1
	v_dual_cndmask_b32 v4, v4, v7, s2 :: v_dual_cndmask_b32 v2, v2, v7, s3
	s_cbranch_scc0 .LBB1_54
; %bb.55:                               ;   in Loop: Header=BB1_52 Depth=3
	s_mov_b64 s[16:17], s[14:15]
	s_branch .LBB1_51
.LBB1_56:                               ;   Parent Loop BB1_3 Depth=1
                                        ; =>  This Inner Loop Header: Depth=2
	s_cmp_gt_i32 s29, -1
	s_cselect_b32 s2, -1, 0
	s_add_co_i32 s1, s30, 1
	s_cmp_lt_u32 s30, 2
	s_cselect_b32 s3, -1, 0
	s_delay_alu instid0(SALU_CYCLE_1) | instskip(NEXT) | instid1(SALU_CYCLE_1)
	s_and_b32 s2, s2, s3
	s_and_not1_b32 vcc_lo, exec_lo, s2
	s_cbranch_vccnz .LBB1_58
; %bb.57:                               ;   in Loop: Header=BB1_56 Depth=2
	s_wait_xcnt 0x0
	s_mov_b32 s30, s1
	s_load_b32 s31, s[8:9], s30 offset:0x0 scale_offset
	s_wait_kmcnt 0x0
	s_add_co_i32 s33, s31, -1
	s_delay_alu instid0(SALU_CYCLE_1)
	s_cmp_lt_i32 s29, s33
	s_cbranch_scc0 .LBB1_41
	s_branch .LBB1_56
.LBB1_58:                               ;   in Loop: Header=BB1_3 Depth=1
	v_mov_b64_e32 v[8:9], v[4:5]
	v_mov_b64_e32 v[6:7], v[2:3]
.LBB1_59:                               ;   in Loop: Header=BB1_3 Depth=1
	s_wait_dscnt 0x0
	; wave barrier
	s_and_saveexec_b32 s1, s24
	s_cbranch_execz .LBB1_2
; %bb.60:                               ;   in Loop: Header=BB1_3 Depth=1
	v_mov_b32_e32 v2, v16
	s_mov_b32 s2, s20
.LBB1_61:                               ;   Parent Loop BB1_3 Depth=1
                                        ; =>  This Inner Loop Header: Depth=2
	ds_load_b32 v3, v2
	v_add_nc_u32_e32 v2, 16, v2
	s_add_co_i32 s2, s2, -1
	s_delay_alu instid0(SALU_CYCLE_1)
	s_cmp_lg_u32 s2, 0
	s_wait_dscnt 0x0
	global_store_b32 v[14:15], v3, off
	s_wait_xcnt 0x0
	v_add_nc_u64_e32 v[14:15], 4, v[14:15]
	s_cbranch_scc1 .LBB1_61
	s_branch .LBB1_2
.LBB1_62:
	s_endpgm
	.section	.rodata,"a",@progbits
	.p2align	6, 0x0
	.amdhsa_kernel _ZL38rocblas_trsm_small_left_device_sharedBILi4ELi4ELb0EffPKfPfEv13rocblas_fill_18rocblas_operation_17rocblas_diagonal_iiT3_T4_lilT5_lili
		.amdhsa_group_segment_fixed_size 128
		.amdhsa_private_segment_fixed_size 0
		.amdhsa_kernarg_size 352
		.amdhsa_user_sgpr_count 2
		.amdhsa_user_sgpr_dispatch_ptr 0
		.amdhsa_user_sgpr_queue_ptr 0
		.amdhsa_user_sgpr_kernarg_segment_ptr 1
		.amdhsa_user_sgpr_dispatch_id 0
		.amdhsa_user_sgpr_kernarg_preload_length 0
		.amdhsa_user_sgpr_kernarg_preload_offset 0
		.amdhsa_user_sgpr_private_segment_size 0
		.amdhsa_wavefront_size32 1
		.amdhsa_uses_dynamic_stack 0
		.amdhsa_enable_private_segment 0
		.amdhsa_system_sgpr_workgroup_id_x 1
		.amdhsa_system_sgpr_workgroup_id_y 0
		.amdhsa_system_sgpr_workgroup_id_z 1
		.amdhsa_system_sgpr_workgroup_info 0
		.amdhsa_system_vgpr_workitem_id 0
		.amdhsa_next_free_vgpr 21
		.amdhsa_next_free_sgpr 44
		.amdhsa_named_barrier_count 0
		.amdhsa_reserve_vcc 1
		.amdhsa_float_round_mode_32 0
		.amdhsa_float_round_mode_16_64 0
		.amdhsa_float_denorm_mode_32 3
		.amdhsa_float_denorm_mode_16_64 3
		.amdhsa_fp16_overflow 0
		.amdhsa_memory_ordered 1
		.amdhsa_forward_progress 1
		.amdhsa_inst_pref_size 21
		.amdhsa_round_robin_scheduling 0
		.amdhsa_exception_fp_ieee_invalid_op 0
		.amdhsa_exception_fp_denorm_src 0
		.amdhsa_exception_fp_ieee_div_zero 0
		.amdhsa_exception_fp_ieee_overflow 0
		.amdhsa_exception_fp_ieee_underflow 0
		.amdhsa_exception_fp_ieee_inexact 0
		.amdhsa_exception_int_div_zero 0
	.end_amdhsa_kernel
	.section	.text._ZL38rocblas_trsm_small_left_device_sharedBILi4ELi4ELb0EffPKfPfEv13rocblas_fill_18rocblas_operation_17rocblas_diagonal_iiT3_T4_lilT5_lili,"axG",@progbits,_ZL38rocblas_trsm_small_left_device_sharedBILi4ELi4ELb0EffPKfPfEv13rocblas_fill_18rocblas_operation_17rocblas_diagonal_iiT3_T4_lilT5_lili,comdat
.Lfunc_end1:
	.size	_ZL38rocblas_trsm_small_left_device_sharedBILi4ELi4ELb0EffPKfPfEv13rocblas_fill_18rocblas_operation_17rocblas_diagonal_iiT3_T4_lilT5_lili, .Lfunc_end1-_ZL38rocblas_trsm_small_left_device_sharedBILi4ELi4ELb0EffPKfPfEv13rocblas_fill_18rocblas_operation_17rocblas_diagonal_iiT3_T4_lilT5_lili
                                        ; -- End function
	.set _ZL38rocblas_trsm_small_left_device_sharedBILi4ELi4ELb0EffPKfPfEv13rocblas_fill_18rocblas_operation_17rocblas_diagonal_iiT3_T4_lilT5_lili.num_vgpr, 21
	.set _ZL38rocblas_trsm_small_left_device_sharedBILi4ELi4ELb0EffPKfPfEv13rocblas_fill_18rocblas_operation_17rocblas_diagonal_iiT3_T4_lilT5_lili.num_agpr, 0
	.set _ZL38rocblas_trsm_small_left_device_sharedBILi4ELi4ELb0EffPKfPfEv13rocblas_fill_18rocblas_operation_17rocblas_diagonal_iiT3_T4_lilT5_lili.numbered_sgpr, 44
	.set _ZL38rocblas_trsm_small_left_device_sharedBILi4ELi4ELb0EffPKfPfEv13rocblas_fill_18rocblas_operation_17rocblas_diagonal_iiT3_T4_lilT5_lili.num_named_barrier, 0
	.set _ZL38rocblas_trsm_small_left_device_sharedBILi4ELi4ELb0EffPKfPfEv13rocblas_fill_18rocblas_operation_17rocblas_diagonal_iiT3_T4_lilT5_lili.private_seg_size, 0
	.set _ZL38rocblas_trsm_small_left_device_sharedBILi4ELi4ELb0EffPKfPfEv13rocblas_fill_18rocblas_operation_17rocblas_diagonal_iiT3_T4_lilT5_lili.uses_vcc, 1
	.set _ZL38rocblas_trsm_small_left_device_sharedBILi4ELi4ELb0EffPKfPfEv13rocblas_fill_18rocblas_operation_17rocblas_diagonal_iiT3_T4_lilT5_lili.uses_flat_scratch, 0
	.set _ZL38rocblas_trsm_small_left_device_sharedBILi4ELi4ELb0EffPKfPfEv13rocblas_fill_18rocblas_operation_17rocblas_diagonal_iiT3_T4_lilT5_lili.has_dyn_sized_stack, 0
	.set _ZL38rocblas_trsm_small_left_device_sharedBILi4ELi4ELb0EffPKfPfEv13rocblas_fill_18rocblas_operation_17rocblas_diagonal_iiT3_T4_lilT5_lili.has_recursion, 0
	.set _ZL38rocblas_trsm_small_left_device_sharedBILi4ELi4ELb0EffPKfPfEv13rocblas_fill_18rocblas_operation_17rocblas_diagonal_iiT3_T4_lilT5_lili.has_indirect_call, 0
	.section	.AMDGPU.csdata,"",@progbits
; Kernel info:
; codeLenInByte = 2668
; TotalNumSgprs: 46
; NumVgprs: 21
; ScratchSize: 0
; MemoryBound: 0
; FloatMode: 240
; IeeeMode: 1
; LDSByteSize: 128 bytes/workgroup (compile time only)
; SGPRBlocks: 0
; VGPRBlocks: 1
; NumSGPRsForWavesPerEU: 46
; NumVGPRsForWavesPerEU: 21
; NamedBarCnt: 0
; Occupancy: 16
; WaveLimiterHint : 0
; COMPUTE_PGM_RSRC2:SCRATCH_EN: 0
; COMPUTE_PGM_RSRC2:USER_SGPR: 2
; COMPUTE_PGM_RSRC2:TRAP_HANDLER: 0
; COMPUTE_PGM_RSRC2:TGID_X_EN: 1
; COMPUTE_PGM_RSRC2:TGID_Y_EN: 0
; COMPUTE_PGM_RSRC2:TGID_Z_EN: 1
; COMPUTE_PGM_RSRC2:TIDIG_COMP_CNT: 0
	.section	.text._ZL30rocblas_trsm_small_left_deviceILi4ELi4ELb0EffPKfPfEv13rocblas_fill_18rocblas_operation_17rocblas_diagonal_iiT3_T4_lilT5_lili,"axG",@progbits,_ZL30rocblas_trsm_small_left_deviceILi4ELi4ELb0EffPKfPfEv13rocblas_fill_18rocblas_operation_17rocblas_diagonal_iiT3_T4_lilT5_lili,comdat
	.globl	_ZL30rocblas_trsm_small_left_deviceILi4ELi4ELb0EffPKfPfEv13rocblas_fill_18rocblas_operation_17rocblas_diagonal_iiT3_T4_lilT5_lili ; -- Begin function _ZL30rocblas_trsm_small_left_deviceILi4ELi4ELb0EffPKfPfEv13rocblas_fill_18rocblas_operation_17rocblas_diagonal_iiT3_T4_lilT5_lili
	.p2align	8
	.type	_ZL30rocblas_trsm_small_left_deviceILi4ELi4ELb0EffPKfPfEv13rocblas_fill_18rocblas_operation_17rocblas_diagonal_iiT3_T4_lilT5_lili,@function
_ZL30rocblas_trsm_small_left_deviceILi4ELi4ELb0EffPKfPfEv13rocblas_fill_18rocblas_operation_17rocblas_diagonal_iiT3_T4_lilT5_lili: ; @_ZL30rocblas_trsm_small_left_deviceILi4ELi4ELb0EffPKfPfEv13rocblas_fill_18rocblas_operation_17rocblas_diagonal_iiT3_T4_lilT5_lili
; %bb.0:
	s_load_b32 s33, s[0:1], 0x58
	s_bfe_u32 s2, ttmp6, 0x40014
	s_lshr_b32 s3, ttmp7, 16
	s_add_co_i32 s2, s2, 1
	s_bfe_u32 s4, ttmp6, 0x40008
	s_mul_i32 s2, s3, s2
	s_getreg_b32 s8, hwreg(HW_REG_IB_STS2, 6, 4)
	s_add_co_i32 s4, s4, s2
	s_cmp_eq_u32 s8, 0
	s_mov_b32 s19, 0
	s_cselect_b32 s20, s3, s4
	s_wait_kmcnt 0x0
	s_cmp_ge_u32 s20, s33
	s_cbranch_scc1 .LBB2_58
; %bb.1:
	s_clause 0x5
	s_load_b32 s2, s[0:1], 0x28
	s_load_b96 s[16:18], s[0:1], 0x40
	s_load_b128 s[4:7], s[0:1], 0x4
	s_load_b32 s9, s[0:1], 0x60
	s_load_b32 s36, s[0:1], 0x14
	s_load_b128 s[12:15], s[0:1], 0x18
	s_mov_b32 s45, 0
	v_dual_mov_b32 v11, 0 :: v_dual_lshlrev_b32 v1, 4, v0
	s_delay_alu instid0(VALU_DEP_1)
	v_dual_lshlrev_b32 v10, 2, v0 :: v_dual_mov_b32 v4, v11
	s_wait_kmcnt 0x0
	s_ashr_i32 s3, s2, 31
	s_mov_b32 s22, s18
	s_cmp_eq_u64 s[2:3], 1
	s_cselect_b32 s21, -1, 0
	s_min_i32 s37, s6, 4
	s_bfe_u32 s6, ttmp6, 0x4000c
	s_add_co_i32 s26, s9, -1
	s_add_co_i32 s6, s6, 1
	s_and_b32 s9, ttmp6, 15
	s_mul_i32 s6, ttmp9, s6
	s_ashr_i32 s23, s18, 31
	s_lshl_b64 s[24:25], s[16:17], 2
	s_add_co_i32 s38, s37, -1
	s_add_co_i32 s9, s9, s6
	s_cmp_eq_u32 s8, 0
	s_load_b64 s[16:17], s[0:1], 0x50
	s_cselect_b32 s6, ttmp9, s9
	s_load_b128 s[8:11], s[0:1], 0x30
	s_lshl_b32 s27, s6, 2
	s_delay_alu instid0(SALU_CYCLE_1)
	v_or_b32_e32 v2, s27, v0
	s_wait_xcnt 0x0
	s_sub_co_i32 s0, s7, s27
	s_cmp_ge_u32 s6, s26
	s_cselect_b32 s1, s0, 4
	v_ashrrev_i32_e32 v3, 31, v2
	s_cmp_lg_u32 s5, 0x84
	v_cmp_gt_i32_e64 s0, s37, v0
	s_cselect_b32 s39, -1, 0
	s_cmp_lg_u32 s4, 0x6f
	v_mul_u64_e32 v[6:7], s[22:23], v[2:3]
	s_cselect_b32 s40, -1, 0
	s_cmp_gt_u32 s37, 1
	v_mov_b32_e32 v2, v11
	s_cselect_b32 s4, -1, 0
	s_and_b32 s41, s37, -2
	s_and_b32 s42, s4, s21
	s_cmp_lg_u32 s37, s41
	v_dual_mov_b32 v5, v11 :: v_dual_add_nc_u32 v22, v10, v1
	s_cselect_b32 s43, -1, 0
	s_lshl_b64 s[4:5], s[14:15], 2
	s_wait_kmcnt 0x0
	s_lshl_b64 s[6:7], s[8:9], 2
	s_lshl_b64 s[8:9], s[2:3], 2
	s_add_nc_u64 s[2:3], s[12:13], s[4:5]
	s_add_nc_u64 s[10:11], s[10:11], s[24:25]
	v_cmp_gt_i32_e64 s1, s1, v0
	v_add_nc_u64_e32 v[0:1], s[2:3], v[10:11]
	v_mov_b32_e32 v3, v11
	s_lshl_b32 s44, s37, 4
	s_lshl_b64 s[12:13], s[16:17], 2
	s_add_co_i32 s44, s44, -16
	v_lshl_add_u64 v[12:13], v[6:7], 2, s[10:11]
	s_get_pc_i64 s[10:11]
	s_add_nc_u64 s[10:11], s[10:11], __const._ZL30rocblas_trsm_small_left_deviceILi4ELi4ELb0EffPKfPfEv13rocblas_fill_18rocblas_operation_17rocblas_diagonal_iiT3_T4_lilT5_lili.step_sizes@rel64+4
	s_branch .LBB2_5
.LBB2_2:                                ;   in Loop: Header=BB2_5 Depth=1
	s_wait_xcnt 0x0
	v_mov_b64_e32 v[8:9], v[4:5]
	v_mov_b64_e32 v[6:7], v[2:3]
.LBB2_3:                                ;   in Loop: Header=BB2_5 Depth=1
	s_add_co_i32 s20, s20, 0x10000
	s_delay_alu instid0(SALU_CYCLE_1) | instskip(SKIP_1) | instid1(SALU_CYCLE_1)
	s_cmp_ge_u32 s20, s33
	s_cselect_b32 s2, -1, 0
	s_or_not1_b32 s2, s2, exec_lo
.LBB2_4:                                ;   in Loop: Header=BB2_5 Depth=1
	s_wait_xcnt 0x0
	s_or_b32 exec_lo, exec_lo, s46
	v_mov_b64_e32 v[2:3], v[6:7]
	v_mov_b64_e32 v[4:5], v[8:9]
	s_and_b32 s2, exec_lo, s2
	s_delay_alu instid0(SALU_CYCLE_1) | instskip(NEXT) | instid1(SALU_CYCLE_1)
	s_or_b32 s45, s2, s45
	s_and_not1_b32 exec_lo, exec_lo, s45
	s_cbranch_execz .LBB2_58
.LBB2_5:                                ; =>This Loop Header: Depth=1
                                        ;     Child Loop BB2_8 Depth 2
                                        ;     Child Loop BB2_12 Depth 2
                                        ;     Child Loop BB2_19 Depth 2
                                        ;       Child Loop BB2_22 Depth 3
                                        ;         Child Loop BB2_23 Depth 4
                                        ;         Child Loop BB2_26 Depth 4
                                        ;           Child Loop BB2_27 Depth 5
                                        ;         Child Loop BB2_32 Depth 4
                                        ;           Child Loop BB2_34 Depth 5
                                        ;     Child Loop BB2_43 Depth 2
                                        ;       Child Loop BB2_44 Depth 3
                                        ;       Child Loop BB2_46 Depth 3
                                        ;         Child Loop BB2_47 Depth 4
                                        ;       Child Loop BB2_52 Depth 3
                                        ;         Child Loop BB2_54 Depth 4
                                        ;     Child Loop BB2_56 Depth 2
	s_mov_b32 s21, s19
	s_and_saveexec_b32 s4, s0
	s_cbranch_execz .LBB2_16
; %bb.6:                                ;   in Loop: Header=BB2_5 Depth=1
	s_and_not1_b32 vcc_lo, exec_lo, s42
	s_mul_u64 s[2:3], s[6:7], s[20:21]
	s_cbranch_vccnz .LBB2_10
; %bb.7:                                ;   in Loop: Header=BB2_5 Depth=1
	v_add_nc_u64_e32 v[6:7], s[2:3], v[0:1]
	s_mov_b32 s5, 1
	s_mov_b32 s14, 0
	;; [unrolled: 1-line block ×3, first 2 shown]
.LBB2_8:                                ;   Parent Loop BB2_5 Depth=1
                                        ; =>  This Inner Loop Header: Depth=2
	global_load_b64 v[8:9], v[6:7], off
	s_wait_xcnt 0x0
	v_add_nc_u64_e32 v[6:7], 8, v[6:7]
	v_lshl_or_b32 v11, s14, 4, v10
	v_lshl_or_b32 v14, s5, 4, v10
	s_add_co_i32 s15, s15, -2
	s_add_co_i32 s14, s14, 2
	s_add_co_i32 s5, s5, 2
	s_mov_b32 s18, s41
	s_mov_b32 s22, s43
	s_cmp_lg_u32 s15, 0
	s_wait_loadcnt 0x0
	ds_store_b32 v11, v8
	ds_store_b32 v14, v9
	s_cbranch_scc1 .LBB2_8
; %bb.9:                                ;   in Loop: Header=BB2_5 Depth=1
	s_and_b32 vcc_lo, exec_lo, s22
	s_cbranch_vccnz .LBB2_11
	s_branch .LBB2_13
.LBB2_10:                               ;   in Loop: Header=BB2_5 Depth=1
	s_mov_b32 s18, 0
	s_cbranch_execz .LBB2_13
.LBB2_11:                               ;   in Loop: Header=BB2_5 Depth=1
	s_mul_u64 s[14:15], s[8:9], s[18:19]
	v_lshl_or_b32 v8, s18, 4, v10
	s_add_nc_u64 s[2:3], s[14:15], s[2:3]
	s_delay_alu instid0(SALU_CYCLE_1)
	v_add_nc_u64_e32 v[6:7], s[2:3], v[0:1]
	s_sub_co_i32 s2, s37, s18
.LBB2_12:                               ;   Parent Loop BB2_5 Depth=1
                                        ; =>  This Inner Loop Header: Depth=2
	global_load_b32 v9, v[6:7], off
	s_wait_xcnt 0x0
	v_add_nc_u64_e32 v[6:7], s[8:9], v[6:7]
	s_add_co_i32 s2, s2, -1
	s_delay_alu instid0(SALU_CYCLE_1)
	s_cmp_eq_u32 s2, 0
	s_wait_loadcnt 0x0
	ds_store_b32 v8, v9
	v_add_nc_u32_e32 v8, 16, v8
	s_cbranch_scc0 .LBB2_12
.LBB2_13:                               ;   in Loop: Header=BB2_5 Depth=1
	v_mov_b32_e32 v6, 1.0
	s_and_b32 vcc_lo, exec_lo, s39
	s_cbranch_vccz .LBB2_15
; %bb.14:                               ;   in Loop: Header=BB2_5 Depth=1
	ds_load_b32 v6, v22
	s_wait_dscnt 0x0
	v_div_scale_f32 v7, null, v6, v6, 1.0
	s_delay_alu instid0(VALU_DEP_1) | instskip(SKIP_1) | instid1(TRANS32_DEP_1)
	v_rcp_f32_e32 v8, v7
	v_nop
	v_fma_f32 v9, -v7, v8, 1.0
	s_delay_alu instid0(VALU_DEP_1) | instskip(SKIP_1) | instid1(VALU_DEP_1)
	v_fmac_f32_e32 v8, v9, v8
	v_div_scale_f32 v9, vcc_lo, 1.0, v6, 1.0
	v_mul_f32_e32 v11, v9, v8
	s_delay_alu instid0(VALU_DEP_1) | instskip(NEXT) | instid1(VALU_DEP_1)
	v_fma_f32 v14, -v7, v11, v9
	v_fmac_f32_e32 v11, v14, v8
	s_delay_alu instid0(VALU_DEP_1) | instskip(NEXT) | instid1(VALU_DEP_1)
	v_fma_f32 v7, -v7, v11, v9
	v_div_fmas_f32 v7, v7, v8, v11
	s_delay_alu instid0(VALU_DEP_1)
	v_div_fixup_f32 v6, v7, v6, 1.0
.LBB2_15:                               ;   in Loop: Header=BB2_5 Depth=1
	ds_store_b32 v22, v6
.LBB2_16:                               ;   in Loop: Header=BB2_5 Depth=1
	s_or_b32 exec_lo, exec_lo, s4
	s_mov_b32 s2, -1
	s_wait_dscnt 0x0
	; wave barrier
                                        ; implicit-def: $vgpr6_vgpr7_vgpr8_vgpr9
	s_and_saveexec_b32 s46, s1
	s_cbranch_execz .LBB2_4
; %bb.17:                               ;   in Loop: Header=BB2_5 Depth=1
	s_mul_u64 s[2:3], s[16:17], s[20:21]
	s_mul_u64 s[14:15], s[12:13], s[20:21]
	v_lshl_add_u64 v[14:15], s[2:3], 2, v[12:13]
	s_and_not1_b32 vcc_lo, exec_lo, s40
	s_mov_b32 s2, -1
                                        ; implicit-def: $vgpr6_vgpr7_vgpr8_vgpr9
	s_cbranch_vccnz .LBB2_39
; %bb.18:                               ;   in Loop: Header=BB2_5 Depth=1
	v_mov_b64_e32 v[8:9], v[4:5]
	v_add_nc_u64_e32 v[16:17], s[14:15], v[12:13]
	v_mov_b64_e32 v[6:7], v[2:3]
	s_mov_b32 s21, 0
	s_mov_b32 s22, 0
.LBB2_19:                               ;   Parent Loop BB2_5 Depth=1
                                        ; =>  This Loop Header: Depth=2
                                        ;       Child Loop BB2_22 Depth 3
                                        ;         Child Loop BB2_23 Depth 4
                                        ;         Child Loop BB2_26 Depth 4
                                        ;           Child Loop BB2_27 Depth 5
                                        ;         Child Loop BB2_32 Depth 4
                                        ;           Child Loop BB2_34 Depth 5
	s_load_b32 s24, s[10:11], s21 offset:0x0 scale_offset
	s_wait_kmcnt 0x0
	s_add_co_i32 s47, s24, -1
	s_delay_alu instid0(SALU_CYCLE_1) | instskip(NEXT) | instid1(SALU_CYCLE_1)
	s_add_co_i32 s2, s47, s22
	s_cmp_ge_i32 s2, s37
	s_cbranch_scc1 .LBB2_36
; %bb.20:                               ;   in Loop: Header=BB2_19 Depth=2
	s_ashr_i32 s23, s22, 31
	s_ashr_i32 s25, s24, 31
	v_lshl_add_u64 v[18:19], s[22:23], 2, v[16:17]
	s_max_i32 s48, s24, 1
	s_lshl_b64 s[26:27], s[24:25], 2
	s_lshl_b32 s23, s22, 4
	s_lshl_b32 s25, s24, 4
	s_mul_i32 s49, s22, 20
	s_mul_i32 s50, s24, 20
	s_branch .LBB2_22
.LBB2_21:                               ;   in Loop: Header=BB2_22 Depth=3
	v_add_nc_u64_e32 v[18:19], s[26:27], v[18:19]
	s_add_co_i32 s22, s22, s24
	s_add_co_i32 s23, s23, s25
	;; [unrolled: 1-line block ×4, first 2 shown]
	s_cmp_ge_i32 s2, s37
	s_cbranch_scc1 .LBB2_36
.LBB2_22:                               ;   Parent Loop BB2_5 Depth=1
                                        ;     Parent Loop BB2_19 Depth=2
                                        ; =>    This Loop Header: Depth=3
                                        ;         Child Loop BB2_23 Depth 4
                                        ;         Child Loop BB2_26 Depth 4
                                        ;           Child Loop BB2_27 Depth 5
                                        ;         Child Loop BB2_32 Depth 4
                                        ;           Child Loop BB2_34 Depth 5
	s_wait_xcnt 0x0
	v_mov_b64_e32 v[20:21], v[18:19]
	s_mov_b64 s[4:5], 0
.LBB2_23:                               ;   Parent Loop BB2_5 Depth=1
                                        ;     Parent Loop BB2_19 Depth=2
                                        ;       Parent Loop BB2_22 Depth=3
                                        ; =>      This Inner Loop Header: Depth=4
	global_load_b32 v11, v[20:21], off
	s_cmp_eq_u32 s4, 3
	s_wait_xcnt 0x0
	v_add_nc_u64_e32 v[20:21], 4, v[20:21]
	s_cselect_b32 vcc_lo, -1, 0
	s_cmp_eq_u32 s4, 2
	s_cselect_b32 s2, -1, 0
	s_cmp_eq_u32 s4, 1
	s_cselect_b32 s3, -1, 0
	s_cmp_eq_u32 s4, 0
	s_add_nc_u64 s[4:5], s[4:5], 1
	s_wait_loadcnt 0x0
	v_mul_f32_e32 v11, s36, v11
	s_delay_alu instid0(VALU_DEP_1) | instskip(SKIP_1) | instid1(SALU_CYCLE_1)
	v_dual_cndmask_b32 v9, v9, v11, vcc_lo :: v_dual_cndmask_b32 v8, v8, v11, s2
	s_cselect_b32 vcc_lo, -1, 0
	v_dual_cndmask_b32 v7, v7, v11, s3 :: v_dual_cndmask_b32 v6, v6, v11, vcc_lo
	s_cmp_eq_u32 s48, s4
	s_cbranch_scc0 .LBB2_23
; %bb.24:                               ;   in Loop: Header=BB2_22 Depth=3
	s_cmp_lt_i32 s22, 1
	s_cbranch_scc1 .LBB2_29
; %bb.25:                               ;   in Loop: Header=BB2_22 Depth=3
	s_mov_b32 s18, 0
	s_mov_b32 s5, s23
.LBB2_26:                               ;   Parent Loop BB2_5 Depth=1
                                        ;     Parent Loop BB2_19 Depth=2
                                        ;       Parent Loop BB2_22 Depth=3
                                        ; =>      This Loop Header: Depth=4
                                        ;           Child Loop BB2_27 Depth 5
	v_lshl_add_u64 v[20:21], s[18:19], 2, v[14:15]
	s_mov_b64 s[28:29], 0
	s_mov_b32 s30, s5
	global_load_b32 v11, v[20:21], off
.LBB2_27:                               ;   Parent Loop BB2_5 Depth=1
                                        ;     Parent Loop BB2_19 Depth=2
                                        ;       Parent Loop BB2_22 Depth=3
                                        ;         Parent Loop BB2_26 Depth=4
                                        ; =>        This Inner Loop Header: Depth=5
	s_cmp_eq_u32 s28, 1
	s_cselect_b32 vcc_lo, -1, 0
	s_wait_xcnt 0x0
	v_dual_mov_b32 v20, s30 :: v_dual_cndmask_b32 v21, v6, v7
	s_cmp_eq_u32 s28, 2
	s_cselect_b32 s2, -1, 0
	ds_load_b32 v20, v20
	v_cndmask_b32_e64 v21, v21, v8, s2
	s_cmp_eq_u32 s28, 3
	s_cselect_b32 s3, -1, 0
	s_cmp_eq_u32 s28, 0
	s_delay_alu instid0(VALU_DEP_1)
	v_cndmask_b32_e64 v21, v21, v9, s3
	s_cselect_b32 s4, -1, 0
	s_add_nc_u64 s[28:29], s[28:29], 1
	s_add_co_i32 s30, s30, 16
	s_cmp_eq_u32 s48, s28
	s_wait_loadcnt_dscnt 0x0
	v_fma_f32 v20, -v11, v20, v21
	s_delay_alu instid0(VALU_DEP_1)
	v_dual_cndmask_b32 v9, v9, v20, s3 :: v_dual_cndmask_b32 v7, v7, v20, vcc_lo
	v_dual_cndmask_b32 v8, v8, v20, s2 :: v_dual_cndmask_b32 v6, v6, v20, s4
	s_cbranch_scc0 .LBB2_27
; %bb.28:                               ;   in Loop: Header=BB2_26 Depth=4
	s_add_co_i32 s18, s18, 1
	s_add_co_i32 s5, s5, 4
	s_cmp_eq_u32 s18, s22
	s_cbranch_scc0 .LBB2_26
.LBB2_29:                               ;   in Loop: Header=BB2_22 Depth=3
	s_mov_b64 s[28:29], 0
	s_mov_b32 s18, s49
	s_branch .LBB2_32
.LBB2_30:                               ;   in Loop: Header=BB2_32 Depth=4
	s_mov_b32 s30, s22
	s_mov_b64 s[4:5], 0
.LBB2_31:                               ;   in Loop: Header=BB2_32 Depth=4
	s_mul_i32 s2, s30, 20
	s_cmp_eq_u32 s4, 1
	s_add_nc_u64 s[28:29], s[28:29], 1
	s_cselect_b32 vcc_lo, -1, 0
	s_wait_xcnt 0x0
	v_dual_mov_b32 v11, s2 :: v_dual_cndmask_b32 v20, v6, v7
	s_cmp_eq_u32 s4, 2
	s_cselect_b32 s2, -1, 0
	ds_load_b32 v11, v11
	s_cmp_eq_u32 s4, 3
	s_cselect_b32 s3, -1, 0
	v_cndmask_b32_e64 v20, v20, v8, s2
	s_cmp_eq_u32 s4, 0
	s_cselect_b32 s4, -1, 0
	s_ashr_i32 s31, s30, 31
	s_delay_alu instid0(VALU_DEP_1) | instskip(SKIP_3) | instid1(VALU_DEP_1)
	v_cndmask_b32_e64 v20, v20, v9, s3
	s_add_co_i32 s18, s18, 16
	s_cmp_eq_u32 s28, s48
	s_wait_dscnt 0x0
	v_mul_f32_e32 v11, v20, v11
	v_lshl_add_u64 v[20:21], s[30:31], 2, v[14:15]
	s_delay_alu instid0(VALU_DEP_2)
	v_dual_cndmask_b32 v9, v9, v11, s3 :: v_dual_cndmask_b32 v8, v8, v11, s2
	v_dual_cndmask_b32 v6, v6, v11, s4 :: v_dual_cndmask_b32 v7, v7, v11, vcc_lo
	global_store_b32 v[20:21], v11, off
	s_cbranch_scc1 .LBB2_21
.LBB2_32:                               ;   Parent Loop BB2_5 Depth=1
                                        ;     Parent Loop BB2_19 Depth=2
                                        ;       Parent Loop BB2_22 Depth=3
                                        ; =>      This Loop Header: Depth=4
                                        ;           Child Loop BB2_34 Depth 5
	s_cmp_eq_u32 s28, 0
	s_cbranch_scc1 .LBB2_30
; %bb.33:                               ;   in Loop: Header=BB2_32 Depth=4
	s_add_co_i32 s30, s28, s22
	s_mov_b64 s[34:35], 0
	s_mov_b32 s5, s18
.LBB2_34:                               ;   Parent Loop BB2_5 Depth=1
                                        ;     Parent Loop BB2_19 Depth=2
                                        ;       Parent Loop BB2_22 Depth=3
                                        ;         Parent Loop BB2_32 Depth=4
                                        ; =>        This Inner Loop Header: Depth=5
	s_cmp_eq_u32 s34, 1
	s_cselect_b32 vcc_lo, -1, 0
	s_wait_xcnt 0x0
	v_dual_mov_b32 v11, s5 :: v_dual_cndmask_b32 v20, v6, v7
	s_cmp_eq_u32 s34, 2
	s_cselect_b32 vcc_lo, -1, 0
	s_cmp_eq_u32 s34, 3
	ds_load_b32 v11, v11
	v_cndmask_b32_e32 v20, v20, v8, vcc_lo
	s_cselect_b32 vcc_lo, -1, 0
	s_cmp_eq_u32 s28, 1
	s_add_nc_u64 s[34:35], s[34:35], 1
	s_cselect_b32 s2, -1, 0
	s_cmp_eq_u32 s28, 2
	v_cndmask_b32_e64 v21, v6, v7, s2
	s_cselect_b32 s3, -1, 0
	v_cndmask_b32_e32 v20, v20, v9, vcc_lo
	s_cmp_eq_u32 s28, 3
	s_delay_alu instid0(VALU_DEP_2) | instskip(SKIP_3) | instid1(VALU_DEP_1)
	v_cndmask_b32_e64 v21, v21, v8, s3
	s_cselect_b32 vcc_lo, -1, 0
	s_cmp_eq_u32 s28, 0
	s_cselect_b32 s4, -1, 0
	v_cndmask_b32_e32 v21, v21, v9, vcc_lo
	s_add_co_i32 s5, s5, 4
	s_cmp_eq_u32 s28, s34
	s_wait_dscnt 0x0
	s_delay_alu instid0(VALU_DEP_1) | instskip(NEXT) | instid1(VALU_DEP_1)
	v_fma_f32 v11, -v20, v11, v21
	v_dual_cndmask_b32 v9, v9, v11, vcc_lo :: v_dual_cndmask_b32 v7, v7, v11, s2
	v_dual_cndmask_b32 v8, v8, v11, s3 :: v_dual_cndmask_b32 v6, v6, v11, s4
	s_cbranch_scc0 .LBB2_34
; %bb.35:                               ;   in Loop: Header=BB2_32 Depth=4
	s_mov_b64 s[4:5], s[28:29]
	s_branch .LBB2_31
.LBB2_36:                               ;   in Loop: Header=BB2_19 Depth=2
	s_cmp_lt_i32 s22, s37
	s_cselect_b32 s3, -1, 0
	s_add_co_i32 s2, s21, 1
	s_cmp_lt_u32 s21, 2
	s_cselect_b32 s4, -1, 0
	s_delay_alu instid0(SALU_CYCLE_1) | instskip(NEXT) | instid1(SALU_CYCLE_1)
	s_and_b32 s3, s3, s4
	s_and_b32 vcc_lo, exec_lo, s3
	s_cbranch_vccz .LBB2_38
; %bb.37:                               ;   in Loop: Header=BB2_19 Depth=2
	s_wait_xcnt 0x0
	s_mov_b32 s21, s2
	s_branch .LBB2_19
.LBB2_38:                               ;   in Loop: Header=BB2_5 Depth=1
	s_mov_b32 s2, 0
.LBB2_39:                               ;   in Loop: Header=BB2_5 Depth=1
	s_delay_alu instid0(SALU_CYCLE_1)
	s_and_b32 vcc_lo, exec_lo, s2
	s_cbranch_vccz .LBB2_3
; %bb.40:                               ;   in Loop: Header=BB2_5 Depth=1
	v_add_nc_u64_e32 v[6:7], s[14:15], v[12:13]
	s_mov_b32 s18, 0
	s_mov_b32 s14, s38
	s_wait_xcnt 0x0
	s_load_b32 s21, s[10:11], s18 offset:0x0 scale_offset
	s_wait_kmcnt 0x0
	s_add_co_i32 s26, s21, -1
	s_delay_alu instid0(SALU_CYCLE_1)
	s_cmp_lt_i32 s14, s26
	s_cbranch_scc1 .LBB2_56
.LBB2_41:                               ;   in Loop: Header=BB2_5 Depth=1
	s_lshl_b32 s2, s14, 2
	s_lshl_b32 s3, s21, 2
	s_max_i32 s27, s21, 1
	s_add_co_i32 s28, s44, s2
	s_sub_co_i32 s29, 0, s3
	s_mul_i32 s30, s14, 20
	s_mul_i32 s31, s21, 0xffffffec
	s_branch .LBB2_43
.LBB2_42:                               ;   in Loop: Header=BB2_43 Depth=2
	s_sub_co_i32 s14, s14, s21
	s_add_co_i32 s28, s28, s29
	s_add_co_i32 s30, s30, s31
	s_cmp_lt_i32 s14, s26
	s_cbranch_scc1 .LBB2_56
.LBB2_43:                               ;   Parent Loop BB2_5 Depth=1
                                        ; =>  This Loop Header: Depth=2
                                        ;       Child Loop BB2_44 Depth 3
                                        ;       Child Loop BB2_46 Depth 3
                                        ;         Child Loop BB2_47 Depth 4
                                        ;       Child Loop BB2_52 Depth 3
                                        ;         Child Loop BB2_54 Depth 4
	s_ashr_i32 s15, s14, 31
	s_mov_b64 s[4:5], 0
	s_wait_xcnt 0x0
	v_lshl_add_u64 v[8:9], s[14:15], 2, v[6:7]
.LBB2_44:                               ;   Parent Loop BB2_5 Depth=1
                                        ;     Parent Loop BB2_43 Depth=2
                                        ; =>    This Inner Loop Header: Depth=3
	global_load_b32 v11, v[8:9], off
	s_cmp_eq_u32 s4, 3
	s_wait_xcnt 0x0
	v_add_nc_u64_e32 v[8:9], -4, v[8:9]
	s_cselect_b32 vcc_lo, -1, 0
	s_cmp_eq_u32 s4, 2
	s_cselect_b32 s2, -1, 0
	s_cmp_eq_u32 s4, 1
	s_cselect_b32 s3, -1, 0
	s_cmp_eq_u32 s4, 0
	s_add_nc_u64 s[4:5], s[4:5], 1
	s_wait_loadcnt 0x0
	v_mul_f32_e32 v11, s36, v11
	s_delay_alu instid0(VALU_DEP_1) | instskip(SKIP_1) | instid1(SALU_CYCLE_1)
	v_dual_cndmask_b32 v5, v5, v11, vcc_lo :: v_dual_cndmask_b32 v4, v4, v11, s2
	s_cselect_b32 vcc_lo, -1, 0
	v_dual_cndmask_b32 v3, v3, v11, s3 :: v_dual_cndmask_b32 v2, v2, v11, vcc_lo
	s_cmp_eq_u32 s27, s4
	s_cbranch_scc0 .LBB2_44
; %bb.45:                               ;   in Loop: Header=BB2_43 Depth=2
	s_cmp_le_i32 s38, s14
	s_mov_b32 s5, s28
	s_mov_b32 s22, s38
	s_cbranch_scc1 .LBB2_49
.LBB2_46:                               ;   Parent Loop BB2_5 Depth=1
                                        ;     Parent Loop BB2_43 Depth=2
                                        ; =>    This Loop Header: Depth=3
                                        ;         Child Loop BB2_47 Depth 4
	s_ashr_i32 s23, s22, 31
	s_mov_b64 s[24:25], 0
	v_lshl_add_u64 v[8:9], s[22:23], 2, v[14:15]
	s_mov_b32 s23, s5
	global_load_b32 v8, v[8:9], off
.LBB2_47:                               ;   Parent Loop BB2_5 Depth=1
                                        ;     Parent Loop BB2_43 Depth=2
                                        ;       Parent Loop BB2_46 Depth=3
                                        ; =>      This Inner Loop Header: Depth=4
	s_cmp_eq_u32 s24, 1
	s_cselect_b32 vcc_lo, -1, 0
	s_wait_xcnt 0x0
	v_dual_mov_b32 v9, s23 :: v_dual_cndmask_b32 v11, v2, v3, vcc_lo
	s_cmp_eq_u32 s24, 2
	s_cselect_b32 s2, -1, 0
	ds_load_b32 v9, v9
	s_cmp_eq_u32 s24, 3
	s_cselect_b32 s3, -1, 0
	v_cndmask_b32_e64 v11, v11, v4, s2
	s_cmp_eq_u32 s24, 0
	s_add_nc_u64 s[24:25], s[24:25], 1
	s_cselect_b32 s4, -1, 0
	s_add_co_i32 s23, s23, -4
	v_cndmask_b32_e64 v11, v11, v5, s3
	s_cmp_eq_u32 s27, s24
	s_wait_loadcnt_dscnt 0x0
	s_delay_alu instid0(VALU_DEP_1) | instskip(NEXT) | instid1(VALU_DEP_1)
	v_fma_f32 v9, -v8, v9, v11
	v_dual_cndmask_b32 v5, v5, v9, s3 :: v_dual_cndmask_b32 v4, v4, v9, s2
	v_dual_cndmask_b32 v3, v3, v9, vcc_lo :: v_dual_cndmask_b32 v2, v2, v9, s4
	s_cbranch_scc0 .LBB2_47
; %bb.48:                               ;   in Loop: Header=BB2_46 Depth=3
	s_add_co_i32 s22, s22, -1
	s_add_co_i32 s5, s5, -16
	s_cmp_le_i32 s22, s14
	s_cbranch_scc0 .LBB2_46
.LBB2_49:                               ;   in Loop: Header=BB2_43 Depth=2
	s_mov_b64 s[22:23], 0
	s_mov_b32 s34, s30
	s_branch .LBB2_52
.LBB2_50:                               ;   in Loop: Header=BB2_52 Depth=3
	s_mov_b32 s2, s14
	s_mov_b64 s[4:5], 0
	s_mov_b64 s[24:25], s[14:15]
.LBB2_51:                               ;   in Loop: Header=BB2_52 Depth=3
	s_mul_i32 s2, s2, 20
	s_cmp_eq_u32 s4, 1
	s_add_nc_u64 s[22:23], s[22:23], 1
	s_cselect_b32 vcc_lo, -1, 0
	s_wait_xcnt 0x0
	v_dual_mov_b32 v8, s2 :: v_dual_cndmask_b32 v9, v2, v3
	s_cmp_eq_u32 s4, 2
	s_cselect_b32 s2, -1, 0
	ds_load_b32 v8, v8
	v_cndmask_b32_e64 v9, v9, v4, s2
	s_cmp_eq_u32 s4, 3
	s_cselect_b32 s3, -1, 0
	s_cmp_eq_u32 s4, 0
	s_delay_alu instid0(VALU_DEP_1) | instskip(SKIP_1) | instid1(VALU_DEP_1)
	v_cndmask_b32_e64 v9, v9, v5, s3
	s_wait_dscnt 0x0
	v_mul_f32_e32 v11, v9, v8
	v_lshl_add_u64 v[8:9], s[24:25], 2, v[14:15]
	s_delay_alu instid0(VALU_DEP_2) | instskip(SKIP_1) | instid1(SALU_CYCLE_1)
	v_cndmask_b32_e32 v3, v3, v11, vcc_lo
	s_cselect_b32 vcc_lo, -1, 0
	v_dual_cndmask_b32 v5, v5, v11, s3 :: v_dual_cndmask_b32 v2, v2, v11, vcc_lo
	v_cndmask_b32_e64 v4, v4, v11, s2
	s_add_co_i32 s34, s34, -4
	s_cmp_eq_u32 s22, s27
	global_store_b32 v[8:9], v11, off
	s_cbranch_scc1 .LBB2_42
.LBB2_52:                               ;   Parent Loop BB2_5 Depth=1
                                        ;     Parent Loop BB2_43 Depth=2
                                        ; =>    This Loop Header: Depth=3
                                        ;         Child Loop BB2_54 Depth 4
	s_cmp_eq_u32 s22, 0
	s_cbranch_scc1 .LBB2_50
; %bb.53:                               ;   in Loop: Header=BB2_52 Depth=3
	s_mov_b64 s[24:25], 0
	s_mov_b32 s5, s34
.LBB2_54:                               ;   Parent Loop BB2_5 Depth=1
                                        ;     Parent Loop BB2_43 Depth=2
                                        ;       Parent Loop BB2_52 Depth=3
                                        ; =>      This Inner Loop Header: Depth=4
	s_cmp_eq_u32 s24, 1
	s_cselect_b32 vcc_lo, -1, 0
	s_wait_xcnt 0x0
	v_dual_mov_b32 v8, s5 :: v_dual_cndmask_b32 v9, v2, v3
	s_cmp_eq_u32 s24, 2
	s_cselect_b32 vcc_lo, -1, 0
	s_cmp_eq_u32 s24, 3
	ds_load_b32 v8, v8
	v_cndmask_b32_e32 v9, v9, v4, vcc_lo
	s_cselect_b32 vcc_lo, -1, 0
	s_cmp_eq_u32 s22, 1
	s_add_nc_u64 s[24:25], s[24:25], 1
	s_cselect_b32 s2, -1, 0
	s_cmp_eq_u32 s22, 2
	v_cndmask_b32_e64 v11, v2, v3, s2
	s_cselect_b32 s3, -1, 0
	v_cndmask_b32_e32 v9, v9, v5, vcc_lo
	s_cmp_eq_u32 s22, 3
	s_delay_alu instid0(VALU_DEP_2) | instskip(SKIP_3) | instid1(VALU_DEP_1)
	v_cndmask_b32_e64 v11, v11, v4, s3
	s_cselect_b32 vcc_lo, -1, 0
	s_cmp_eq_u32 s22, 0
	s_cselect_b32 s4, -1, 0
	v_cndmask_b32_e32 v11, v11, v5, vcc_lo
	s_add_co_i32 s5, s5, -16
	s_cmp_eq_u32 s22, s24
	s_wait_dscnt 0x0
	s_delay_alu instid0(VALU_DEP_1) | instskip(NEXT) | instid1(VALU_DEP_1)
	v_fma_f32 v8, -v9, v8, v11
	v_dual_cndmask_b32 v5, v5, v8, vcc_lo :: v_dual_cndmask_b32 v4, v4, v8, s3
	v_dual_cndmask_b32 v3, v3, v8, s2 :: v_dual_cndmask_b32 v2, v2, v8, s4
	s_cbranch_scc0 .LBB2_54
; %bb.55:                               ;   in Loop: Header=BB2_52 Depth=3
	s_sub_co_i32 s2, s14, s22
	s_mov_b64 s[4:5], s[22:23]
	s_ashr_i32 s3, s2, 31
	s_delay_alu instid0(SALU_CYCLE_1)
	s_mov_b64 s[24:25], s[2:3]
	s_branch .LBB2_51
.LBB2_56:                               ;   Parent Loop BB2_5 Depth=1
                                        ; =>  This Inner Loop Header: Depth=2
	s_cmp_gt_i32 s14, -1
	s_cselect_b32 s3, -1, 0
	s_add_co_i32 s2, s18, 1
	s_cmp_lt_u32 s18, 2
	s_cselect_b32 s4, -1, 0
	s_delay_alu instid0(SALU_CYCLE_1) | instskip(NEXT) | instid1(SALU_CYCLE_1)
	s_and_b32 s3, s3, s4
	s_and_not1_b32 vcc_lo, exec_lo, s3
	s_cbranch_vccnz .LBB2_2
; %bb.57:                               ;   in Loop: Header=BB2_56 Depth=2
	s_wait_xcnt 0x0
	s_mov_b32 s18, s2
	s_load_b32 s21, s[10:11], s18 offset:0x0 scale_offset
	s_wait_kmcnt 0x0
	s_add_co_i32 s26, s21, -1
	s_delay_alu instid0(SALU_CYCLE_1)
	s_cmp_lt_i32 s14, s26
	s_cbranch_scc0 .LBB2_41
	s_branch .LBB2_56
.LBB2_58:
	s_endpgm
	.section	.rodata,"a",@progbits
	.p2align	6, 0x0
	.amdhsa_kernel _ZL30rocblas_trsm_small_left_deviceILi4ELi4ELb0EffPKfPfEv13rocblas_fill_18rocblas_operation_17rocblas_diagonal_iiT3_T4_lilT5_lili
		.amdhsa_group_segment_fixed_size 64
		.amdhsa_private_segment_fixed_size 0
		.amdhsa_kernarg_size 352
		.amdhsa_user_sgpr_count 2
		.amdhsa_user_sgpr_dispatch_ptr 0
		.amdhsa_user_sgpr_queue_ptr 0
		.amdhsa_user_sgpr_kernarg_segment_ptr 1
		.amdhsa_user_sgpr_dispatch_id 0
		.amdhsa_user_sgpr_kernarg_preload_length 0
		.amdhsa_user_sgpr_kernarg_preload_offset 0
		.amdhsa_user_sgpr_private_segment_size 0
		.amdhsa_wavefront_size32 1
		.amdhsa_uses_dynamic_stack 0
		.amdhsa_enable_private_segment 0
		.amdhsa_system_sgpr_workgroup_id_x 1
		.amdhsa_system_sgpr_workgroup_id_y 0
		.amdhsa_system_sgpr_workgroup_id_z 1
		.amdhsa_system_sgpr_workgroup_info 0
		.amdhsa_system_vgpr_workitem_id 0
		.amdhsa_next_free_vgpr 23
		.amdhsa_next_free_sgpr 51
		.amdhsa_named_barrier_count 0
		.amdhsa_reserve_vcc 1
		.amdhsa_float_round_mode_32 0
		.amdhsa_float_round_mode_16_64 0
		.amdhsa_float_denorm_mode_32 3
		.amdhsa_float_denorm_mode_16_64 3
		.amdhsa_fp16_overflow 0
		.amdhsa_memory_ordered 1
		.amdhsa_forward_progress 1
		.amdhsa_inst_pref_size 21
		.amdhsa_round_robin_scheduling 0
		.amdhsa_exception_fp_ieee_invalid_op 0
		.amdhsa_exception_fp_denorm_src 0
		.amdhsa_exception_fp_ieee_div_zero 0
		.amdhsa_exception_fp_ieee_overflow 0
		.amdhsa_exception_fp_ieee_underflow 0
		.amdhsa_exception_fp_ieee_inexact 0
		.amdhsa_exception_int_div_zero 0
	.end_amdhsa_kernel
	.section	.text._ZL30rocblas_trsm_small_left_deviceILi4ELi4ELb0EffPKfPfEv13rocblas_fill_18rocblas_operation_17rocblas_diagonal_iiT3_T4_lilT5_lili,"axG",@progbits,_ZL30rocblas_trsm_small_left_deviceILi4ELi4ELb0EffPKfPfEv13rocblas_fill_18rocblas_operation_17rocblas_diagonal_iiT3_T4_lilT5_lili,comdat
.Lfunc_end2:
	.size	_ZL30rocblas_trsm_small_left_deviceILi4ELi4ELb0EffPKfPfEv13rocblas_fill_18rocblas_operation_17rocblas_diagonal_iiT3_T4_lilT5_lili, .Lfunc_end2-_ZL30rocblas_trsm_small_left_deviceILi4ELi4ELb0EffPKfPfEv13rocblas_fill_18rocblas_operation_17rocblas_diagonal_iiT3_T4_lilT5_lili
                                        ; -- End function
	.set _ZL30rocblas_trsm_small_left_deviceILi4ELi4ELb0EffPKfPfEv13rocblas_fill_18rocblas_operation_17rocblas_diagonal_iiT3_T4_lilT5_lili.num_vgpr, 23
	.set _ZL30rocblas_trsm_small_left_deviceILi4ELi4ELb0EffPKfPfEv13rocblas_fill_18rocblas_operation_17rocblas_diagonal_iiT3_T4_lilT5_lili.num_agpr, 0
	.set _ZL30rocblas_trsm_small_left_deviceILi4ELi4ELb0EffPKfPfEv13rocblas_fill_18rocblas_operation_17rocblas_diagonal_iiT3_T4_lilT5_lili.numbered_sgpr, 51
	.set _ZL30rocblas_trsm_small_left_deviceILi4ELi4ELb0EffPKfPfEv13rocblas_fill_18rocblas_operation_17rocblas_diagonal_iiT3_T4_lilT5_lili.num_named_barrier, 0
	.set _ZL30rocblas_trsm_small_left_deviceILi4ELi4ELb0EffPKfPfEv13rocblas_fill_18rocblas_operation_17rocblas_diagonal_iiT3_T4_lilT5_lili.private_seg_size, 0
	.set _ZL30rocblas_trsm_small_left_deviceILi4ELi4ELb0EffPKfPfEv13rocblas_fill_18rocblas_operation_17rocblas_diagonal_iiT3_T4_lilT5_lili.uses_vcc, 1
	.set _ZL30rocblas_trsm_small_left_deviceILi4ELi4ELb0EffPKfPfEv13rocblas_fill_18rocblas_operation_17rocblas_diagonal_iiT3_T4_lilT5_lili.uses_flat_scratch, 0
	.set _ZL30rocblas_trsm_small_left_deviceILi4ELi4ELb0EffPKfPfEv13rocblas_fill_18rocblas_operation_17rocblas_diagonal_iiT3_T4_lilT5_lili.has_dyn_sized_stack, 0
	.set _ZL30rocblas_trsm_small_left_deviceILi4ELi4ELb0EffPKfPfEv13rocblas_fill_18rocblas_operation_17rocblas_diagonal_iiT3_T4_lilT5_lili.has_recursion, 0
	.set _ZL30rocblas_trsm_small_left_deviceILi4ELi4ELb0EffPKfPfEv13rocblas_fill_18rocblas_operation_17rocblas_diagonal_iiT3_T4_lilT5_lili.has_indirect_call, 0
	.section	.AMDGPU.csdata,"",@progbits
; Kernel info:
; codeLenInByte = 2616
; TotalNumSgprs: 53
; NumVgprs: 23
; ScratchSize: 0
; MemoryBound: 0
; FloatMode: 240
; IeeeMode: 1
; LDSByteSize: 64 bytes/workgroup (compile time only)
; SGPRBlocks: 0
; VGPRBlocks: 1
; NumSGPRsForWavesPerEU: 53
; NumVGPRsForWavesPerEU: 23
; NamedBarCnt: 0
; Occupancy: 16
; WaveLimiterHint : 0
; COMPUTE_PGM_RSRC2:SCRATCH_EN: 0
; COMPUTE_PGM_RSRC2:USER_SGPR: 2
; COMPUTE_PGM_RSRC2:TRAP_HANDLER: 0
; COMPUTE_PGM_RSRC2:TGID_X_EN: 1
; COMPUTE_PGM_RSRC2:TGID_Y_EN: 0
; COMPUTE_PGM_RSRC2:TGID_Z_EN: 1
; COMPUTE_PGM_RSRC2:TIDIG_COMP_CNT: 0
	.section	.text._ZL38rocblas_trsm_small_left_device_sharedBILi4ELi4ELb1EffPKfPfEv13rocblas_fill_18rocblas_operation_17rocblas_diagonal_iiT3_T4_lilT5_lili,"axG",@progbits,_ZL38rocblas_trsm_small_left_device_sharedBILi4ELi4ELb1EffPKfPfEv13rocblas_fill_18rocblas_operation_17rocblas_diagonal_iiT3_T4_lilT5_lili,comdat
	.globl	_ZL38rocblas_trsm_small_left_device_sharedBILi4ELi4ELb1EffPKfPfEv13rocblas_fill_18rocblas_operation_17rocblas_diagonal_iiT3_T4_lilT5_lili ; -- Begin function _ZL38rocblas_trsm_small_left_device_sharedBILi4ELi4ELb1EffPKfPfEv13rocblas_fill_18rocblas_operation_17rocblas_diagonal_iiT3_T4_lilT5_lili
	.p2align	8
	.type	_ZL38rocblas_trsm_small_left_device_sharedBILi4ELi4ELb1EffPKfPfEv13rocblas_fill_18rocblas_operation_17rocblas_diagonal_iiT3_T4_lilT5_lili,@function
_ZL38rocblas_trsm_small_left_device_sharedBILi4ELi4ELb1EffPKfPfEv13rocblas_fill_18rocblas_operation_17rocblas_diagonal_iiT3_T4_lilT5_lili: ; @_ZL38rocblas_trsm_small_left_device_sharedBILi4ELi4ELb1EffPKfPfEv13rocblas_fill_18rocblas_operation_17rocblas_diagonal_iiT3_T4_lilT5_lili
; %bb.0:
	s_load_b32 s18, s[0:1], 0x58
	s_bfe_u32 s2, ttmp6, 0x40014
	s_lshr_b32 s3, ttmp7, 16
	s_add_co_i32 s2, s2, 1
	s_bfe_u32 s5, ttmp6, 0x40008
	s_mul_i32 s4, s3, s2
	s_getreg_b32 s2, hwreg(HW_REG_IB_STS2, 6, 4)
	s_add_co_i32 s5, s5, s4
	s_cmp_eq_u32 s2, 0
	s_mov_b32 s13, 0
	s_cselect_b32 s12, s3, s5
	s_wait_kmcnt 0x0
	s_cmp_ge_u32 s12, s18
	s_cbranch_scc1 .LBB3_61
; %bb.1:
	s_clause 0x4
	s_load_b32 s14, s[0:1], 0x28
	s_load_b96 s[8:10], s[0:1], 0x40
	s_load_b128 s[4:7], s[0:1], 0x4
	s_load_b32 s3, s[0:1], 0x60
	s_load_b128 s[28:31], s[0:1], 0x30
	v_dual_mov_b32 v11, 0 :: v_dual_lshlrev_b32 v10, 2, v0
	s_clause 0x1
	s_load_b32 s19, s[0:1], 0x14
	s_load_b128 s[36:39], s[0:1], 0x18
	s_delay_alu instid0(VALU_DEP_1) | instskip(SKIP_3) | instid1(SALU_CYCLE_1)
	v_dual_lshlrev_b32 v6, 4, v0 :: v_dual_bitop2_b32 v16, 64, v10 bitop3:0x54
	v_dual_mov_b32 v2, v11 :: v_dual_mov_b32 v5, v11
	s_wait_kmcnt 0x0
	s_ashr_i32 s15, s14, 31
	s_cmp_eq_u64 s[14:15], 1
	s_cselect_b32 s11, -1, 0
	s_bfe_u32 s16, ttmp6, 0x4000c
	s_min_i32 s20, s6, 4
	s_add_co_i32 s16, s16, 1
	s_and_b32 s17, ttmp6, 15
	s_mul_i32 s16, ttmp9, s16
	s_ashr_i32 s33, s10, 31
	s_add_co_i32 s3, s3, -1
	s_add_co_i32 s21, s20, -1
	s_add_co_i32 s17, s17, s16
	s_cmp_eq_u32 s2, 0
	s_cselect_b32 s16, ttmp9, s17
	s_delay_alu instid0(SALU_CYCLE_1) | instskip(NEXT) | instid1(SALU_CYCLE_1)
	s_lshl_b32 s2, s16, 2
	s_sub_co_i32 s7, s7, s2
	s_cmp_ge_u32 s16, s3
	s_load_b64 s[16:17], s[0:1], 0x50
	s_cselect_b32 s7, s7, 4
	s_ashr_i32 s3, s2, 31
	s_cmp_lg_u32 s5, 0x84
	v_cmp_gt_i32_e32 vcc_lo, s7, v0
	s_cselect_b32 s22, -1, 0
	s_cmp_gt_i32 s6, 0
	s_wait_xcnt 0x0
	v_cmp_gt_i32_e64 s0, s20, v0
	s_cselect_b32 s5, -1, 0
	s_cmp_lg_u32 s4, 0x6f
	s_cselect_b32 s23, -1, 0
	s_and_b32 s24, vcc_lo, s5
	s_cmp_gt_u32 s20, 1
	s_cselect_b32 s4, -1, 0
	s_and_b32 s25, s20, -2
	s_and_b32 s26, s4, s11
	s_cmp_lg_u32 s20, s25
	s_cselect_b32 s27, -1, 0
	s_lshl_b64 s[2:3], s[2:3], 2
	s_lshl_b64 s[4:5], s[8:9], 2
	v_or_b32_e32 v3, s2, v10
	s_add_nc_u64 s[4:5], s[30:31], s[4:5]
	s_lshl_b64 s[6:7], s[14:15], 2
	s_get_pc_i64 s[8:9]
	s_add_nc_u64 s[8:9], s[8:9], __const._ZL38rocblas_trsm_small_left_device_sharedBILi4ELi4ELb1EffPKfPfEv13rocblas_fill_18rocblas_operation_17rocblas_diagonal_iiT3_T4_lilT5_lili.step_sizes@rel64+4
	v_mad_nc_u64_u32 v[12:13], v3, s10, s[4:5]
	s_lshl_b64 s[4:5], s[28:29], 2
	s_lshl_b32 s28, s20, 2
	s_delay_alu instid0(SALU_CYCLE_1) | instskip(NEXT) | instid1(VALU_DEP_1)
	s_add_co_i32 s28, s28, -4
	v_mad_u32 v4, s3, s10, v13
	s_lshl_b64 s[2:3], s[38:39], 2
	s_wait_kmcnt 0x0
	s_lshl_b64 s[10:11], s[16:17], 2
	s_add_nc_u64 s[2:3], s[36:37], s[2:3]
	s_delay_alu instid0(SALU_CYCLE_1) | instskip(NEXT) | instid1(VALU_DEP_2)
	v_add_nc_u64_e32 v[0:1], s[2:3], v[10:11]
	v_mad_u32 v13, v3, s33, v4
	v_dual_mov_b32 v3, v11 :: v_dual_mov_b32 v4, v11
	v_add_nc_u32_e32 v11, v10, v6
	s_branch .LBB3_3
.LBB3_2:                                ;   in Loop: Header=BB3_3 Depth=1
	s_or_b32 exec_lo, exec_lo, s1
	s_delay_alu instid0(VALU_DEP_1) | instskip(SKIP_2) | instid1(SALU_CYCLE_1)
	v_mov_b64_e32 v[2:3], v[6:7]
	v_mov_b64_e32 v[4:5], v[8:9]
	s_add_co_i32 s12, s12, 0x10000
	s_cmp_lt_u32 s12, s18
	s_cbranch_scc0 .LBB3_61
.LBB3_3:                                ; =>This Loop Header: Depth=1
                                        ;     Child Loop BB3_6 Depth 2
                                        ;     Child Loop BB3_10 Depth 2
	;; [unrolled: 1-line block ×4, first 2 shown]
                                        ;       Child Loop BB3_22 Depth 3
                                        ;       Child Loop BB3_24 Depth 3
                                        ;         Child Loop BB3_25 Depth 4
                                        ;       Child Loop BB3_30 Depth 3
                                        ;         Child Loop BB3_32 Depth 4
                                        ;     Child Loop BB3_34 Depth 2
                                        ;     Child Loop BB3_39 Depth 2
                                        ;       Child Loop BB3_42 Depth 3
                                        ;         Child Loop BB3_43 Depth 4
                                        ;         Child Loop BB3_46 Depth 4
                                        ;           Child Loop BB3_47 Depth 5
                                        ;         Child Loop BB3_52 Depth 4
                                        ;           Child Loop BB3_54 Depth 5
                                        ;     Child Loop BB3_60 Depth 2
	s_and_saveexec_b32 s1, s0
	s_cbranch_execz .LBB3_14
; %bb.4:                                ;   in Loop: Header=BB3_3 Depth=1
	s_and_not1_b32 vcc_lo, exec_lo, s26
	s_mul_u64 s[2:3], s[4:5], s[12:13]
	s_cbranch_vccnz .LBB3_8
; %bb.5:                                ;   in Loop: Header=BB3_3 Depth=1
	v_add_nc_u64_e32 v[6:7], s[2:3], v[0:1]
	s_mov_b32 s15, 1
	s_mov_b32 s16, 0
	;; [unrolled: 1-line block ×3, first 2 shown]
.LBB3_6:                                ;   Parent Loop BB3_3 Depth=1
                                        ; =>  This Inner Loop Header: Depth=2
	global_load_b64 v[8:9], v[6:7], off
	s_wait_xcnt 0x0
	v_add_nc_u64_e32 v[6:7], 8, v[6:7]
	v_lshl_or_b32 v14, s16, 4, v10
	v_lshl_or_b32 v15, s15, 4, v10
	s_add_co_i32 s17, s17, -2
	s_add_co_i32 s16, s16, 2
	s_add_co_i32 s15, s15, 2
	s_mov_b32 s14, s25
	s_mov_b32 s29, s27
	s_cmp_lg_u32 s17, 0
	s_wait_loadcnt 0x0
	ds_store_b32 v14, v8
	ds_store_b32 v15, v9
	s_cbranch_scc1 .LBB3_6
; %bb.7:                                ;   in Loop: Header=BB3_3 Depth=1
	s_and_b32 vcc_lo, exec_lo, s29
	s_cbranch_vccnz .LBB3_9
	s_branch .LBB3_11
.LBB3_8:                                ;   in Loop: Header=BB3_3 Depth=1
	s_mov_b32 s14, 0
	s_cbranch_execz .LBB3_11
.LBB3_9:                                ;   in Loop: Header=BB3_3 Depth=1
	s_mov_b32 s15, s13
	v_lshl_or_b32 v8, s14, 4, v10
	s_mul_u64 s[16:17], s[6:7], s[14:15]
	s_delay_alu instid0(SALU_CYCLE_1) | instskip(NEXT) | instid1(SALU_CYCLE_1)
	s_add_nc_u64 s[2:3], s[16:17], s[2:3]
	v_add_nc_u64_e32 v[6:7], s[2:3], v[0:1]
	s_sub_co_i32 s2, s20, s14
.LBB3_10:                               ;   Parent Loop BB3_3 Depth=1
                                        ; =>  This Inner Loop Header: Depth=2
	global_load_b32 v9, v[6:7], off
	s_wait_xcnt 0x0
	v_add_nc_u64_e32 v[6:7], s[6:7], v[6:7]
	s_add_co_i32 s2, s2, -1
	s_delay_alu instid0(SALU_CYCLE_1)
	s_cmp_eq_u32 s2, 0
	s_wait_loadcnt 0x0
	ds_store_b32 v8, v9
	v_add_nc_u32_e32 v8, 16, v8
	s_cbranch_scc0 .LBB3_10
.LBB3_11:                               ;   in Loop: Header=BB3_3 Depth=1
	v_mov_b32_e32 v6, 1.0
	s_and_b32 vcc_lo, exec_lo, s22
	s_cbranch_vccz .LBB3_13
; %bb.12:                               ;   in Loop: Header=BB3_3 Depth=1
	ds_load_b32 v6, v11
	s_wait_dscnt 0x0
	v_div_scale_f32 v7, null, v6, v6, 1.0
	s_delay_alu instid0(VALU_DEP_1) | instskip(SKIP_1) | instid1(TRANS32_DEP_1)
	v_rcp_f32_e32 v8, v7
	v_nop
	v_fma_f32 v9, -v7, v8, 1.0
	s_delay_alu instid0(VALU_DEP_1) | instskip(SKIP_1) | instid1(VALU_DEP_1)
	v_fmac_f32_e32 v8, v9, v8
	v_div_scale_f32 v9, vcc_lo, 1.0, v6, 1.0
	v_mul_f32_e32 v14, v9, v8
	s_delay_alu instid0(VALU_DEP_1) | instskip(NEXT) | instid1(VALU_DEP_1)
	v_fma_f32 v15, -v7, v14, v9
	v_fmac_f32_e32 v14, v15, v8
	s_delay_alu instid0(VALU_DEP_1) | instskip(NEXT) | instid1(VALU_DEP_1)
	v_fma_f32 v7, -v7, v14, v9
	v_div_fmas_f32 v7, v7, v8, v14
	s_delay_alu instid0(VALU_DEP_1)
	v_div_fixup_f32 v6, v7, v6, 1.0
.LBB3_13:                               ;   in Loop: Header=BB3_3 Depth=1
	ds_store_b32 v11, v6
.LBB3_14:                               ;   in Loop: Header=BB3_3 Depth=1
	s_or_b32 exec_lo, exec_lo, s1
	s_delay_alu instid0(VALU_DEP_3) | instskip(NEXT) | instid1(VALU_DEP_1)
	v_mad_nc_u64_u32 v[14:15], s10, s12, v[12:13]
	v_mad_u32 v15, s11, s12, v15
	s_and_saveexec_b32 s1, s24
	s_cbranch_execz .LBB3_17
; %bb.15:                               ;   in Loop: Header=BB3_3 Depth=1
	s_delay_alu instid0(VALU_DEP_1)
	v_mov_b64_e32 v[6:7], v[14:15]
	v_mov_b32_e32 v8, v16
	s_mov_b32 s2, s20
.LBB3_16:                               ;   Parent Loop BB3_3 Depth=1
                                        ; =>  This Inner Loop Header: Depth=2
	global_load_b32 v9, v[6:7], off
	s_wait_xcnt 0x0
	v_add_nc_u64_e32 v[6:7], 4, v[6:7]
	s_add_co_i32 s2, s2, -1
	s_delay_alu instid0(SALU_CYCLE_1)
	s_cmp_lg_u32 s2, 0
	s_wait_loadcnt 0x0
	v_mul_f32_e32 v9, s19, v9
	ds_store_b32 v8, v9
	v_add_nc_u32_e32 v8, 16, v8
	s_cbranch_scc1 .LBB3_16
.LBB3_17:                               ;   in Loop: Header=BB3_3 Depth=1
	s_or_b32 exec_lo, exec_lo, s1
	s_delay_alu instid0(SALU_CYCLE_1)
	s_and_not1_b32 vcc_lo, exec_lo, s23
	s_mov_b32 s1, -1
	s_wait_dscnt 0x0
	; wave barrier
                                        ; implicit-def: $vgpr6_vgpr7_vgpr8_vgpr9
	s_cbranch_vccnz .LBB3_37
; %bb.18:                               ;   in Loop: Header=BB3_3 Depth=1
	v_mov_b64_e32 v[8:9], v[4:5]
	v_mov_b64_e32 v[6:7], v[2:3]
	s_wait_xcnt 0x0
	s_mov_b32 s30, 0
	s_mov_b32 s29, s21
	s_load_b32 s31, s[8:9], s30 offset:0x0 scale_offset
	s_wait_kmcnt 0x0
	s_add_co_i32 s33, s31, -1
	s_delay_alu instid0(SALU_CYCLE_1)
	s_cmp_lt_i32 s29, s33
	s_cbranch_scc1 .LBB3_34
.LBB3_19:                               ;   in Loop: Header=BB3_3 Depth=1
	s_lshl_b32 s1, s29, 4
	s_lshl_b32 s2, s31, 4
	v_add_nc_u32_e32 v17, s1, v16
	s_max_i32 s34, s31, 1
	s_sub_co_i32 s35, 0, s2
	s_add_co_i32 s36, s28, s1
	s_mul_i32 s37, s29, 20
	s_mul_i32 s38, s31, 0xffffffec
	s_branch .LBB3_21
.LBB3_20:                               ;   in Loop: Header=BB3_21 Depth=2
	v_add_nc_u32_e32 v17, s35, v17
	s_sub_co_i32 s29, s29, s31
	s_add_co_i32 s36, s36, s35
	s_add_co_i32 s37, s37, s38
	s_cmp_lt_i32 s29, s33
	s_cbranch_scc1 .LBB3_34
.LBB3_21:                               ;   Parent Loop BB3_3 Depth=1
                                        ; =>  This Loop Header: Depth=2
                                        ;       Child Loop BB3_22 Depth 3
                                        ;       Child Loop BB3_24 Depth 3
                                        ;         Child Loop BB3_25 Depth 4
                                        ;       Child Loop BB3_30 Depth 3
                                        ;         Child Loop BB3_32 Depth 4
	v_mov_b32_e32 v18, v17
	s_mov_b64 s[14:15], 0
.LBB3_22:                               ;   Parent Loop BB3_3 Depth=1
                                        ;     Parent Loop BB3_21 Depth=2
                                        ; =>    This Inner Loop Header: Depth=3
	ds_load_b32 v19, v18
	s_cmp_eq_u32 s14, 3
	s_cselect_b32 vcc_lo, -1, 0
	s_cmp_eq_u32 s14, 2
	v_add_nc_u32_e32 v18, -16, v18
	s_cselect_b32 s1, -1, 0
	s_cmp_eq_u32 s14, 1
	s_cselect_b32 s2, -1, 0
	s_cmp_eq_u32 s14, 0
	s_add_nc_u64 s[14:15], s[14:15], 1
	s_cselect_b32 s3, -1, 0
	s_cmp_eq_u32 s34, s14
	s_wait_dscnt 0x0
	v_dual_cndmask_b32 v9, v9, v19, vcc_lo :: v_dual_cndmask_b32 v8, v8, v19, s1
	v_dual_cndmask_b32 v7, v7, v19, s2 :: v_dual_cndmask_b32 v6, v6, v19, s3
	s_cbranch_scc0 .LBB3_22
; %bb.23:                               ;   in Loop: Header=BB3_21 Depth=2
	s_cmp_le_i32 s21, s29
	s_mov_b32 s16, s36
	s_mov_b32 s17, s21
	s_cbranch_scc1 .LBB3_27
.LBB3_24:                               ;   Parent Loop BB3_3 Depth=1
                                        ;     Parent Loop BB3_21 Depth=2
                                        ; =>    This Loop Header: Depth=3
                                        ;         Child Loop BB3_25 Depth 4
	v_lshl_add_u32 v18, s17, 4, v16
	s_mov_b64 s[14:15], 0
	s_mov_b32 s39, s16
	ds_load_b32 v18, v18
.LBB3_25:                               ;   Parent Loop BB3_3 Depth=1
                                        ;     Parent Loop BB3_21 Depth=2
                                        ;       Parent Loop BB3_24 Depth=3
                                        ; =>      This Inner Loop Header: Depth=4
	s_cmp_eq_u32 s14, 1
	s_cselect_b32 vcc_lo, -1, 0
	s_delay_alu instid0(VALU_DEP_1)
	v_dual_mov_b32 v19, s39 :: v_dual_cndmask_b32 v20, v6, v7
	s_cmp_eq_u32 s14, 2
	s_cselect_b32 s1, -1, 0
	ds_load_b32 v19, v19
	s_cmp_eq_u32 s14, 3
	s_cselect_b32 s2, -1, 0
	v_cndmask_b32_e64 v20, v20, v8, s1
	s_cmp_eq_u32 s14, 0
	s_add_nc_u64 s[14:15], s[14:15], 1
	s_cselect_b32 s3, -1, 0
	s_add_co_i32 s39, s39, -16
	v_cndmask_b32_e64 v20, v20, v9, s2
	s_cmp_eq_u32 s34, s14
	s_wait_dscnt 0x0
	s_delay_alu instid0(VALU_DEP_1) | instskip(NEXT) | instid1(VALU_DEP_1)
	v_fma_f32 v19, -v18, v19, v20
	v_dual_cndmask_b32 v9, v9, v19, s2 :: v_dual_cndmask_b32 v8, v8, v19, s1
	v_dual_cndmask_b32 v6, v6, v19, s3 :: v_dual_cndmask_b32 v7, v7, v19, vcc_lo
	s_cbranch_scc0 .LBB3_25
; %bb.26:                               ;   in Loop: Header=BB3_24 Depth=3
	s_add_co_i32 s17, s17, -1
	s_add_co_i32 s16, s16, -4
	s_cmp_le_i32 s17, s29
	s_cbranch_scc0 .LBB3_24
.LBB3_27:                               ;   in Loop: Header=BB3_21 Depth=2
	s_lshl_b32 s39, s29, 4
	s_mov_b64 s[14:15], 0
	s_mov_b32 s40, s37
	s_branch .LBB3_30
.LBB3_28:                               ;   in Loop: Header=BB3_30 Depth=3
	s_mov_b32 s42, s29
	s_mov_b64 s[16:17], 0
	s_mov_b32 s41, s39
.LBB3_29:                               ;   in Loop: Header=BB3_30 Depth=3
	s_mul_i32 s1, s42, 20
	s_cmp_eq_u32 s16, 1
	s_add_nc_u64 s[14:15], s[14:15], 1
	s_cselect_b32 vcc_lo, -1, 0
	v_dual_mov_b32 v18, s1 :: v_dual_cndmask_b32 v19, v6, v7
	s_cmp_eq_u32 s16, 2
	s_cselect_b32 s1, -1, 0
	ds_load_b32 v18, v18
	s_cmp_eq_u32 s16, 3
	s_cselect_b32 s2, -1, 0
	v_cndmask_b32_e64 v19, v19, v8, s1
	s_cmp_eq_u32 s16, 0
	s_delay_alu instid0(VALU_DEP_1) | instskip(SKIP_1) | instid1(VALU_DEP_1)
	v_cndmask_b32_e64 v19, v19, v9, s2
	s_wait_dscnt 0x0
	v_dual_mul_f32 v18, v19, v18 :: v_dual_add_nc_u32 v19, s41, v16
	s_delay_alu instid0(VALU_DEP_1)
	v_cndmask_b32_e32 v7, v7, v18, vcc_lo
	s_cselect_b32 vcc_lo, -1, 0
	v_dual_cndmask_b32 v9, v9, v18, s2 :: v_dual_cndmask_b32 v8, v8, v18, s1
	v_cndmask_b32_e32 v6, v6, v18, vcc_lo
	s_add_co_i32 s40, s40, -16
	s_cmp_eq_u32 s14, s34
	ds_store_b32 v19, v18
	s_cbranch_scc1 .LBB3_20
.LBB3_30:                               ;   Parent Loop BB3_3 Depth=1
                                        ;     Parent Loop BB3_21 Depth=2
                                        ; =>    This Loop Header: Depth=3
                                        ;         Child Loop BB3_32 Depth 4
	s_cmp_eq_u32 s14, 0
	s_cbranch_scc1 .LBB3_28
; %bb.31:                               ;   in Loop: Header=BB3_30 Depth=3
	s_sub_co_i32 s42, s29, s14
	s_mov_b64 s[16:17], 0
	s_lshl_b32 s41, s42, 4
	s_mov_b32 s43, s40
.LBB3_32:                               ;   Parent Loop BB3_3 Depth=1
                                        ;     Parent Loop BB3_21 Depth=2
                                        ;       Parent Loop BB3_30 Depth=3
                                        ; =>      This Inner Loop Header: Depth=4
	s_cmp_eq_u32 s16, 1
	s_cselect_b32 vcc_lo, -1, 0
	s_delay_alu instid0(VALU_DEP_1)
	v_dual_mov_b32 v18, s43 :: v_dual_cndmask_b32 v19, v6, v7
	s_cmp_eq_u32 s16, 2
	s_cselect_b32 vcc_lo, -1, 0
	s_cmp_eq_u32 s16, 3
	ds_load_b32 v18, v18
	v_cndmask_b32_e32 v19, v19, v8, vcc_lo
	s_cselect_b32 vcc_lo, -1, 0
	s_cmp_eq_u32 s14, 1
	s_add_nc_u64 s[16:17], s[16:17], 1
	s_cselect_b32 s1, -1, 0
	s_cmp_eq_u32 s14, 2
	v_cndmask_b32_e64 v20, v6, v7, s1
	s_cselect_b32 s2, -1, 0
	v_cndmask_b32_e32 v19, v19, v9, vcc_lo
	s_cmp_eq_u32 s14, 3
	s_delay_alu instid0(VALU_DEP_2) | instskip(SKIP_3) | instid1(VALU_DEP_1)
	v_cndmask_b32_e64 v20, v20, v8, s2
	s_cselect_b32 vcc_lo, -1, 0
	s_cmp_eq_u32 s14, 0
	s_cselect_b32 s3, -1, 0
	v_cndmask_b32_e32 v20, v20, v9, vcc_lo
	s_add_co_i32 s43, s43, -4
	s_cmp_eq_u32 s14, s16
	s_wait_dscnt 0x0
	s_delay_alu instid0(VALU_DEP_1) | instskip(NEXT) | instid1(VALU_DEP_1)
	v_fma_f32 v18, -v19, v18, v20
	v_dual_cndmask_b32 v9, v9, v18, vcc_lo :: v_dual_cndmask_b32 v8, v8, v18, s2
	v_dual_cndmask_b32 v7, v7, v18, s1 :: v_dual_cndmask_b32 v6, v6, v18, s3
	s_cbranch_scc0 .LBB3_32
; %bb.33:                               ;   in Loop: Header=BB3_30 Depth=3
	s_mov_b64 s[16:17], s[14:15]
	s_branch .LBB3_29
.LBB3_34:                               ;   Parent Loop BB3_3 Depth=1
                                        ; =>  This Inner Loop Header: Depth=2
	s_cmp_gt_i32 s29, -1
	s_cselect_b32 s2, -1, 0
	s_add_co_i32 s1, s30, 1
	s_cmp_lt_u32 s30, 2
	s_cselect_b32 s3, -1, 0
	s_delay_alu instid0(SALU_CYCLE_1) | instskip(NEXT) | instid1(SALU_CYCLE_1)
	s_and_b32 s2, s2, s3
	s_and_b32 vcc_lo, exec_lo, s2
	s_cbranch_vccz .LBB3_36
; %bb.35:                               ;   in Loop: Header=BB3_34 Depth=2
	s_wait_xcnt 0x0
	s_mov_b32 s30, s1
	s_load_b32 s31, s[8:9], s30 offset:0x0 scale_offset
	s_wait_kmcnt 0x0
	s_add_co_i32 s33, s31, -1
	s_delay_alu instid0(SALU_CYCLE_1)
	s_cmp_lt_i32 s29, s33
	s_cbranch_scc0 .LBB3_19
	s_branch .LBB3_34
.LBB3_36:                               ;   in Loop: Header=BB3_3 Depth=1
	s_mov_b32 s1, 0
.LBB3_37:                               ;   in Loop: Header=BB3_3 Depth=1
	s_delay_alu instid0(SALU_CYCLE_1)
	s_and_b32 vcc_lo, exec_lo, s1
	s_cbranch_vccz .LBB3_58
; %bb.38:                               ;   in Loop: Header=BB3_3 Depth=1
	s_mov_b32 s29, 0
	s_wait_xcnt 0x0
	s_mov_b32 s30, 0
.LBB3_39:                               ;   Parent Loop BB3_3 Depth=1
                                        ; =>  This Loop Header: Depth=2
                                        ;       Child Loop BB3_42 Depth 3
                                        ;         Child Loop BB3_43 Depth 4
                                        ;         Child Loop BB3_46 Depth 4
                                        ;           Child Loop BB3_47 Depth 5
                                        ;         Child Loop BB3_52 Depth 4
                                        ;           Child Loop BB3_54 Depth 5
	s_load_b32 s31, s[8:9], s30 offset:0x0 scale_offset
	s_wait_kmcnt 0x0
	s_add_co_i32 s33, s31, -1
	s_delay_alu instid0(SALU_CYCLE_1) | instskip(NEXT) | instid1(SALU_CYCLE_1)
	s_add_co_i32 s1, s33, s29
	s_cmp_ge_i32 s1, s20
	s_cbranch_scc1 .LBB3_55
; %bb.40:                               ;   in Loop: Header=BB3_39 Depth=2
	v_lshl_add_u32 v6, s29, 4, v16
	s_max_i32 s34, s31, 1
	s_lshl_b32 s35, s31, 4
	s_lshl_b32 s36, s29, 2
	;; [unrolled: 1-line block ×3, first 2 shown]
	s_mul_i32 s38, s29, 20
	s_mul_i32 s39, s31, 20
	s_branch .LBB3_42
.LBB3_41:                               ;   in Loop: Header=BB3_42 Depth=3
	s_add_co_i32 s29, s29, s31
	v_add_nc_u32_e32 v6, s35, v6
	s_add_co_i32 s1, s33, s29
	s_add_co_i32 s36, s36, s37
	;; [unrolled: 1-line block ×3, first 2 shown]
	s_cmp_ge_i32 s1, s20
	s_cbranch_scc1 .LBB3_55
.LBB3_42:                               ;   Parent Loop BB3_3 Depth=1
                                        ;     Parent Loop BB3_39 Depth=2
                                        ; =>    This Loop Header: Depth=3
                                        ;         Child Loop BB3_43 Depth 4
                                        ;         Child Loop BB3_46 Depth 4
                                        ;           Child Loop BB3_47 Depth 5
                                        ;         Child Loop BB3_52 Depth 4
                                        ;           Child Loop BB3_54 Depth 5
	v_mov_b32_e32 v7, v6
	s_mov_b64 s[14:15], 0
.LBB3_43:                               ;   Parent Loop BB3_3 Depth=1
                                        ;     Parent Loop BB3_39 Depth=2
                                        ;       Parent Loop BB3_42 Depth=3
                                        ; =>      This Inner Loop Header: Depth=4
	ds_load_b32 v8, v7
	s_cmp_eq_u32 s14, 3
	s_cselect_b32 vcc_lo, -1, 0
	s_cmp_eq_u32 s14, 2
	v_add_nc_u32_e32 v7, 16, v7
	s_cselect_b32 s1, -1, 0
	s_cmp_eq_u32 s14, 1
	s_cselect_b32 s2, -1, 0
	s_cmp_eq_u32 s14, 0
	s_add_nc_u64 s[14:15], s[14:15], 1
	s_cselect_b32 s3, -1, 0
	s_cmp_eq_u32 s34, s14
	s_wait_dscnt 0x0
	v_dual_cndmask_b32 v5, v5, v8, vcc_lo :: v_dual_cndmask_b32 v4, v4, v8, s1
	v_dual_cndmask_b32 v3, v3, v8, s2 :: v_dual_cndmask_b32 v2, v2, v8, s3
	s_cbranch_scc0 .LBB3_43
; %bb.44:                               ;   in Loop: Header=BB3_42 Depth=3
	s_cmp_lt_i32 s29, 1
	s_cbranch_scc1 .LBB3_49
; %bb.45:                               ;   in Loop: Header=BB3_42 Depth=3
	s_mov_b32 s16, 0
	s_mov_b32 s17, s36
.LBB3_46:                               ;   Parent Loop BB3_3 Depth=1
                                        ;     Parent Loop BB3_39 Depth=2
                                        ;       Parent Loop BB3_42 Depth=3
                                        ; =>      This Loop Header: Depth=4
                                        ;           Child Loop BB3_47 Depth 5
	v_lshl_add_u32 v7, s16, 4, v16
	s_mov_b64 s[14:15], 0
	s_mov_b32 s40, s17
	ds_load_b32 v7, v7
.LBB3_47:                               ;   Parent Loop BB3_3 Depth=1
                                        ;     Parent Loop BB3_39 Depth=2
                                        ;       Parent Loop BB3_42 Depth=3
                                        ;         Parent Loop BB3_46 Depth=4
                                        ; =>        This Inner Loop Header: Depth=5
	s_cmp_eq_u32 s14, 1
	s_cselect_b32 vcc_lo, -1, 0
	s_delay_alu instid0(VALU_DEP_1)
	v_dual_mov_b32 v8, s40 :: v_dual_cndmask_b32 v9, v2, v3
	s_cmp_eq_u32 s14, 2
	s_cselect_b32 s1, -1, 0
	ds_load_b32 v8, v8
	v_cndmask_b32_e64 v9, v9, v4, s1
	s_cmp_eq_u32 s14, 3
	s_cselect_b32 s2, -1, 0
	s_cmp_eq_u32 s14, 0
	s_delay_alu instid0(VALU_DEP_1)
	v_cndmask_b32_e64 v9, v9, v5, s2
	s_cselect_b32 s3, -1, 0
	s_add_nc_u64 s[14:15], s[14:15], 1
	s_add_co_i32 s40, s40, 4
	s_cmp_eq_u32 s34, s14
	s_wait_dscnt 0x0
	v_fma_f32 v8, -v7, v8, v9
	s_delay_alu instid0(VALU_DEP_1)
	v_dual_cndmask_b32 v5, v5, v8, s2 :: v_dual_cndmask_b32 v3, v3, v8, vcc_lo
	v_dual_cndmask_b32 v4, v4, v8, s1 :: v_dual_cndmask_b32 v2, v2, v8, s3
	s_cbranch_scc0 .LBB3_47
; %bb.48:                               ;   in Loop: Header=BB3_46 Depth=4
	s_add_co_i32 s16, s16, 1
	s_add_co_i32 s17, s17, 16
	s_cmp_eq_u32 s16, s29
	s_cbranch_scc0 .LBB3_46
.LBB3_49:                               ;   in Loop: Header=BB3_42 Depth=3
	s_mov_b64 s[14:15], 0
	s_mov_b32 s40, s38
	s_branch .LBB3_52
.LBB3_50:                               ;   in Loop: Header=BB3_52 Depth=4
	s_mov_b64 s[16:17], s[14:15]
.LBB3_51:                               ;   in Loop: Header=BB3_52 Depth=4
	s_add_co_i32 s3, s14, s29
	s_cmp_eq_u32 s16, 1
	s_mul_i32 s1, s3, 20
	s_cselect_b32 vcc_lo, -1, 0
	v_dual_mov_b32 v7, s1 :: v_dual_cndmask_b32 v8, v2, v3
	s_cmp_eq_u32 s16, 2
	s_add_nc_u64 s[14:15], s[14:15], 1
	s_cselect_b32 s1, -1, 0
	ds_load_b32 v7, v7
	s_cmp_eq_u32 s16, 3
	s_cselect_b32 s2, -1, 0
	v_cndmask_b32_e64 v8, v8, v4, s1
	s_cmp_eq_u32 s16, 0
	s_delay_alu instid0(VALU_DEP_1) | instskip(SKIP_1) | instid1(VALU_DEP_1)
	v_cndmask_b32_e64 v8, v8, v5, s2
	s_wait_dscnt 0x0
	v_mul_f32_e32 v7, v8, v7
	v_lshl_add_u32 v8, s3, 4, v16
	s_delay_alu instid0(VALU_DEP_2)
	v_cndmask_b32_e32 v3, v3, v7, vcc_lo
	s_cselect_b32 vcc_lo, -1, 0
	v_dual_cndmask_b32 v5, v5, v7, s2 :: v_dual_cndmask_b32 v4, v4, v7, s1
	v_cndmask_b32_e32 v2, v2, v7, vcc_lo
	s_add_co_i32 s40, s40, 4
	s_cmp_eq_u32 s14, s34
	ds_store_b32 v8, v7
	s_cbranch_scc1 .LBB3_41
.LBB3_52:                               ;   Parent Loop BB3_3 Depth=1
                                        ;     Parent Loop BB3_39 Depth=2
                                        ;       Parent Loop BB3_42 Depth=3
                                        ; =>      This Loop Header: Depth=4
                                        ;           Child Loop BB3_54 Depth 5
	s_mov_b64 s[16:17], 0
	s_cmp_eq_u32 s14, 0
	s_cbranch_scc1 .LBB3_51
; %bb.53:                               ;   in Loop: Header=BB3_52 Depth=4
	s_mov_b32 s41, s40
.LBB3_54:                               ;   Parent Loop BB3_3 Depth=1
                                        ;     Parent Loop BB3_39 Depth=2
                                        ;       Parent Loop BB3_42 Depth=3
                                        ;         Parent Loop BB3_52 Depth=4
                                        ; =>        This Inner Loop Header: Depth=5
	s_cmp_eq_u32 s16, 1
	s_cselect_b32 vcc_lo, -1, 0
	v_dual_mov_b32 v7, s41 :: v_dual_cndmask_b32 v8, v2, v3
	s_cmp_eq_u32 s16, 2
	s_cselect_b32 vcc_lo, -1, 0
	s_cmp_eq_u32 s16, 3
	ds_load_b32 v7, v7
	v_cndmask_b32_e32 v8, v8, v4, vcc_lo
	s_cselect_b32 vcc_lo, -1, 0
	s_cmp_eq_u32 s14, 1
	s_add_nc_u64 s[16:17], s[16:17], 1
	s_cselect_b32 s1, -1, 0
	s_cmp_eq_u32 s14, 2
	v_cndmask_b32_e64 v9, v2, v3, s1
	s_cselect_b32 s2, -1, 0
	v_cndmask_b32_e32 v8, v8, v5, vcc_lo
	s_cmp_eq_u32 s14, 3
	s_delay_alu instid0(VALU_DEP_2) | instskip(SKIP_3) | instid1(VALU_DEP_1)
	v_cndmask_b32_e64 v9, v9, v4, s2
	s_cselect_b32 vcc_lo, -1, 0
	s_cmp_eq_u32 s14, 0
	s_cselect_b32 s3, -1, 0
	v_cndmask_b32_e32 v9, v9, v5, vcc_lo
	s_add_co_i32 s41, s41, 16
	s_cmp_eq_u32 s14, s16
	s_wait_dscnt 0x0
	s_delay_alu instid0(VALU_DEP_1) | instskip(NEXT) | instid1(VALU_DEP_1)
	v_fma_f32 v7, -v8, v7, v9
	v_dual_cndmask_b32 v5, v5, v7, vcc_lo :: v_dual_cndmask_b32 v3, v3, v7, s1
	v_dual_cndmask_b32 v4, v4, v7, s2 :: v_dual_cndmask_b32 v2, v2, v7, s3
	s_cbranch_scc0 .LBB3_54
	s_branch .LBB3_50
.LBB3_55:                               ;   in Loop: Header=BB3_39 Depth=2
	s_cmp_lt_i32 s29, s20
	s_cselect_b32 s2, -1, 0
	s_add_co_i32 s1, s30, 1
	s_cmp_lt_u32 s30, 2
	s_cselect_b32 s3, -1, 0
	s_delay_alu instid0(SALU_CYCLE_1) | instskip(NEXT) | instid1(SALU_CYCLE_1)
	s_and_b32 s2, s2, s3
	s_and_not1_b32 vcc_lo, exec_lo, s2
	s_cbranch_vccnz .LBB3_57
; %bb.56:                               ;   in Loop: Header=BB3_39 Depth=2
	s_wait_xcnt 0x0
	s_mov_b32 s30, s1
	s_branch .LBB3_39
.LBB3_57:                               ;   in Loop: Header=BB3_3 Depth=1
	v_mov_b64_e32 v[8:9], v[4:5]
	v_mov_b64_e32 v[6:7], v[2:3]
.LBB3_58:                               ;   in Loop: Header=BB3_3 Depth=1
	s_wait_dscnt 0x0
	; wave barrier
	s_and_saveexec_b32 s1, s24
	s_cbranch_execz .LBB3_2
; %bb.59:                               ;   in Loop: Header=BB3_3 Depth=1
	v_mov_b32_e32 v2, v16
	s_mov_b32 s2, s20
.LBB3_60:                               ;   Parent Loop BB3_3 Depth=1
                                        ; =>  This Inner Loop Header: Depth=2
	ds_load_b32 v3, v2
	v_add_nc_u32_e32 v2, 16, v2
	s_add_co_i32 s2, s2, -1
	s_delay_alu instid0(SALU_CYCLE_1)
	s_cmp_lg_u32 s2, 0
	s_wait_dscnt 0x0
	global_store_b32 v[14:15], v3, off
	s_wait_xcnt 0x0
	v_add_nc_u64_e32 v[14:15], 4, v[14:15]
	s_cbranch_scc1 .LBB3_60
	s_branch .LBB3_2
.LBB3_61:
	s_endpgm
	.section	.rodata,"a",@progbits
	.p2align	6, 0x0
	.amdhsa_kernel _ZL38rocblas_trsm_small_left_device_sharedBILi4ELi4ELb1EffPKfPfEv13rocblas_fill_18rocblas_operation_17rocblas_diagonal_iiT3_T4_lilT5_lili
		.amdhsa_group_segment_fixed_size 128
		.amdhsa_private_segment_fixed_size 0
		.amdhsa_kernarg_size 352
		.amdhsa_user_sgpr_count 2
		.amdhsa_user_sgpr_dispatch_ptr 0
		.amdhsa_user_sgpr_queue_ptr 0
		.amdhsa_user_sgpr_kernarg_segment_ptr 1
		.amdhsa_user_sgpr_dispatch_id 0
		.amdhsa_user_sgpr_kernarg_preload_length 0
		.amdhsa_user_sgpr_kernarg_preload_offset 0
		.amdhsa_user_sgpr_private_segment_size 0
		.amdhsa_wavefront_size32 1
		.amdhsa_uses_dynamic_stack 0
		.amdhsa_enable_private_segment 0
		.amdhsa_system_sgpr_workgroup_id_x 1
		.amdhsa_system_sgpr_workgroup_id_y 0
		.amdhsa_system_sgpr_workgroup_id_z 1
		.amdhsa_system_sgpr_workgroup_info 0
		.amdhsa_system_vgpr_workitem_id 0
		.amdhsa_next_free_vgpr 21
		.amdhsa_next_free_sgpr 44
		.amdhsa_named_barrier_count 0
		.amdhsa_reserve_vcc 1
		.amdhsa_float_round_mode_32 0
		.amdhsa_float_round_mode_16_64 0
		.amdhsa_float_denorm_mode_32 3
		.amdhsa_float_denorm_mode_16_64 3
		.amdhsa_fp16_overflow 0
		.amdhsa_memory_ordered 1
		.amdhsa_forward_progress 1
		.amdhsa_inst_pref_size 21
		.amdhsa_round_robin_scheduling 0
		.amdhsa_exception_fp_ieee_invalid_op 0
		.amdhsa_exception_fp_denorm_src 0
		.amdhsa_exception_fp_ieee_div_zero 0
		.amdhsa_exception_fp_ieee_overflow 0
		.amdhsa_exception_fp_ieee_underflow 0
		.amdhsa_exception_fp_ieee_inexact 0
		.amdhsa_exception_int_div_zero 0
	.end_amdhsa_kernel
	.section	.text._ZL38rocblas_trsm_small_left_device_sharedBILi4ELi4ELb1EffPKfPfEv13rocblas_fill_18rocblas_operation_17rocblas_diagonal_iiT3_T4_lilT5_lili,"axG",@progbits,_ZL38rocblas_trsm_small_left_device_sharedBILi4ELi4ELb1EffPKfPfEv13rocblas_fill_18rocblas_operation_17rocblas_diagonal_iiT3_T4_lilT5_lili,comdat
.Lfunc_end3:
	.size	_ZL38rocblas_trsm_small_left_device_sharedBILi4ELi4ELb1EffPKfPfEv13rocblas_fill_18rocblas_operation_17rocblas_diagonal_iiT3_T4_lilT5_lili, .Lfunc_end3-_ZL38rocblas_trsm_small_left_device_sharedBILi4ELi4ELb1EffPKfPfEv13rocblas_fill_18rocblas_operation_17rocblas_diagonal_iiT3_T4_lilT5_lili
                                        ; -- End function
	.set _ZL38rocblas_trsm_small_left_device_sharedBILi4ELi4ELb1EffPKfPfEv13rocblas_fill_18rocblas_operation_17rocblas_diagonal_iiT3_T4_lilT5_lili.num_vgpr, 21
	.set _ZL38rocblas_trsm_small_left_device_sharedBILi4ELi4ELb1EffPKfPfEv13rocblas_fill_18rocblas_operation_17rocblas_diagonal_iiT3_T4_lilT5_lili.num_agpr, 0
	.set _ZL38rocblas_trsm_small_left_device_sharedBILi4ELi4ELb1EffPKfPfEv13rocblas_fill_18rocblas_operation_17rocblas_diagonal_iiT3_T4_lilT5_lili.numbered_sgpr, 44
	.set _ZL38rocblas_trsm_small_left_device_sharedBILi4ELi4ELb1EffPKfPfEv13rocblas_fill_18rocblas_operation_17rocblas_diagonal_iiT3_T4_lilT5_lili.num_named_barrier, 0
	.set _ZL38rocblas_trsm_small_left_device_sharedBILi4ELi4ELb1EffPKfPfEv13rocblas_fill_18rocblas_operation_17rocblas_diagonal_iiT3_T4_lilT5_lili.private_seg_size, 0
	.set _ZL38rocblas_trsm_small_left_device_sharedBILi4ELi4ELb1EffPKfPfEv13rocblas_fill_18rocblas_operation_17rocblas_diagonal_iiT3_T4_lilT5_lili.uses_vcc, 1
	.set _ZL38rocblas_trsm_small_left_device_sharedBILi4ELi4ELb1EffPKfPfEv13rocblas_fill_18rocblas_operation_17rocblas_diagonal_iiT3_T4_lilT5_lili.uses_flat_scratch, 0
	.set _ZL38rocblas_trsm_small_left_device_sharedBILi4ELi4ELb1EffPKfPfEv13rocblas_fill_18rocblas_operation_17rocblas_diagonal_iiT3_T4_lilT5_lili.has_dyn_sized_stack, 0
	.set _ZL38rocblas_trsm_small_left_device_sharedBILi4ELi4ELb1EffPKfPfEv13rocblas_fill_18rocblas_operation_17rocblas_diagonal_iiT3_T4_lilT5_lili.has_recursion, 0
	.set _ZL38rocblas_trsm_small_left_device_sharedBILi4ELi4ELb1EffPKfPfEv13rocblas_fill_18rocblas_operation_17rocblas_diagonal_iiT3_T4_lilT5_lili.has_indirect_call, 0
	.section	.AMDGPU.csdata,"",@progbits
; Kernel info:
; codeLenInByte = 2652
; TotalNumSgprs: 46
; NumVgprs: 21
; ScratchSize: 0
; MemoryBound: 0
; FloatMode: 240
; IeeeMode: 1
; LDSByteSize: 128 bytes/workgroup (compile time only)
; SGPRBlocks: 0
; VGPRBlocks: 1
; NumSGPRsForWavesPerEU: 46
; NumVGPRsForWavesPerEU: 21
; NamedBarCnt: 0
; Occupancy: 16
; WaveLimiterHint : 0
; COMPUTE_PGM_RSRC2:SCRATCH_EN: 0
; COMPUTE_PGM_RSRC2:USER_SGPR: 2
; COMPUTE_PGM_RSRC2:TRAP_HANDLER: 0
; COMPUTE_PGM_RSRC2:TGID_X_EN: 1
; COMPUTE_PGM_RSRC2:TGID_Y_EN: 0
; COMPUTE_PGM_RSRC2:TGID_Z_EN: 1
; COMPUTE_PGM_RSRC2:TIDIG_COMP_CNT: 0
	.section	.text._ZL30rocblas_trsm_small_left_deviceILi4ELi4ELb1EffPKfPfEv13rocblas_fill_18rocblas_operation_17rocblas_diagonal_iiT3_T4_lilT5_lili,"axG",@progbits,_ZL30rocblas_trsm_small_left_deviceILi4ELi4ELb1EffPKfPfEv13rocblas_fill_18rocblas_operation_17rocblas_diagonal_iiT3_T4_lilT5_lili,comdat
	.globl	_ZL30rocblas_trsm_small_left_deviceILi4ELi4ELb1EffPKfPfEv13rocblas_fill_18rocblas_operation_17rocblas_diagonal_iiT3_T4_lilT5_lili ; -- Begin function _ZL30rocblas_trsm_small_left_deviceILi4ELi4ELb1EffPKfPfEv13rocblas_fill_18rocblas_operation_17rocblas_diagonal_iiT3_T4_lilT5_lili
	.p2align	8
	.type	_ZL30rocblas_trsm_small_left_deviceILi4ELi4ELb1EffPKfPfEv13rocblas_fill_18rocblas_operation_17rocblas_diagonal_iiT3_T4_lilT5_lili,@function
_ZL30rocblas_trsm_small_left_deviceILi4ELi4ELb1EffPKfPfEv13rocblas_fill_18rocblas_operation_17rocblas_diagonal_iiT3_T4_lilT5_lili: ; @_ZL30rocblas_trsm_small_left_deviceILi4ELi4ELb1EffPKfPfEv13rocblas_fill_18rocblas_operation_17rocblas_diagonal_iiT3_T4_lilT5_lili
; %bb.0:
	s_load_b32 s30, s[0:1], 0x58
	s_bfe_u32 s2, ttmp6, 0x40014
	s_lshr_b32 s3, ttmp7, 16
	s_add_co_i32 s2, s2, 1
	s_bfe_u32 s4, ttmp6, 0x40008
	s_mul_i32 s2, s3, s2
	s_getreg_b32 s8, hwreg(HW_REG_IB_STS2, 6, 4)
	s_add_co_i32 s4, s4, s2
	s_cmp_eq_u32 s8, 0
	s_mov_b32 s19, 0
	s_cselect_b32 s20, s3, s4
	s_wait_kmcnt 0x0
	s_cmp_ge_u32 s20, s30
	s_cbranch_scc1 .LBB4_58
; %bb.1:
	s_clause 0x5
	s_load_b32 s2, s[0:1], 0x28
	s_load_b96 s[16:18], s[0:1], 0x40
	s_load_b128 s[4:7], s[0:1], 0x4
	s_load_b32 s9, s[0:1], 0x60
	s_load_b32 s31, s[0:1], 0x14
	s_load_b128 s[12:15], s[0:1], 0x18
	s_mov_b32 s41, 0
	v_dual_mov_b32 v11, 0 :: v_dual_lshlrev_b32 v1, 4, v0
	s_delay_alu instid0(VALU_DEP_1)
	v_dual_lshlrev_b32 v10, 2, v0 :: v_dual_mov_b32 v4, v11
	s_wait_kmcnt 0x0
	s_ashr_i32 s3, s2, 31
	s_mov_b32 s22, s18
	s_cmp_eq_u64 s[2:3], 1
	s_cselect_b32 s21, -1, 0
	s_min_i32 s33, s6, 4
	s_bfe_u32 s6, ttmp6, 0x4000c
	s_add_co_i32 s26, s9, -1
	s_add_co_i32 s6, s6, 1
	s_and_b32 s9, ttmp6, 15
	s_mul_i32 s6, ttmp9, s6
	s_ashr_i32 s23, s18, 31
	s_lshl_b64 s[24:25], s[16:17], 2
	s_add_co_i32 s34, s33, -1
	s_add_co_i32 s9, s9, s6
	s_cmp_eq_u32 s8, 0
	s_load_b64 s[16:17], s[0:1], 0x50
	s_cselect_b32 s6, ttmp9, s9
	s_load_b128 s[8:11], s[0:1], 0x30
	s_lshl_b32 s27, s6, 2
	s_delay_alu instid0(SALU_CYCLE_1)
	v_or_b32_e32 v2, s27, v0
	s_wait_xcnt 0x0
	s_sub_co_i32 s0, s7, s27
	s_cmp_ge_u32 s6, s26
	s_cselect_b32 s1, s0, 4
	v_ashrrev_i32_e32 v3, 31, v2
	s_cmp_lg_u32 s5, 0x84
	v_cmp_gt_i32_e64 s0, s33, v0
	s_cselect_b32 s35, -1, 0
	s_cmp_lg_u32 s4, 0x6f
	v_mul_u64_e32 v[6:7], s[22:23], v[2:3]
	s_cselect_b32 s36, -1, 0
	s_cmp_gt_u32 s33, 1
	v_mov_b32_e32 v2, v11
	s_cselect_b32 s4, -1, 0
	s_and_b32 s37, s33, -2
	s_and_b32 s38, s4, s21
	s_cmp_lg_u32 s33, s37
	v_dual_mov_b32 v5, v11 :: v_dual_add_nc_u32 v20, v10, v1
	s_cselect_b32 s39, -1, 0
	s_lshl_b64 s[4:5], s[14:15], 2
	s_wait_kmcnt 0x0
	s_lshl_b64 s[6:7], s[8:9], 2
	s_lshl_b64 s[8:9], s[2:3], 2
	s_add_nc_u64 s[2:3], s[12:13], s[4:5]
	s_add_nc_u64 s[10:11], s[10:11], s[24:25]
	v_cmp_gt_i32_e64 s1, s1, v0
	v_add_nc_u64_e32 v[0:1], s[2:3], v[10:11]
	v_mov_b32_e32 v3, v11
	s_lshl_b32 s40, s33, 2
	s_lshl_b64 s[12:13], s[16:17], 2
	s_add_co_i32 s40, s40, -4
	v_lshl_add_u64 v[12:13], v[6:7], 2, s[10:11]
	s_get_pc_i64 s[10:11]
	s_add_nc_u64 s[10:11], s[10:11], __const._ZL30rocblas_trsm_small_left_deviceILi4ELi4ELb1EffPKfPfEv13rocblas_fill_18rocblas_operation_17rocblas_diagonal_iiT3_T4_lilT5_lili.step_sizes@rel64+4
	s_branch .LBB4_5
.LBB4_2:                                ;   in Loop: Header=BB4_5 Depth=1
	v_mov_b64_e32 v[8:9], v[4:5]
	v_mov_b64_e32 v[6:7], v[2:3]
.LBB4_3:                                ;   in Loop: Header=BB4_5 Depth=1
	s_add_co_i32 s20, s20, 0x10000
	s_delay_alu instid0(SALU_CYCLE_1) | instskip(SKIP_1) | instid1(SALU_CYCLE_1)
	s_cmp_ge_u32 s20, s30
	s_cselect_b32 s2, -1, 0
	s_or_not1_b32 s2, s2, exec_lo
.LBB4_4:                                ;   in Loop: Header=BB4_5 Depth=1
	s_wait_xcnt 0x0
	s_or_b32 exec_lo, exec_lo, s42
	v_mov_b64_e32 v[2:3], v[6:7]
	v_mov_b64_e32 v[4:5], v[8:9]
	s_and_b32 s2, exec_lo, s2
	s_delay_alu instid0(SALU_CYCLE_1) | instskip(NEXT) | instid1(SALU_CYCLE_1)
	s_or_b32 s41, s2, s41
	s_and_not1_b32 exec_lo, exec_lo, s41
	s_cbranch_execz .LBB4_58
.LBB4_5:                                ; =>This Loop Header: Depth=1
                                        ;     Child Loop BB4_8 Depth 2
                                        ;     Child Loop BB4_12 Depth 2
                                        ;     Child Loop BB4_21 Depth 2
                                        ;       Child Loop BB4_22 Depth 3
                                        ;       Child Loop BB4_24 Depth 3
                                        ;         Child Loop BB4_25 Depth 4
                                        ;       Child Loop BB4_30 Depth 3
                                        ;         Child Loop BB4_32 Depth 4
                                        ;     Child Loop BB4_34 Depth 2
                                        ;     Child Loop BB4_39 Depth 2
                                        ;       Child Loop BB4_42 Depth 3
                                        ;         Child Loop BB4_43 Depth 4
                                        ;         Child Loop BB4_46 Depth 4
                                        ;           Child Loop BB4_47 Depth 5
                                        ;         Child Loop BB4_52 Depth 4
                                        ;           Child Loop BB4_54 Depth 5
	s_mov_b32 s21, s19
	s_and_saveexec_b32 s4, s0
	s_cbranch_execz .LBB4_16
; %bb.6:                                ;   in Loop: Header=BB4_5 Depth=1
	s_and_not1_b32 vcc_lo, exec_lo, s38
	s_mul_u64 s[2:3], s[6:7], s[20:21]
	s_cbranch_vccnz .LBB4_10
; %bb.7:                                ;   in Loop: Header=BB4_5 Depth=1
	v_add_nc_u64_e32 v[6:7], s[2:3], v[0:1]
	s_mov_b32 s5, 1
	s_mov_b32 s14, 0
	;; [unrolled: 1-line block ×3, first 2 shown]
.LBB4_8:                                ;   Parent Loop BB4_5 Depth=1
                                        ; =>  This Inner Loop Header: Depth=2
	global_load_b64 v[8:9], v[6:7], off
	s_wait_xcnt 0x0
	v_add_nc_u64_e32 v[6:7], 8, v[6:7]
	v_lshl_or_b32 v11, s14, 4, v10
	v_lshl_or_b32 v14, s5, 4, v10
	s_add_co_i32 s15, s15, -2
	s_add_co_i32 s14, s14, 2
	s_add_co_i32 s5, s5, 2
	s_mov_b32 s18, s37
	s_mov_b32 s22, s39
	s_cmp_lg_u32 s15, 0
	s_wait_loadcnt 0x0
	ds_store_b32 v11, v8
	ds_store_b32 v14, v9
	s_cbranch_scc1 .LBB4_8
; %bb.9:                                ;   in Loop: Header=BB4_5 Depth=1
	s_and_b32 vcc_lo, exec_lo, s22
	s_cbranch_vccnz .LBB4_11
	s_branch .LBB4_13
.LBB4_10:                               ;   in Loop: Header=BB4_5 Depth=1
	s_mov_b32 s18, 0
	s_cbranch_execz .LBB4_13
.LBB4_11:                               ;   in Loop: Header=BB4_5 Depth=1
	s_mul_u64 s[14:15], s[8:9], s[18:19]
	v_lshl_or_b32 v8, s18, 4, v10
	s_add_nc_u64 s[2:3], s[14:15], s[2:3]
	s_delay_alu instid0(SALU_CYCLE_1)
	v_add_nc_u64_e32 v[6:7], s[2:3], v[0:1]
	s_sub_co_i32 s2, s33, s18
.LBB4_12:                               ;   Parent Loop BB4_5 Depth=1
                                        ; =>  This Inner Loop Header: Depth=2
	global_load_b32 v9, v[6:7], off
	s_wait_xcnt 0x0
	v_add_nc_u64_e32 v[6:7], s[8:9], v[6:7]
	s_add_co_i32 s2, s2, -1
	s_delay_alu instid0(SALU_CYCLE_1)
	s_cmp_eq_u32 s2, 0
	s_wait_loadcnt 0x0
	ds_store_b32 v8, v9
	v_add_nc_u32_e32 v8, 16, v8
	s_cbranch_scc0 .LBB4_12
.LBB4_13:                               ;   in Loop: Header=BB4_5 Depth=1
	v_mov_b32_e32 v6, 1.0
	s_and_b32 vcc_lo, exec_lo, s35
	s_cbranch_vccz .LBB4_15
; %bb.14:                               ;   in Loop: Header=BB4_5 Depth=1
	ds_load_b32 v6, v20
	s_wait_dscnt 0x0
	v_div_scale_f32 v7, null, v6, v6, 1.0
	s_delay_alu instid0(VALU_DEP_1) | instskip(SKIP_1) | instid1(TRANS32_DEP_1)
	v_rcp_f32_e32 v8, v7
	v_nop
	v_fma_f32 v9, -v7, v8, 1.0
	s_delay_alu instid0(VALU_DEP_1) | instskip(SKIP_1) | instid1(VALU_DEP_1)
	v_fmac_f32_e32 v8, v9, v8
	v_div_scale_f32 v9, vcc_lo, 1.0, v6, 1.0
	v_mul_f32_e32 v11, v9, v8
	s_delay_alu instid0(VALU_DEP_1) | instskip(NEXT) | instid1(VALU_DEP_1)
	v_fma_f32 v14, -v7, v11, v9
	v_fmac_f32_e32 v11, v14, v8
	s_delay_alu instid0(VALU_DEP_1) | instskip(NEXT) | instid1(VALU_DEP_1)
	v_fma_f32 v7, -v7, v11, v9
	v_div_fmas_f32 v7, v7, v8, v11
	s_delay_alu instid0(VALU_DEP_1)
	v_div_fixup_f32 v6, v7, v6, 1.0
.LBB4_15:                               ;   in Loop: Header=BB4_5 Depth=1
	ds_store_b32 v20, v6
.LBB4_16:                               ;   in Loop: Header=BB4_5 Depth=1
	s_or_b32 exec_lo, exec_lo, s4
	s_mov_b32 s2, -1
	s_wait_dscnt 0x0
	; wave barrier
                                        ; implicit-def: $vgpr6_vgpr7_vgpr8_vgpr9
	s_and_saveexec_b32 s42, s1
	s_cbranch_execz .LBB4_4
; %bb.17:                               ;   in Loop: Header=BB4_5 Depth=1
	s_mul_u64 s[2:3], s[16:17], s[20:21]
	s_mul_u64 s[14:15], s[12:13], s[20:21]
	v_lshl_add_u64 v[14:15], s[2:3], 2, v[12:13]
	s_and_not1_b32 vcc_lo, exec_lo, s36
	s_mov_b32 s2, -1
                                        ; implicit-def: $vgpr6_vgpr7_vgpr8_vgpr9
	s_cbranch_vccnz .LBB4_37
; %bb.18:                               ;   in Loop: Header=BB4_5 Depth=1
	v_mov_b64_e32 v[8:9], v[4:5]
	v_add_nc_u64_e32 v[16:17], s[14:15], v[12:13]
	v_mov_b64_e32 v[6:7], v[2:3]
	s_mov_b32 s18, 0
	s_mov_b32 s22, s34
	s_load_b32 s21, s[10:11], s18 offset:0x0 scale_offset
	s_wait_kmcnt 0x0
	s_add_co_i32 s28, s21, -1
	s_delay_alu instid0(SALU_CYCLE_1)
	s_cmp_lt_i32 s22, s28
	s_cbranch_scc1 .LBB4_34
.LBB4_19:                               ;   in Loop: Header=BB4_5 Depth=1
	s_lshl_b32 s2, s22, 4
	s_lshl_b32 s3, s21, 4
	s_max_i32 s29, s21, 1
	s_add_co_i32 s43, s40, s2
	s_sub_co_i32 s44, 0, s3
	s_mul_i32 s45, s22, 20
	s_mul_i32 s46, s21, 0xffffffec
	s_branch .LBB4_21
.LBB4_20:                               ;   in Loop: Header=BB4_21 Depth=2
	s_sub_co_i32 s22, s22, s21
	s_add_co_i32 s43, s43, s44
	s_add_co_i32 s45, s45, s46
	s_cmp_lt_i32 s22, s28
	s_cbranch_scc1 .LBB4_34
.LBB4_21:                               ;   Parent Loop BB4_5 Depth=1
                                        ; =>  This Loop Header: Depth=2
                                        ;       Child Loop BB4_22 Depth 3
                                        ;       Child Loop BB4_24 Depth 3
                                        ;         Child Loop BB4_25 Depth 4
                                        ;       Child Loop BB4_30 Depth 3
                                        ;         Child Loop BB4_32 Depth 4
	s_ashr_i32 s23, s22, 31
	s_mov_b64 s[4:5], 0
	s_wait_xcnt 0x0
	v_lshl_add_u64 v[18:19], s[22:23], 2, v[16:17]
.LBB4_22:                               ;   Parent Loop BB4_5 Depth=1
                                        ;     Parent Loop BB4_21 Depth=2
                                        ; =>    This Inner Loop Header: Depth=3
	global_load_b32 v11, v[18:19], off
	s_cmp_eq_u32 s4, 3
	s_wait_xcnt 0x0
	v_add_nc_u64_e32 v[18:19], -4, v[18:19]
	s_cselect_b32 vcc_lo, -1, 0
	s_cmp_eq_u32 s4, 2
	s_cselect_b32 s2, -1, 0
	s_cmp_eq_u32 s4, 1
	s_cselect_b32 s3, -1, 0
	s_cmp_eq_u32 s4, 0
	s_add_nc_u64 s[4:5], s[4:5], 1
	s_wait_loadcnt 0x0
	v_mul_f32_e32 v11, s31, v11
	s_delay_alu instid0(VALU_DEP_1) | instskip(SKIP_1) | instid1(SALU_CYCLE_1)
	v_dual_cndmask_b32 v9, v9, v11, vcc_lo :: v_dual_cndmask_b32 v8, v8, v11, s2
	s_cselect_b32 vcc_lo, -1, 0
	v_dual_cndmask_b32 v7, v7, v11, s3 :: v_dual_cndmask_b32 v6, v6, v11, vcc_lo
	s_cmp_eq_u32 s29, s4
	s_cbranch_scc0 .LBB4_22
; %bb.23:                               ;   in Loop: Header=BB4_21 Depth=2
	s_cmp_le_i32 s34, s22
	s_mov_b32 s5, s43
	s_mov_b32 s24, s34
	s_cbranch_scc1 .LBB4_27
.LBB4_24:                               ;   Parent Loop BB4_5 Depth=1
                                        ;     Parent Loop BB4_21 Depth=2
                                        ; =>    This Loop Header: Depth=3
                                        ;         Child Loop BB4_25 Depth 4
	s_ashr_i32 s25, s24, 31
	s_mov_b64 s[26:27], 0
	v_lshl_add_u64 v[18:19], s[24:25], 2, v[14:15]
	s_mov_b32 s25, s5
	global_load_b32 v11, v[18:19], off
.LBB4_25:                               ;   Parent Loop BB4_5 Depth=1
                                        ;     Parent Loop BB4_21 Depth=2
                                        ;       Parent Loop BB4_24 Depth=3
                                        ; =>      This Inner Loop Header: Depth=4
	s_cmp_eq_u32 s26, 1
	s_cselect_b32 vcc_lo, -1, 0
	s_wait_xcnt 0x0
	v_dual_mov_b32 v18, s25 :: v_dual_cndmask_b32 v19, v6, v7
	s_cmp_eq_u32 s26, 2
	s_cselect_b32 s2, -1, 0
	ds_load_b32 v18, v18
	s_cmp_eq_u32 s26, 3
	s_cselect_b32 s3, -1, 0
	v_cndmask_b32_e64 v19, v19, v8, s2
	s_cmp_eq_u32 s26, 0
	s_add_nc_u64 s[26:27], s[26:27], 1
	s_cselect_b32 s4, -1, 0
	s_add_co_i32 s25, s25, -16
	v_cndmask_b32_e64 v19, v19, v9, s3
	s_cmp_eq_u32 s29, s26
	s_wait_loadcnt_dscnt 0x0
	s_delay_alu instid0(VALU_DEP_1) | instskip(NEXT) | instid1(VALU_DEP_1)
	v_fma_f32 v18, -v11, v18, v19
	v_dual_cndmask_b32 v9, v9, v18, s3 :: v_dual_cndmask_b32 v8, v8, v18, s2
	v_dual_cndmask_b32 v7, v7, v18, vcc_lo :: v_dual_cndmask_b32 v6, v6, v18, s4
	s_cbranch_scc0 .LBB4_25
; %bb.26:                               ;   in Loop: Header=BB4_24 Depth=3
	s_add_co_i32 s24, s24, -1
	s_add_co_i32 s5, s5, -4
	s_cmp_le_i32 s24, s22
	s_cbranch_scc0 .LBB4_24
.LBB4_27:                               ;   in Loop: Header=BB4_21 Depth=2
	s_mov_b64 s[24:25], 0
	s_mov_b32 s47, s45
	s_branch .LBB4_30
.LBB4_28:                               ;   in Loop: Header=BB4_30 Depth=3
	s_mov_b32 s2, s22
	s_mov_b64 s[4:5], 0
	s_mov_b64 s[26:27], s[22:23]
.LBB4_29:                               ;   in Loop: Header=BB4_30 Depth=3
	s_mul_i32 s2, s2, 20
	s_cmp_eq_u32 s4, 1
	s_add_nc_u64 s[24:25], s[24:25], 1
	s_cselect_b32 vcc_lo, -1, 0
	s_wait_xcnt 0x0
	v_dual_mov_b32 v11, s2 :: v_dual_cndmask_b32 v18, v6, v7
	s_cmp_eq_u32 s4, 2
	s_cselect_b32 s2, -1, 0
	ds_load_b32 v11, v11
	s_cmp_eq_u32 s4, 3
	s_cselect_b32 s3, -1, 0
	v_cndmask_b32_e64 v18, v18, v8, s2
	s_cmp_eq_u32 s4, 0
	s_delay_alu instid0(VALU_DEP_1) | instskip(SKIP_1) | instid1(VALU_DEP_1)
	v_cndmask_b32_e64 v18, v18, v9, s3
	s_wait_dscnt 0x0
	v_mul_f32_e32 v11, v18, v11
	v_lshl_add_u64 v[18:19], s[26:27], 2, v[14:15]
	s_delay_alu instid0(VALU_DEP_2)
	v_cndmask_b32_e32 v7, v7, v11, vcc_lo
	s_cselect_b32 vcc_lo, -1, 0
	v_dual_cndmask_b32 v9, v9, v11, s3 :: v_dual_cndmask_b32 v8, v8, v11, s2
	v_cndmask_b32_e32 v6, v6, v11, vcc_lo
	s_add_co_i32 s47, s47, -16
	s_cmp_eq_u32 s24, s29
	global_store_b32 v[18:19], v11, off
	s_cbranch_scc1 .LBB4_20
.LBB4_30:                               ;   Parent Loop BB4_5 Depth=1
                                        ;     Parent Loop BB4_21 Depth=2
                                        ; =>    This Loop Header: Depth=3
                                        ;         Child Loop BB4_32 Depth 4
	s_cmp_eq_u32 s24, 0
	s_cbranch_scc1 .LBB4_28
; %bb.31:                               ;   in Loop: Header=BB4_30 Depth=3
	s_mov_b64 s[26:27], 0
	s_mov_b32 s5, s47
.LBB4_32:                               ;   Parent Loop BB4_5 Depth=1
                                        ;     Parent Loop BB4_21 Depth=2
                                        ;       Parent Loop BB4_30 Depth=3
                                        ; =>      This Inner Loop Header: Depth=4
	s_cmp_eq_u32 s26, 1
	s_cselect_b32 vcc_lo, -1, 0
	s_wait_xcnt 0x0
	v_dual_mov_b32 v11, s5 :: v_dual_cndmask_b32 v18, v6, v7
	s_cmp_eq_u32 s26, 2
	s_cselect_b32 vcc_lo, -1, 0
	s_cmp_eq_u32 s26, 3
	ds_load_b32 v11, v11
	v_cndmask_b32_e32 v18, v18, v8, vcc_lo
	s_cselect_b32 vcc_lo, -1, 0
	s_cmp_eq_u32 s24, 1
	s_add_nc_u64 s[26:27], s[26:27], 1
	s_cselect_b32 s2, -1, 0
	s_cmp_eq_u32 s24, 2
	v_cndmask_b32_e64 v19, v6, v7, s2
	s_cselect_b32 s3, -1, 0
	s_cmp_eq_u32 s24, 3
	s_delay_alu instid0(VALU_DEP_1) | instskip(SKIP_2) | instid1(VALU_DEP_1)
	v_dual_cndmask_b32 v19, v19, v8, s3 :: v_dual_cndmask_b32 v18, v18, v9, vcc_lo
	s_cselect_b32 vcc_lo, -1, 0
	s_cmp_eq_u32 s24, 0
	v_cndmask_b32_e32 v19, v19, v9, vcc_lo
	s_cselect_b32 s4, -1, 0
	s_add_co_i32 s5, s5, -4
	s_cmp_eq_u32 s24, s26
	s_wait_dscnt 0x0
	v_fma_f32 v11, -v18, v11, v19
	s_delay_alu instid0(VALU_DEP_1)
	v_dual_cndmask_b32 v9, v9, v11, vcc_lo :: v_dual_cndmask_b32 v8, v8, v11, s3
	v_dual_cndmask_b32 v7, v7, v11, s2 :: v_dual_cndmask_b32 v6, v6, v11, s4
	s_cbranch_scc0 .LBB4_32
; %bb.33:                               ;   in Loop: Header=BB4_30 Depth=3
	s_sub_co_i32 s2, s22, s24
	s_mov_b64 s[4:5], s[24:25]
	s_ashr_i32 s3, s2, 31
	s_delay_alu instid0(SALU_CYCLE_1)
	s_mov_b64 s[26:27], s[2:3]
	s_branch .LBB4_29
.LBB4_34:                               ;   Parent Loop BB4_5 Depth=1
                                        ; =>  This Inner Loop Header: Depth=2
	s_cmp_gt_i32 s22, -1
	s_cselect_b32 s3, -1, 0
	s_add_co_i32 s2, s18, 1
	s_cmp_lt_u32 s18, 2
	s_cselect_b32 s4, -1, 0
	s_delay_alu instid0(SALU_CYCLE_1) | instskip(NEXT) | instid1(SALU_CYCLE_1)
	s_and_b32 s3, s3, s4
	s_and_b32 vcc_lo, exec_lo, s3
	s_cbranch_vccz .LBB4_36
; %bb.35:                               ;   in Loop: Header=BB4_34 Depth=2
	s_wait_xcnt 0x0
	s_mov_b32 s18, s2
	s_load_b32 s21, s[10:11], s18 offset:0x0 scale_offset
	s_wait_kmcnt 0x0
	s_add_co_i32 s28, s21, -1
	s_delay_alu instid0(SALU_CYCLE_1)
	s_cmp_lt_i32 s22, s28
	s_cbranch_scc0 .LBB4_19
	s_branch .LBB4_34
.LBB4_36:                               ;   in Loop: Header=BB4_5 Depth=1
	s_mov_b32 s2, 0
.LBB4_37:                               ;   in Loop: Header=BB4_5 Depth=1
	s_delay_alu instid0(SALU_CYCLE_1)
	s_and_b32 vcc_lo, exec_lo, s2
	s_cbranch_vccz .LBB4_3
; %bb.38:                               ;   in Loop: Header=BB4_5 Depth=1
	v_add_nc_u64_e32 v[6:7], s[14:15], v[12:13]
	s_mov_b32 s14, 0
	s_mov_b32 s21, 0
.LBB4_39:                               ;   Parent Loop BB4_5 Depth=1
                                        ; =>  This Loop Header: Depth=2
                                        ;       Child Loop BB4_42 Depth 3
                                        ;         Child Loop BB4_43 Depth 4
                                        ;         Child Loop BB4_46 Depth 4
                                        ;           Child Loop BB4_47 Depth 5
                                        ;         Child Loop BB4_52 Depth 4
                                        ;           Child Loop BB4_54 Depth 5
	s_load_b32 s22, s[10:11], s21 offset:0x0 scale_offset
	s_wait_kmcnt 0x0
	s_add_co_i32 s43, s22, -1
	s_delay_alu instid0(SALU_CYCLE_1) | instskip(NEXT) | instid1(SALU_CYCLE_1)
	s_add_co_i32 s2, s43, s14
	s_cmp_ge_i32 s2, s33
	s_cbranch_scc1 .LBB4_56
; %bb.40:                               ;   in Loop: Header=BB4_39 Depth=2
	s_ashr_i32 s15, s14, 31
	s_ashr_i32 s23, s22, 31
	v_lshl_add_u64 v[8:9], s[14:15], 2, v[6:7]
	s_max_i32 s44, s22, 1
	s_lshl_b64 s[24:25], s[22:23], 2
	s_lshl_b32 s15, s14, 2
	s_lshl_b32 s23, s22, 2
	s_mul_i32 s45, s14, 20
	s_mul_i32 s46, s22, 20
	s_branch .LBB4_42
.LBB4_41:                               ;   in Loop: Header=BB4_42 Depth=3
	v_add_nc_u64_e32 v[8:9], s[24:25], v[8:9]
	s_add_co_i32 s14, s14, s22
	s_add_co_i32 s15, s15, s23
	;; [unrolled: 1-line block ×4, first 2 shown]
	s_cmp_ge_i32 s2, s33
	s_cbranch_scc1 .LBB4_56
.LBB4_42:                               ;   Parent Loop BB4_5 Depth=1
                                        ;     Parent Loop BB4_39 Depth=2
                                        ; =>    This Loop Header: Depth=3
                                        ;         Child Loop BB4_43 Depth 4
                                        ;         Child Loop BB4_46 Depth 4
                                        ;           Child Loop BB4_47 Depth 5
                                        ;         Child Loop BB4_52 Depth 4
                                        ;           Child Loop BB4_54 Depth 5
	s_wait_xcnt 0x0
	v_mov_b64_e32 v[16:17], v[8:9]
	s_mov_b64 s[4:5], 0
.LBB4_43:                               ;   Parent Loop BB4_5 Depth=1
                                        ;     Parent Loop BB4_39 Depth=2
                                        ;       Parent Loop BB4_42 Depth=3
                                        ; =>      This Inner Loop Header: Depth=4
	global_load_b32 v11, v[16:17], off
	s_cmp_eq_u32 s4, 3
	s_wait_xcnt 0x0
	v_add_nc_u64_e32 v[16:17], 4, v[16:17]
	s_cselect_b32 vcc_lo, -1, 0
	s_cmp_eq_u32 s4, 2
	s_cselect_b32 s2, -1, 0
	s_cmp_eq_u32 s4, 1
	s_cselect_b32 s3, -1, 0
	s_cmp_eq_u32 s4, 0
	s_add_nc_u64 s[4:5], s[4:5], 1
	s_wait_loadcnt 0x0
	v_mul_f32_e32 v11, s31, v11
	s_delay_alu instid0(VALU_DEP_1) | instskip(SKIP_1) | instid1(SALU_CYCLE_1)
	v_dual_cndmask_b32 v5, v5, v11, vcc_lo :: v_dual_cndmask_b32 v4, v4, v11, s2
	s_cselect_b32 vcc_lo, -1, 0
	v_dual_cndmask_b32 v3, v3, v11, s3 :: v_dual_cndmask_b32 v2, v2, v11, vcc_lo
	s_cmp_eq_u32 s44, s4
	s_cbranch_scc0 .LBB4_43
; %bb.44:                               ;   in Loop: Header=BB4_42 Depth=3
	s_cmp_lt_i32 s14, 1
	s_cbranch_scc1 .LBB4_49
; %bb.45:                               ;   in Loop: Header=BB4_42 Depth=3
	s_mov_b32 s18, 0
	s_mov_b32 s5, s15
.LBB4_46:                               ;   Parent Loop BB4_5 Depth=1
                                        ;     Parent Loop BB4_39 Depth=2
                                        ;       Parent Loop BB4_42 Depth=3
                                        ; =>      This Loop Header: Depth=4
                                        ;           Child Loop BB4_47 Depth 5
	v_lshl_add_u64 v[16:17], s[18:19], 2, v[14:15]
	s_mov_b64 s[26:27], 0
	s_mov_b32 s28, s5
	global_load_b32 v11, v[16:17], off
.LBB4_47:                               ;   Parent Loop BB4_5 Depth=1
                                        ;     Parent Loop BB4_39 Depth=2
                                        ;       Parent Loop BB4_42 Depth=3
                                        ;         Parent Loop BB4_46 Depth=4
                                        ; =>        This Inner Loop Header: Depth=5
	s_cmp_eq_u32 s26, 1
	s_cselect_b32 vcc_lo, -1, 0
	s_wait_xcnt 0x0
	v_dual_mov_b32 v16, s28 :: v_dual_cndmask_b32 v17, v2, v3
	s_cmp_eq_u32 s26, 2
	s_cselect_b32 s2, -1, 0
	ds_load_b32 v16, v16
	v_cndmask_b32_e64 v17, v17, v4, s2
	s_cmp_eq_u32 s26, 3
	s_cselect_b32 s3, -1, 0
	s_cmp_eq_u32 s26, 0
	s_delay_alu instid0(VALU_DEP_1)
	v_cndmask_b32_e64 v17, v17, v5, s3
	s_cselect_b32 s4, -1, 0
	s_add_nc_u64 s[26:27], s[26:27], 1
	s_add_co_i32 s28, s28, 4
	s_cmp_eq_u32 s44, s26
	s_wait_loadcnt_dscnt 0x0
	v_fma_f32 v16, -v11, v16, v17
	s_delay_alu instid0(VALU_DEP_1)
	v_dual_cndmask_b32 v5, v5, v16, s3 :: v_dual_cndmask_b32 v3, v3, v16, vcc_lo
	v_dual_cndmask_b32 v4, v4, v16, s2 :: v_dual_cndmask_b32 v2, v2, v16, s4
	s_cbranch_scc0 .LBB4_47
; %bb.48:                               ;   in Loop: Header=BB4_46 Depth=4
	s_add_co_i32 s18, s18, 1
	s_add_co_i32 s5, s5, 16
	s_cmp_eq_u32 s18, s14
	s_cbranch_scc0 .LBB4_46
.LBB4_49:                               ;   in Loop: Header=BB4_42 Depth=3
	s_mov_b64 s[26:27], 0
	s_mov_b32 s18, s45
	s_branch .LBB4_52
.LBB4_50:                               ;   in Loop: Header=BB4_52 Depth=4
	s_mov_b64 s[4:5], 0
.LBB4_51:                               ;   in Loop: Header=BB4_52 Depth=4
	s_add_co_i32 s28, s26, s14
	s_cmp_eq_u32 s4, 1
	s_mul_i32 s2, s28, 20
	s_cselect_b32 vcc_lo, -1, 0
	s_wait_xcnt 0x0
	v_dual_mov_b32 v11, s2 :: v_dual_cndmask_b32 v16, v2, v3
	s_cmp_eq_u32 s4, 2
	s_add_nc_u64 s[26:27], s[26:27], 1
	s_cselect_b32 s2, -1, 0
	ds_load_b32 v11, v11
	s_cmp_eq_u32 s4, 3
	s_cselect_b32 s3, -1, 0
	v_cndmask_b32_e64 v16, v16, v4, s2
	s_cmp_eq_u32 s4, 0
	s_cselect_b32 s4, -1, 0
	s_ashr_i32 s29, s28, 31
	s_delay_alu instid0(VALU_DEP_1) | instskip(SKIP_3) | instid1(VALU_DEP_1)
	v_cndmask_b32_e64 v16, v16, v5, s3
	s_add_co_i32 s18, s18, 4
	s_cmp_eq_u32 s26, s44
	s_wait_dscnt 0x0
	v_mul_f32_e32 v11, v16, v11
	v_lshl_add_u64 v[16:17], s[28:29], 2, v[14:15]
	s_delay_alu instid0(VALU_DEP_2)
	v_dual_cndmask_b32 v5, v5, v11, s3 :: v_dual_cndmask_b32 v4, v4, v11, s2
	v_dual_cndmask_b32 v2, v2, v11, s4 :: v_dual_cndmask_b32 v3, v3, v11, vcc_lo
	global_store_b32 v[16:17], v11, off
	s_cbranch_scc1 .LBB4_41
.LBB4_52:                               ;   Parent Loop BB4_5 Depth=1
                                        ;     Parent Loop BB4_39 Depth=2
                                        ;       Parent Loop BB4_42 Depth=3
                                        ; =>      This Loop Header: Depth=4
                                        ;           Child Loop BB4_54 Depth 5
	s_cmp_eq_u32 s26, 0
	s_cbranch_scc1 .LBB4_50
; %bb.53:                               ;   in Loop: Header=BB4_52 Depth=4
	s_mov_b64 s[28:29], 0
	s_mov_b32 s5, s18
.LBB4_54:                               ;   Parent Loop BB4_5 Depth=1
                                        ;     Parent Loop BB4_39 Depth=2
                                        ;       Parent Loop BB4_42 Depth=3
                                        ;         Parent Loop BB4_52 Depth=4
                                        ; =>        This Inner Loop Header: Depth=5
	s_cmp_eq_u32 s28, 1
	s_cselect_b32 vcc_lo, -1, 0
	s_wait_xcnt 0x0
	v_dual_mov_b32 v11, s5 :: v_dual_cndmask_b32 v16, v2, v3
	s_cmp_eq_u32 s28, 2
	s_cselect_b32 vcc_lo, -1, 0
	s_cmp_eq_u32 s28, 3
	ds_load_b32 v11, v11
	v_cndmask_b32_e32 v16, v16, v4, vcc_lo
	s_cselect_b32 vcc_lo, -1, 0
	s_cmp_eq_u32 s26, 1
	s_add_nc_u64 s[28:29], s[28:29], 1
	s_cselect_b32 s2, -1, 0
	s_cmp_eq_u32 s26, 2
	v_cndmask_b32_e64 v17, v2, v3, s2
	s_cselect_b32 s3, -1, 0
	v_cndmask_b32_e32 v16, v16, v5, vcc_lo
	s_cmp_eq_u32 s26, 3
	s_delay_alu instid0(VALU_DEP_2) | instskip(SKIP_3) | instid1(VALU_DEP_1)
	v_cndmask_b32_e64 v17, v17, v4, s3
	s_cselect_b32 vcc_lo, -1, 0
	s_cmp_eq_u32 s26, 0
	s_cselect_b32 s4, -1, 0
	v_cndmask_b32_e32 v17, v17, v5, vcc_lo
	s_add_co_i32 s5, s5, 16
	s_cmp_eq_u32 s26, s28
	s_wait_dscnt 0x0
	s_delay_alu instid0(VALU_DEP_1) | instskip(NEXT) | instid1(VALU_DEP_1)
	v_fma_f32 v11, -v16, v11, v17
	v_dual_cndmask_b32 v5, v5, v11, vcc_lo :: v_dual_cndmask_b32 v3, v3, v11, s2
	v_dual_cndmask_b32 v4, v4, v11, s3 :: v_dual_cndmask_b32 v2, v2, v11, s4
	s_cbranch_scc0 .LBB4_54
; %bb.55:                               ;   in Loop: Header=BB4_52 Depth=4
	s_mov_b64 s[4:5], s[26:27]
	s_branch .LBB4_51
.LBB4_56:                               ;   in Loop: Header=BB4_39 Depth=2
	s_cmp_lt_i32 s14, s33
	s_cselect_b32 s3, -1, 0
	s_add_co_i32 s2, s21, 1
	s_cmp_lt_u32 s21, 2
	s_cselect_b32 s4, -1, 0
	s_delay_alu instid0(SALU_CYCLE_1) | instskip(NEXT) | instid1(SALU_CYCLE_1)
	s_and_b32 s3, s3, s4
	s_and_not1_b32 vcc_lo, exec_lo, s3
	s_cbranch_vccnz .LBB4_2
; %bb.57:                               ;   in Loop: Header=BB4_39 Depth=2
	s_wait_xcnt 0x0
	s_mov_b32 s21, s2
	s_branch .LBB4_39
.LBB4_58:
	s_endpgm
	.section	.rodata,"a",@progbits
	.p2align	6, 0x0
	.amdhsa_kernel _ZL30rocblas_trsm_small_left_deviceILi4ELi4ELb1EffPKfPfEv13rocblas_fill_18rocblas_operation_17rocblas_diagonal_iiT3_T4_lilT5_lili
		.amdhsa_group_segment_fixed_size 64
		.amdhsa_private_segment_fixed_size 0
		.amdhsa_kernarg_size 352
		.amdhsa_user_sgpr_count 2
		.amdhsa_user_sgpr_dispatch_ptr 0
		.amdhsa_user_sgpr_queue_ptr 0
		.amdhsa_user_sgpr_kernarg_segment_ptr 1
		.amdhsa_user_sgpr_dispatch_id 0
		.amdhsa_user_sgpr_kernarg_preload_length 0
		.amdhsa_user_sgpr_kernarg_preload_offset 0
		.amdhsa_user_sgpr_private_segment_size 0
		.amdhsa_wavefront_size32 1
		.amdhsa_uses_dynamic_stack 0
		.amdhsa_enable_private_segment 0
		.amdhsa_system_sgpr_workgroup_id_x 1
		.amdhsa_system_sgpr_workgroup_id_y 0
		.amdhsa_system_sgpr_workgroup_id_z 1
		.amdhsa_system_sgpr_workgroup_info 0
		.amdhsa_system_vgpr_workitem_id 0
		.amdhsa_next_free_vgpr 21
		.amdhsa_next_free_sgpr 48
		.amdhsa_named_barrier_count 0
		.amdhsa_reserve_vcc 1
		.amdhsa_float_round_mode_32 0
		.amdhsa_float_round_mode_16_64 0
		.amdhsa_float_denorm_mode_32 3
		.amdhsa_float_denorm_mode_16_64 3
		.amdhsa_fp16_overflow 0
		.amdhsa_memory_ordered 1
		.amdhsa_forward_progress 1
		.amdhsa_inst_pref_size 21
		.amdhsa_round_robin_scheduling 0
		.amdhsa_exception_fp_ieee_invalid_op 0
		.amdhsa_exception_fp_denorm_src 0
		.amdhsa_exception_fp_ieee_div_zero 0
		.amdhsa_exception_fp_ieee_overflow 0
		.amdhsa_exception_fp_ieee_underflow 0
		.amdhsa_exception_fp_ieee_inexact 0
		.amdhsa_exception_int_div_zero 0
	.end_amdhsa_kernel
	.section	.text._ZL30rocblas_trsm_small_left_deviceILi4ELi4ELb1EffPKfPfEv13rocblas_fill_18rocblas_operation_17rocblas_diagonal_iiT3_T4_lilT5_lili,"axG",@progbits,_ZL30rocblas_trsm_small_left_deviceILi4ELi4ELb1EffPKfPfEv13rocblas_fill_18rocblas_operation_17rocblas_diagonal_iiT3_T4_lilT5_lili,comdat
.Lfunc_end4:
	.size	_ZL30rocblas_trsm_small_left_deviceILi4ELi4ELb1EffPKfPfEv13rocblas_fill_18rocblas_operation_17rocblas_diagonal_iiT3_T4_lilT5_lili, .Lfunc_end4-_ZL30rocblas_trsm_small_left_deviceILi4ELi4ELb1EffPKfPfEv13rocblas_fill_18rocblas_operation_17rocblas_diagonal_iiT3_T4_lilT5_lili
                                        ; -- End function
	.set _ZL30rocblas_trsm_small_left_deviceILi4ELi4ELb1EffPKfPfEv13rocblas_fill_18rocblas_operation_17rocblas_diagonal_iiT3_T4_lilT5_lili.num_vgpr, 21
	.set _ZL30rocblas_trsm_small_left_deviceILi4ELi4ELb1EffPKfPfEv13rocblas_fill_18rocblas_operation_17rocblas_diagonal_iiT3_T4_lilT5_lili.num_agpr, 0
	.set _ZL30rocblas_trsm_small_left_deviceILi4ELi4ELb1EffPKfPfEv13rocblas_fill_18rocblas_operation_17rocblas_diagonal_iiT3_T4_lilT5_lili.numbered_sgpr, 48
	.set _ZL30rocblas_trsm_small_left_deviceILi4ELi4ELb1EffPKfPfEv13rocblas_fill_18rocblas_operation_17rocblas_diagonal_iiT3_T4_lilT5_lili.num_named_barrier, 0
	.set _ZL30rocblas_trsm_small_left_deviceILi4ELi4ELb1EffPKfPfEv13rocblas_fill_18rocblas_operation_17rocblas_diagonal_iiT3_T4_lilT5_lili.private_seg_size, 0
	.set _ZL30rocblas_trsm_small_left_deviceILi4ELi4ELb1EffPKfPfEv13rocblas_fill_18rocblas_operation_17rocblas_diagonal_iiT3_T4_lilT5_lili.uses_vcc, 1
	.set _ZL30rocblas_trsm_small_left_deviceILi4ELi4ELb1EffPKfPfEv13rocblas_fill_18rocblas_operation_17rocblas_diagonal_iiT3_T4_lilT5_lili.uses_flat_scratch, 0
	.set _ZL30rocblas_trsm_small_left_deviceILi4ELi4ELb1EffPKfPfEv13rocblas_fill_18rocblas_operation_17rocblas_diagonal_iiT3_T4_lilT5_lili.has_dyn_sized_stack, 0
	.set _ZL30rocblas_trsm_small_left_deviceILi4ELi4ELb1EffPKfPfEv13rocblas_fill_18rocblas_operation_17rocblas_diagonal_iiT3_T4_lilT5_lili.has_recursion, 0
	.set _ZL30rocblas_trsm_small_left_deviceILi4ELi4ELb1EffPKfPfEv13rocblas_fill_18rocblas_operation_17rocblas_diagonal_iiT3_T4_lilT5_lili.has_indirect_call, 0
	.section	.AMDGPU.csdata,"",@progbits
; Kernel info:
; codeLenInByte = 2596
; TotalNumSgprs: 50
; NumVgprs: 21
; ScratchSize: 0
; MemoryBound: 0
; FloatMode: 240
; IeeeMode: 1
; LDSByteSize: 64 bytes/workgroup (compile time only)
; SGPRBlocks: 0
; VGPRBlocks: 1
; NumSGPRsForWavesPerEU: 50
; NumVGPRsForWavesPerEU: 21
; NamedBarCnt: 0
; Occupancy: 16
; WaveLimiterHint : 0
; COMPUTE_PGM_RSRC2:SCRATCH_EN: 0
; COMPUTE_PGM_RSRC2:USER_SGPR: 2
; COMPUTE_PGM_RSRC2:TRAP_HANDLER: 0
; COMPUTE_PGM_RSRC2:TGID_X_EN: 1
; COMPUTE_PGM_RSRC2:TGID_Y_EN: 0
; COMPUTE_PGM_RSRC2:TGID_Z_EN: 1
; COMPUTE_PGM_RSRC2:TIDIG_COMP_CNT: 0
	.section	.text._ZL31rocblas_trsm_small_right_deviceIffPKfPfLi4EEv13rocblas_fill_18rocblas_operation_17rocblas_diagonal_iiT0_T1_lilT2_lili,"axG",@progbits,_ZL31rocblas_trsm_small_right_deviceIffPKfPfLi4EEv13rocblas_fill_18rocblas_operation_17rocblas_diagonal_iiT0_T1_lilT2_lili,comdat
	.globl	_ZL31rocblas_trsm_small_right_deviceIffPKfPfLi4EEv13rocblas_fill_18rocblas_operation_17rocblas_diagonal_iiT0_T1_lilT2_lili ; -- Begin function _ZL31rocblas_trsm_small_right_deviceIffPKfPfLi4EEv13rocblas_fill_18rocblas_operation_17rocblas_diagonal_iiT0_T1_lilT2_lili
	.p2align	8
	.type	_ZL31rocblas_trsm_small_right_deviceIffPKfPfLi4EEv13rocblas_fill_18rocblas_operation_17rocblas_diagonal_iiT0_T1_lilT2_lili,@function
_ZL31rocblas_trsm_small_right_deviceIffPKfPfLi4EEv13rocblas_fill_18rocblas_operation_17rocblas_diagonal_iiT0_T1_lilT2_lili: ; @_ZL31rocblas_trsm_small_right_deviceIffPKfPfLi4EEv13rocblas_fill_18rocblas_operation_17rocblas_diagonal_iiT0_T1_lilT2_lili
; %bb.0:
	s_load_b32 s28, s[0:1], 0x58
	s_bfe_u32 s2, ttmp6, 0x40014
	s_lshr_b32 s3, ttmp7, 16
	s_add_co_i32 s2, s2, 1
	s_bfe_u32 s5, ttmp6, 0x40008
	s_mul_i32 s2, s3, s2
	s_getreg_b32 s4, hwreg(HW_REG_IB_STS2, 6, 4)
	s_add_co_i32 s5, s5, s2
	s_cmp_eq_u32 s4, 0
	s_cselect_b32 s2, s3, s5
	s_mov_b32 s3, 0
	s_wait_kmcnt 0x0
	s_cmp_ge_u32 s2, s28
	s_cbranch_scc1 .LBB5_82
; %bb.1:
	s_clause 0x5
	s_load_b32 s22, s[0:1], 0x28
	s_load_b96 s[16:18], s[0:1], 0x40
	s_load_b128 s[12:15], s[0:1], 0x0
	s_load_b64 s[20:21], s[0:1], 0x10
	s_load_b32 s5, s[0:1], 0x60
	s_load_b128 s[8:11], s[0:1], 0x18
	v_dual_lshlrev_b32 v2, 2, v0 :: v_dual_lshlrev_b32 v6, 4, v0
	v_dual_mov_b32 v3, 0 :: v_dual_mov_b32 v18, 1.0
	s_delay_alu instid0(VALU_DEP_2) | instskip(NEXT) | instid1(VALU_DEP_3)
	v_or_b32_e32 v10, 64, v2
	v_add_nc_u32_e32 v17, v2, v6
	s_wait_kmcnt 0x0
	s_ashr_i32 s23, s22, 31
	s_mov_b32 s24, s18
	s_cmp_eq_u64 s[22:23], 1
	s_cselect_b32 s50, -1, 0
	s_ashr_i32 s25, s18, 31
	s_delay_alu instid0(SALU_CYCLE_1)
	s_cmp_eq_u64 s[24:25], 1
	s_cselect_b32 s53, -1, 0
	s_cmp_lg_u32 s12, 0x7a
	s_cselect_b32 s31, -1, 0
	s_bfe_u32 s6, ttmp6, 0x4000c
	s_min_i32 s29, s20, 4
	s_add_co_i32 s6, s6, 1
	s_add_co_i32 s18, s5, -1
	s_and_b32 s5, ttmp6, 15
	s_mul_i32 s6, ttmp9, s6
	s_add_co_i32 s30, s29, -1
	s_add_co_i32 s5, s5, s6
	s_cmp_eq_u32 s4, 0
	s_cselect_b32 s26, ttmp9, s5
	s_load_b128 s[4:7], s[0:1], 0x30
	s_lshl_b32 s19, s26, 2
	s_delay_alu instid0(SALU_CYCLE_1)
	s_sub_co_i32 s15, s15, s19
	s_cmp_ge_u32 s26, s18
	s_load_b64 s[18:19], s[0:1], 0x50
	s_cselect_b32 s15, s15, 4
	s_ashr_i32 s27, s26, 31
	v_cmp_gt_i32_e32 vcc_lo, s15, v0
	s_lshl_b64 s[26:27], s[26:27], 4
	s_cmp_eq_u32 s14, 0x84
	s_wait_xcnt 0x0
	v_cmp_gt_i32_e64 s0, s29, v0
	s_cselect_b32 s1, -1, 0
	s_cmp_gt_i32 s20, 0
	s_cselect_b32 s14, -1, 0
	s_cmp_lg_u32 s13, 0x6f
	s_cselect_b32 s13, -1, 0
	s_cmp_lg_u32 s12, 0x79
	s_cselect_b32 s12, -1, 0
	s_or_b32 s31, s31, s13
	s_or_b32 s33, s12, s13
	s_cmp_gt_i32 s20, 3
	v_cndmask_b32_e64 v11, 0, 1, s12
	s_mul_i32 s12, s30, 20
	s_cselect_b32 s34, -1, 0
	s_and_b32 s35, vcc_lo, s14
	s_add_co_i32 s14, s29, -2
	s_sub_co_i32 s37, s12, 20
	s_lshl_b32 s38, s14, 2
	s_lshl_b32 s36, s30, 2
	;; [unrolled: 1-line block ×3, first 2 shown]
	s_sub_co_i32 s41, s37, s38
	s_add_co_i32 s15, s29, -3
	s_add_co_i32 s47, s29, -4
	s_sub_co_i32 s40, s12, s36
	s_add_co_i32 s41, s41, s55
	s_lshl_b32 s13, s30, 4
	s_lshl_b32 s39, s14, 4
	;; [unrolled: 1-line block ×5, first 2 shown]
	s_add_co_i32 s42, s40, s38
	s_add_co_i32 s43, s41, -16
	s_sub_co_i32 s44, s41, 32
	s_sub_co_i32 s45, s12, 60
	s_add_co_i32 s46, s29, -5
	s_lshl_b32 s57, s47, 2
	s_sub_co_i32 s47, s41, 20
	s_sub_co_i32 s48, s41, 40
	s_cmp_gt_u32 s29, 1
	v_dual_add_nc_u32 v12, s13, v10 :: v_dual_add_nc_u32 v13, s39, v10
	s_cselect_b32 s12, -1, 0
	s_and_b32 s49, s29, -2
	s_and_b32 s50, s12, s50
	s_cmp_lg_u32 s29, s49
	v_dual_add_nc_u32 v14, s15, v10 :: v_dual_add_nc_u32 v15, s56, v10
	s_cselect_b32 s51, -1, 0
	s_cmp_gt_u32 s20, 1
	s_cselect_b32 s12, -1, 0
	s_and_b32 s52, s20, 0x7ffffffe
	s_and_b32 s53, s12, s53
	s_cmp_lg_u32 s20, s52
	s_cselect_b32 s54, -1, 0
	s_lshl_b64 s[12:13], s[10:11], 2
	s_mov_b32 s10, s21
	s_add_nc_u64 s[8:9], s[8:9], s[12:13]
	s_lshl_b64 s[12:13], s[16:17], 2
	s_lshl_b32 s16, s29, 4
	s_add_nc_u64 s[12:13], s[26:27], s[12:13]
	v_or_b32_e32 v7, s16, v2
	s_wait_kmcnt 0x0
	s_add_nc_u64 s[6:7], s[6:7], s[12:13]
	v_add_nc_u64_e32 v[0:1], s[8:9], v[2:3]
	v_add_nc_u64_e32 v[4:5], s[6:7], v[2:3]
	s_mov_b32 s11, s21
	v_add_nc_u32_e32 v16, 48, v7
	s_lshl_b64 s[4:5], s[4:5], 2
	s_lshl_b64 s[8:9], s[22:23], 2
	;; [unrolled: 1-line block ×4, first 2 shown]
	s_add_co_i32 s18, s16, -16
	s_sub_co_i32 s19, s16, 20
	s_add_co_i32 s22, s55, -4
	s_sub_co_i32 s23, s55, 20
	s_add_co_i32 s24, s15, s14
	s_add_co_i32 s25, s56, s57
	s_branch .LBB5_3
.LBB5_2:                                ;   in Loop: Header=BB5_3 Depth=1
	s_or_b32 exec_lo, exec_lo, s26
	s_add_co_i32 s2, s2, 0x10000
	s_delay_alu instid0(SALU_CYCLE_1)
	s_cmp_lt_u32 s2, s28
	s_cbranch_scc0 .LBB5_82
.LBB5_3:                                ; =>This Loop Header: Depth=1
                                        ;     Child Loop BB5_6 Depth 2
                                        ;     Child Loop BB5_10 Depth 2
                                        ;     Child Loop BB5_16 Depth 2
                                        ;     Child Loop BB5_20 Depth 2
                                        ;     Child Loop BB5_29 Depth 2
                                        ;       Child Loop BB5_30 Depth 3
                                        ;     Child Loop BB5_39 Depth 2
                                        ;     Child Loop BB5_44 Depth 2
                                        ;       Child Loop BB5_45 Depth 3
                                        ;       Child Loop BB5_47 Depth 3
                                        ;     Child Loop BB5_56 Depth 2
                                        ;     Child Loop BB5_61 Depth 2
                                        ;       Child Loop BB5_62 Depth 3
                                        ;       Child Loop BB5_64 Depth 3
                                        ;     Child Loop BB5_72 Depth 2
                                        ;       Child Loop BB5_73 Depth 3
                                        ;     Child Loop BB5_77 Depth 2
                                        ;     Child Loop BB5_81 Depth 2
	s_and_saveexec_b32 s26, s0
	s_cbranch_execz .LBB5_13
; %bb.4:                                ;   in Loop: Header=BB5_3 Depth=1
	s_and_not1_b32 vcc_lo, exec_lo, s50
	s_mul_u64 s[14:15], s[4:5], s[2:3]
	s_cbranch_vccnz .LBB5_8
; %bb.5:                                ;   in Loop: Header=BB5_3 Depth=1
	v_add_nc_u64_e32 v[6:7], s[14:15], v[0:1]
	s_mov_b32 s17, 1
	s_mov_b32 s27, 0
	;; [unrolled: 1-line block ×3, first 2 shown]
.LBB5_6:                                ;   Parent Loop BB5_3 Depth=1
                                        ; =>  This Inner Loop Header: Depth=2
	global_load_b64 v[8:9], v[6:7], off
	s_wait_xcnt 0x0
	v_add_nc_u64_e32 v[6:7], 8, v[6:7]
	v_lshl_or_b32 v19, s27, 4, v2
	v_lshl_or_b32 v20, s17, 4, v2
	s_add_co_i32 s55, s55, -2
	s_add_co_i32 s27, s27, 2
	s_add_co_i32 s17, s17, 2
	s_mov_b32 s16, s49
	s_mov_b32 s56, s51
	s_cmp_lg_u32 s55, 0
	s_wait_loadcnt 0x0
	ds_store_b32 v19, v8
	ds_store_b32 v20, v9
	s_cbranch_scc1 .LBB5_6
; %bb.7:                                ;   in Loop: Header=BB5_3 Depth=1
	s_and_b32 vcc_lo, exec_lo, s56
	s_cbranch_vccnz .LBB5_9
	s_branch .LBB5_11
.LBB5_8:                                ;   in Loop: Header=BB5_3 Depth=1
	s_mov_b32 s16, 0
	s_cbranch_execz .LBB5_11
.LBB5_9:                                ;   in Loop: Header=BB5_3 Depth=1
	s_mov_b32 s17, s3
	v_lshl_or_b32 v8, s16, 4, v2
	s_mul_u64 s[56:57], s[8:9], s[16:17]
	s_delay_alu instid0(SALU_CYCLE_1) | instskip(NEXT) | instid1(SALU_CYCLE_1)
	s_add_nc_u64 s[14:15], s[56:57], s[14:15]
	v_add_nc_u64_e32 v[6:7], s[14:15], v[0:1]
	s_sub_co_i32 s14, s29, s16
.LBB5_10:                               ;   Parent Loop BB5_3 Depth=1
                                        ; =>  This Inner Loop Header: Depth=2
	global_load_b32 v9, v[6:7], off
	s_wait_xcnt 0x0
	v_add_nc_u64_e32 v[6:7], s[8:9], v[6:7]
	s_add_co_i32 s14, s14, -1
	s_delay_alu instid0(SALU_CYCLE_1)
	s_cmp_eq_u32 s14, 0
	s_wait_loadcnt 0x0
	ds_store_b32 v8, v9
	v_add_nc_u32_e32 v8, 16, v8
	s_cbranch_scc0 .LBB5_10
.LBB5_11:                               ;   in Loop: Header=BB5_3 Depth=1
	s_and_b32 vcc_lo, exec_lo, s1
	s_cbranch_vccz .LBB5_13
; %bb.12:                               ;   in Loop: Header=BB5_3 Depth=1
	ds_store_b32 v17, v18
.LBB5_13:                               ;   in Loop: Header=BB5_3 Depth=1
	s_or_b32 exec_lo, exec_lo, s26
	s_mul_u64 s[14:15], s[6:7], s[2:3]
	s_delay_alu instid0(SALU_CYCLE_1)
	v_add_nc_u64_e32 v[6:7], s[14:15], v[4:5]
	s_and_saveexec_b32 s26, s35
	s_cbranch_execz .LBB5_21
; %bb.14:                               ;   in Loop: Header=BB5_3 Depth=1
	s_and_not1_b32 vcc_lo, exec_lo, s53
	s_cbranch_vccnz .LBB5_18
; %bb.15:                               ;   in Loop: Header=BB5_3 Depth=1
	s_delay_alu instid0(VALU_DEP_1)
	v_mov_b64_e32 v[8:9], v[6:7]
	s_mov_b32 s17, 1
	s_mov_b32 s27, 0
	;; [unrolled: 1-line block ×3, first 2 shown]
.LBB5_16:                               ;   Parent Loop BB5_3 Depth=1
                                        ; =>  This Inner Loop Header: Depth=2
	global_load_b64 v[20:21], v[8:9], off
	v_mov_b64_e32 v[22:23], s[10:11]
	s_wait_xcnt 0x0
	v_add_nc_u64_e32 v[8:9], 8, v[8:9]
	v_lshl_add_u32 v19, s27, 4, v10
	v_lshl_add_u32 v24, s17, 4, v10
	s_add_co_i32 s55, s55, -2
	s_add_co_i32 s27, s27, 2
	s_add_co_i32 s17, s17, 2
	s_mov_b32 s16, s52
	s_mov_b32 s56, s54
	s_cmp_lg_u32 s55, 0
	s_wait_loadcnt 0x0
	v_pk_mul_f32 v[20:21], v[22:23], v[20:21]
	ds_store_b32 v19, v20
	ds_store_b32 v24, v21
	s_cbranch_scc1 .LBB5_16
; %bb.17:                               ;   in Loop: Header=BB5_3 Depth=1
	s_and_b32 vcc_lo, exec_lo, s56
	s_cbranch_vccnz .LBB5_19
	s_branch .LBB5_21
.LBB5_18:                               ;   in Loop: Header=BB5_3 Depth=1
	s_mov_b32 s16, 0
	s_cbranch_execz .LBB5_21
.LBB5_19:                               ;   in Loop: Header=BB5_3 Depth=1
	s_mov_b32 s17, s3
	v_lshl_add_u32 v19, s16, 4, v10
	s_mul_u64 s[56:57], s[12:13], s[16:17]
	s_sub_co_i32 s16, s20, s16
	s_add_nc_u64 s[56:57], s[56:57], s[14:15]
	s_delay_alu instid0(SALU_CYCLE_1)
	v_add_nc_u64_e32 v[8:9], s[56:57], v[4:5]
.LBB5_20:                               ;   Parent Loop BB5_3 Depth=1
                                        ; =>  This Inner Loop Header: Depth=2
	global_load_b32 v20, v[8:9], off
	s_wait_xcnt 0x0
	v_add_nc_u64_e32 v[8:9], s[12:13], v[8:9]
	s_add_co_i32 s16, s16, -1
	s_delay_alu instid0(SALU_CYCLE_1)
	s_cmp_lg_u32 s16, 0
	s_wait_loadcnt 0x0
	v_mul_f32_e32 v20, s21, v20
	ds_store_b32 v19, v20
	v_add_nc_u32_e32 v19, 16, v19
	s_cbranch_scc1 .LBB5_20
.LBB5_21:                               ;   in Loop: Header=BB5_3 Depth=1
	s_or_b32 exec_lo, exec_lo, s26
	s_delay_alu instid0(SALU_CYCLE_1)
	s_and_b32 vcc_lo, exec_lo, s33
	s_mov_b32 s16, -1
	s_wait_dscnt 0x0
	; wave barrier
	s_cbranch_vccz .LBB5_66
; %bb.22:                               ;   in Loop: Header=BB5_3 Depth=1
	s_and_b32 vcc_lo, exec_lo, s31
	s_cbranch_vccz .LBB5_49
; %bb.23:                               ;   in Loop: Header=BB5_3 Depth=1
	v_cmp_ne_u32_e32 vcc_lo, 1, v11
	s_cbranch_vccnz .LBB5_32
; %bb.24:                               ;   in Loop: Header=BB5_3 Depth=1
	s_and_b32 vcc_lo, exec_lo, s34
	s_mov_b32 s16, 0
	s_cbranch_vccz .LBB5_26
; %bb.25:                               ;   in Loop: Header=BB5_3 Depth=1
	ds_load_2addr_b32 v[8:9], v10 offset1:4
	ds_load_b128 v[20:23], v3
	ds_load_2addr_b32 v[24:25], v3 offset0:5 offset1:6
	s_mov_b32 s16, 4
	s_wait_dscnt 0x1
	v_div_scale_f32 v19, null, v20, v20, v8
	v_div_scale_f32 v28, vcc_lo, v8, v20, v8
	s_delay_alu instid0(VALU_DEP_2) | instskip(SKIP_1) | instid1(TRANS32_DEP_1)
	v_rcp_f32_e32 v26, v19
	v_nop
	v_fma_f32 v27, -v19, v26, 1.0
	s_delay_alu instid0(VALU_DEP_1) | instskip(NEXT) | instid1(VALU_DEP_1)
	v_fmac_f32_e32 v26, v27, v26
	v_mul_f32_e32 v27, v28, v26
	s_delay_alu instid0(VALU_DEP_1) | instskip(NEXT) | instid1(VALU_DEP_1)
	v_fma_f32 v29, -v19, v27, v28
	v_fmac_f32_e32 v27, v29, v26
	s_delay_alu instid0(VALU_DEP_1) | instskip(NEXT) | instid1(VALU_DEP_1)
	v_fma_f32 v19, -v19, v27, v28
	v_div_fmas_f32 v19, v19, v26, v27
	s_delay_alu instid0(VALU_DEP_1) | instskip(NEXT) | instid1(VALU_DEP_1)
	v_div_fixup_f32 v19, v19, v20, v8
	v_fma_f32 v26, -v19, v21, v9
	s_wait_dscnt 0x0
	s_delay_alu instid0(VALU_DEP_1) | instskip(SKIP_1) | instid1(VALU_DEP_2)
	v_div_scale_f32 v27, null, v24, v24, v26
	v_div_scale_f32 v29, vcc_lo, v26, v24, v26
	v_rcp_f32_e32 v28, v27
	v_nop
	s_delay_alu instid0(TRANS32_DEP_1) | instskip(NEXT) | instid1(VALU_DEP_1)
	v_fma_f32 v8, -v27, v28, 1.0
	v_fmac_f32_e32 v28, v8, v28
	ds_load_2addr_b32 v[8:9], v10 offset0:8 offset1:12
	v_mul_f32_e32 v30, v29, v28
	s_delay_alu instid0(VALU_DEP_1) | instskip(NEXT) | instid1(VALU_DEP_1)
	v_fma_f32 v20, -v27, v30, v29
	v_fmac_f32_e32 v30, v20, v28
	ds_load_b64 v[20:21], v3 offset:40
	s_wait_dscnt 0x1
	v_fma_f32 v8, -v19, v22, v8
	v_fma_f32 v27, -v27, v30, v29
	;; [unrolled: 1-line block ×3, first 2 shown]
	s_delay_alu instid0(VALU_DEP_2) | instskip(NEXT) | instid1(VALU_DEP_1)
	v_div_fmas_f32 v27, v27, v28, v30
	v_div_fixup_f32 v22, v27, v24, v26
	ds_load_b32 v24, v3 offset:60
	ds_load_b32 v29, v3 offset:28
	v_fma_f32 v8, -v22, v25, v8
	ds_store_2addr_b32 v10, v19, v22 offset1:4
	s_wait_dscnt 0x3
	v_div_scale_f32 v25, null, v20, v20, v8
	s_delay_alu instid0(VALU_DEP_1) | instskip(SKIP_1) | instid1(TRANS32_DEP_1)
	v_rcp_f32_e32 v26, v25
	v_nop
	v_fma_f32 v27, -v25, v26, 1.0
	s_wait_dscnt 0x1
	s_delay_alu instid0(VALU_DEP_1) | instskip(SKIP_1) | instid1(VALU_DEP_1)
	v_dual_fma_f32 v9, -v22, v29, v9 :: v_dual_fmac_f32 v26, v27, v26
	v_div_scale_f32 v28, vcc_lo, v8, v20, v8
	v_mul_f32_e32 v27, v28, v26
	s_delay_alu instid0(VALU_DEP_1) | instskip(NEXT) | instid1(VALU_DEP_1)
	v_fma_f32 v30, -v25, v27, v28
	v_fmac_f32_e32 v27, v30, v26
	s_delay_alu instid0(VALU_DEP_1) | instskip(NEXT) | instid1(VALU_DEP_1)
	v_fma_f32 v25, -v25, v27, v28
	v_div_fmas_f32 v23, v25, v26, v27
	s_delay_alu instid0(VALU_DEP_1) | instskip(NEXT) | instid1(VALU_DEP_1)
	v_div_fixup_f32 v8, v23, v20, v8
	v_fma_f32 v9, -v8, v21, v9
	s_delay_alu instid0(VALU_DEP_1) | instskip(NEXT) | instid1(VALU_DEP_1)
	v_div_scale_f32 v20, null, v24, v24, v9
	v_rcp_f32_e32 v21, v20
	v_nop
	s_delay_alu instid0(TRANS32_DEP_1) | instskip(NEXT) | instid1(VALU_DEP_1)
	v_fma_f32 v23, -v20, v21, 1.0
	v_fmac_f32_e32 v21, v23, v21
	v_div_scale_f32 v23, vcc_lo, v9, v24, v9
	s_delay_alu instid0(VALU_DEP_1) | instskip(NEXT) | instid1(VALU_DEP_1)
	v_mul_f32_e32 v25, v23, v21
	v_fma_f32 v26, -v20, v25, v23
	s_delay_alu instid0(VALU_DEP_1) | instskip(NEXT) | instid1(VALU_DEP_1)
	v_fmac_f32_e32 v25, v26, v21
	v_fma_f32 v20, -v20, v25, v23
	s_delay_alu instid0(VALU_DEP_1) | instskip(NEXT) | instid1(VALU_DEP_1)
	v_div_fmas_f32 v20, v20, v21, v25
	v_div_fixup_f32 v9, v20, v24, v9
	ds_store_2addr_b32 v10, v8, v9 offset0:8 offset1:12
.LBB5_26:                               ;   in Loop: Header=BB5_3 Depth=1
	s_cmp_ge_i32 s16, s29
	s_cbranch_scc1 .LBB5_31
; %bb.27:                               ;   in Loop: Header=BB5_3 Depth=1
	s_lshl_b32 s17, s16, 2
	s_branch .LBB5_29
.LBB5_28:                               ;   in Loop: Header=BB5_29 Depth=2
	s_lshl_b32 s27, s16, 2
	s_add_co_i32 s16, s16, 1
	s_add_co_i32 s26, s27, s26
	;; [unrolled: 1-line block ×3, first 2 shown]
	v_mov_b32_e32 v19, s26
	s_cmp_ge_i32 s16, s29
	ds_load_b32 v19, v19
	s_wait_dscnt 0x0
	v_div_scale_f32 v20, null, v19, v19, v9
	s_delay_alu instid0(VALU_DEP_1) | instskip(SKIP_1) | instid1(TRANS32_DEP_1)
	v_rcp_f32_e32 v21, v20
	v_nop
	v_fma_f32 v22, -v20, v21, 1.0
	s_delay_alu instid0(VALU_DEP_1) | instskip(SKIP_1) | instid1(VALU_DEP_1)
	v_fmac_f32_e32 v21, v22, v21
	v_div_scale_f32 v22, vcc_lo, v9, v19, v9
	v_mul_f32_e32 v23, v22, v21
	s_delay_alu instid0(VALU_DEP_1) | instskip(NEXT) | instid1(VALU_DEP_1)
	v_fma_f32 v24, -v20, v23, v22
	v_fmac_f32_e32 v23, v24, v21
	s_delay_alu instid0(VALU_DEP_1) | instskip(NEXT) | instid1(VALU_DEP_1)
	v_fma_f32 v20, -v20, v23, v22
	v_div_fmas_f32 v20, v20, v21, v23
	s_delay_alu instid0(VALU_DEP_1)
	v_div_fixup_f32 v9, v20, v19, v9
	ds_store_b32 v8, v9
	s_cbranch_scc1 .LBB5_31
.LBB5_29:                               ;   Parent Loop BB5_3 Depth=1
                                        ; =>  This Loop Header: Depth=2
                                        ;       Child Loop BB5_30 Depth 3
	s_lshl_b32 s26, s16, 4
	s_cmp_eq_u32 s16, 0
	v_dual_mov_b32 v19, v10 :: v_dual_add_nc_u32 v8, s26, v10
	s_mov_b32 s27, s17
	s_mov_b32 s55, s16
	ds_load_b32 v9, v8
	s_cbranch_scc1 .LBB5_28
.LBB5_30:                               ;   Parent Loop BB5_3 Depth=1
                                        ;     Parent Loop BB5_29 Depth=2
                                        ; =>    This Inner Loop Header: Depth=3
	v_mov_b32_e32 v20, s27
	s_add_co_i32 s55, s55, -1
	s_add_co_i32 s27, s27, 16
	s_cmp_eq_u32 s55, 0
	ds_load_b32 v21, v19
	ds_load_b32 v20, v20
	s_wait_dscnt 0x0
	v_dual_add_nc_u32 v19, 16, v19 :: v_dual_fma_f32 v9, -v21, v20, v9
	s_cbranch_scc0 .LBB5_30
	s_branch .LBB5_28
.LBB5_31:                               ;   in Loop: Header=BB5_3 Depth=1
	s_mov_b32 s16, 0
.LBB5_32:                               ;   in Loop: Header=BB5_3 Depth=1
	s_delay_alu instid0(SALU_CYCLE_1)
	s_and_b32 vcc_lo, exec_lo, s16
	s_cbranch_vccz .LBB5_48
; %bb.33:                               ;   in Loop: Header=BB5_3 Depth=1
	s_and_b32 vcc_lo, exec_lo, s34
	s_mov_b32 s17, s30
	s_cbranch_vccz .LBB5_35
; %bb.34:                               ;   in Loop: Header=BB5_3 Depth=1
	v_dual_mov_b32 v8, s42 :: v_dual_mov_b32 v20, s37
	s_mov_b32 s17, s46
	ds_load_b32 v19, v12
	ds_load_2addr_b32 v[8:9], v8 offset1:1
	ds_load_b32 v21, v13
	ds_load_b32 v24, v14
	;; [unrolled: 1-line block ×4, first 2 shown]
	s_wait_dscnt 0x4
	v_div_scale_f32 v20, null, v9, v9, v19
	v_div_scale_f32 v27, vcc_lo, v19, v9, v19
	s_delay_alu instid0(VALU_DEP_2) | instskip(SKIP_1) | instid1(TRANS32_DEP_1)
	v_rcp_f32_e32 v22, v20
	v_nop
	v_fma_f32 v23, -v20, v22, 1.0
	s_delay_alu instid0(VALU_DEP_1) | instskip(NEXT) | instid1(VALU_DEP_1)
	v_fmac_f32_e32 v22, v23, v22
	v_mul_f32_e32 v23, v27, v22
	s_delay_alu instid0(VALU_DEP_1) | instskip(NEXT) | instid1(VALU_DEP_1)
	v_fma_f32 v28, -v20, v23, v27
	v_fmac_f32_e32 v23, v28, v22
	s_delay_alu instid0(VALU_DEP_1) | instskip(NEXT) | instid1(VALU_DEP_1)
	v_fma_f32 v20, -v20, v23, v27
	v_div_fmas_f32 v20, v20, v22, v23
	v_mov_b32_e32 v22, s44
	s_delay_alu instid0(VALU_DEP_2) | instskip(SKIP_1) | instid1(VALU_DEP_1)
	v_div_fixup_f32 v19, v20, v9, v19
	s_wait_dscnt 0x3
	v_dual_fma_f32 v27, -v19, v8, v21 :: v_dual_mov_b32 v21, s43
	s_wait_dscnt 0x0
	s_delay_alu instid0(VALU_DEP_1) | instskip(SKIP_1) | instid1(VALU_DEP_2)
	v_div_scale_f32 v28, null, v26, v26, v27
	v_div_scale_f32 v30, vcc_lo, v27, v26, v27
	v_rcp_f32_e32 v29, v28
	v_nop
	s_delay_alu instid0(TRANS32_DEP_1) | instskip(NEXT) | instid1(VALU_DEP_1)
	v_fma_f32 v8, -v28, v29, 1.0
	v_dual_fmac_f32 v29, v8, v29 :: v_dual_mov_b32 v8, s41
	s_delay_alu instid0(VALU_DEP_1) | instskip(SKIP_2) | instid1(VALU_DEP_1)
	v_mul_f32_e32 v31, v30, v29
	ds_load_2addr_b32 v[8:9], v8 offset1:1
	v_fma_f32 v20, -v28, v31, v30
	v_fmac_f32_e32 v31, v20, v29
	ds_load_2addr_b32 v[20:21], v21 offset1:1
	ds_load_2addr_b32 v[22:23], v22 offset1:1
	v_dual_fma_f32 v28, -v28, v31, v30 :: v_dual_mov_b32 v30, s45
	s_wait_dscnt 0x2
	v_fma_f32 v9, -v19, v9, v24
	s_delay_alu instid0(VALU_DEP_2) | instskip(SKIP_4) | instid1(VALU_DEP_1)
	v_div_fmas_f32 v28, v28, v29, v31
	ds_load_b32 v29, v30
	v_fma_f32 v8, -v19, v8, v25
	v_div_fixup_f32 v24, v28, v26, v27
	s_wait_dscnt 0x2
	v_dual_fma_f32 v9, -v24, v21, v9 :: v_dual_fma_f32 v8, -v24, v20, v8
	s_wait_dscnt 0x1
	s_delay_alu instid0(VALU_DEP_1) | instskip(NEXT) | instid1(VALU_DEP_1)
	v_div_scale_f32 v21, null, v23, v23, v9
	v_rcp_f32_e32 v26, v21
	v_nop
	s_delay_alu instid0(TRANS32_DEP_1) | instskip(NEXT) | instid1(VALU_DEP_1)
	v_fma_f32 v27, -v21, v26, 1.0
	v_fmac_f32_e32 v26, v27, v26
	v_div_scale_f32 v28, vcc_lo, v9, v23, v9
	s_delay_alu instid0(VALU_DEP_1) | instskip(NEXT) | instid1(VALU_DEP_1)
	v_mul_f32_e32 v27, v28, v26
	v_fma_f32 v30, -v21, v27, v28
	s_delay_alu instid0(VALU_DEP_1) | instskip(NEXT) | instid1(VALU_DEP_1)
	v_fmac_f32_e32 v27, v30, v26
	v_fma_f32 v21, -v21, v27, v28
	s_delay_alu instid0(VALU_DEP_1) | instskip(NEXT) | instid1(VALU_DEP_1)
	v_div_fmas_f32 v21, v21, v26, v27
	v_div_fixup_f32 v9, v21, v23, v9
	s_delay_alu instid0(VALU_DEP_1) | instskip(SKIP_1) | instid1(VALU_DEP_1)
	v_fma_f32 v8, -v9, v22, v8
	s_wait_dscnt 0x0
	v_div_scale_f32 v20, null, v29, v29, v8
	s_delay_alu instid0(VALU_DEP_1) | instskip(SKIP_1) | instid1(TRANS32_DEP_1)
	v_rcp_f32_e32 v21, v20
	v_nop
	v_fma_f32 v22, -v20, v21, 1.0
	s_delay_alu instid0(VALU_DEP_1) | instskip(SKIP_1) | instid1(VALU_DEP_1)
	v_fmac_f32_e32 v21, v22, v21
	v_div_scale_f32 v22, vcc_lo, v8, v29, v8
	v_mul_f32_e32 v23, v22, v21
	s_delay_alu instid0(VALU_DEP_1) | instskip(NEXT) | instid1(VALU_DEP_1)
	v_fma_f32 v25, -v20, v23, v22
	v_fmac_f32_e32 v23, v25, v21
	s_delay_alu instid0(VALU_DEP_1) | instskip(NEXT) | instid1(VALU_DEP_1)
	v_fma_f32 v20, -v20, v23, v22
	v_div_fmas_f32 v20, v20, v21, v23
	s_delay_alu instid0(VALU_DEP_1)
	v_div_fixup_f32 v8, v20, v29, v8
	ds_store_b32 v12, v19
	ds_store_b32 v13, v24
	;; [unrolled: 1-line block ×4, first 2 shown]
.LBB5_35:                               ;   in Loop: Header=BB5_3 Depth=1
	s_cmp_lt_i32 s17, 0
	s_cbranch_scc1 .LBB5_48
; %bb.36:                               ;   in Loop: Header=BB5_3 Depth=1
	s_bitcmp1_b32 s17, 0
	s_cselect_b32 s16, -1, 0
	s_delay_alu instid0(SALU_CYCLE_1)
	s_and_b32 vcc_lo, exec_lo, s16
	s_mov_b32 s16, s17
	s_cbranch_vccnz .LBB5_41
; %bb.37:                               ;   in Loop: Header=BB5_3 Depth=1
	s_lshl_b32 s16, s17, 4
	s_cmp_le_i32 s30, s17
	v_add_nc_u32_e32 v8, s16, v10
	ds_load_b32 v9, v8
	s_cbranch_scc1 .LBB5_40
; %bb.38:                               ;   in Loop: Header=BB5_3 Depth=1
	v_mov_b32_e32 v19, v16
	s_lshl_b32 s26, s17, 2
	s_mov_b32 s27, s30
	s_add_co_i32 s26, s18, s26
.LBB5_39:                               ;   Parent Loop BB5_3 Depth=1
                                        ; =>  This Inner Loop Header: Depth=2
	s_delay_alu instid0(SALU_CYCLE_1)
	v_mov_b32_e32 v20, s26
	s_add_co_i32 s27, s27, -1
	s_add_co_i32 s26, s26, -16
	s_cmp_gt_i32 s27, s17
	ds_load_b32 v21, v19
	ds_load_b32 v20, v20
	s_wait_dscnt 0x0
	v_dual_add_nc_u32 v19, -16, v19 :: v_dual_fma_f32 v9, -v21, v20, v9
	s_cbranch_scc1 .LBB5_39
.LBB5_40:                               ;   in Loop: Header=BB5_3 Depth=1
	s_lshl_b32 s26, s17, 2
	s_delay_alu instid0(SALU_CYCLE_1) | instskip(NEXT) | instid1(SALU_CYCLE_1)
	s_add_co_i32 s16, s26, s16
	v_mov_b32_e32 v19, s16
	s_add_co_i32 s16, s17, -1
	ds_load_b32 v19, v19
	s_wait_dscnt 0x0
	v_div_scale_f32 v20, null, v19, v19, v9
	s_delay_alu instid0(VALU_DEP_1) | instskip(SKIP_1) | instid1(TRANS32_DEP_1)
	v_rcp_f32_e32 v21, v20
	v_nop
	v_fma_f32 v22, -v20, v21, 1.0
	s_delay_alu instid0(VALU_DEP_1) | instskip(SKIP_1) | instid1(VALU_DEP_1)
	v_fmac_f32_e32 v21, v22, v21
	v_div_scale_f32 v22, vcc_lo, v9, v19, v9
	v_mul_f32_e32 v23, v22, v21
	s_delay_alu instid0(VALU_DEP_1) | instskip(NEXT) | instid1(VALU_DEP_1)
	v_fma_f32 v24, -v20, v23, v22
	v_fmac_f32_e32 v23, v24, v21
	s_delay_alu instid0(VALU_DEP_1) | instskip(NEXT) | instid1(VALU_DEP_1)
	v_fma_f32 v20, -v20, v23, v22
	v_div_fmas_f32 v20, v20, v21, v23
	s_delay_alu instid0(VALU_DEP_1)
	v_div_fixup_f32 v9, v20, v19, v9
	ds_store_b32 v8, v9
.LBB5_41:                               ;   in Loop: Header=BB5_3 Depth=1
	s_cmp_eq_u32 s17, 0
	s_cbranch_scc1 .LBB5_48
; %bb.42:                               ;   in Loop: Header=BB5_3 Depth=1
	s_lshl_b32 s26, s16, 2
	s_delay_alu instid0(SALU_CYCLE_1)
	s_add_co_i32 s17, s18, s26
	s_add_co_i32 s26, s19, s26
	s_branch .LBB5_44
.LBB5_43:                               ;   in Loop: Header=BB5_44 Depth=2
	s_add_co_i32 s27, s27, s55
	s_add_co_i32 s17, s17, -8
	s_add_co_i32 s27, s27, -4
	s_add_co_i32 s26, s26, -8
	v_mov_b32_e32 v8, s27
	s_add_co_i32 s27, s16, -2
	s_cmp_lt_i32 s16, 2
	s_mov_b32 s16, s27
	ds_load_b32 v8, v8
	s_wait_dscnt 0x0
	v_div_scale_f32 v19, null, v8, v8, v20
	v_div_scale_f32 v23, vcc_lo, v20, v8, v20
	s_delay_alu instid0(VALU_DEP_2) | instskip(SKIP_1) | instid1(TRANS32_DEP_1)
	v_rcp_f32_e32 v21, v19
	v_nop
	v_fma_f32 v22, -v19, v21, 1.0
	s_delay_alu instid0(VALU_DEP_1) | instskip(NEXT) | instid1(VALU_DEP_1)
	v_fmac_f32_e32 v21, v22, v21
	v_mul_f32_e32 v22, v23, v21
	s_delay_alu instid0(VALU_DEP_1) | instskip(NEXT) | instid1(VALU_DEP_1)
	v_fma_f32 v24, -v19, v22, v23
	v_fmac_f32_e32 v22, v24, v21
	s_delay_alu instid0(VALU_DEP_1) | instskip(NEXT) | instid1(VALU_DEP_1)
	v_fma_f32 v19, -v19, v22, v23
	v_div_fmas_f32 v19, v19, v21, v22
	s_delay_alu instid0(VALU_DEP_1)
	v_div_fixup_f32 v8, v19, v8, v20
	ds_store_b32 v9, v8
	s_cbranch_scc1 .LBB5_48
.LBB5_44:                               ;   Parent Loop BB5_3 Depth=1
                                        ; =>  This Loop Header: Depth=2
                                        ;       Child Loop BB5_45 Depth 3
                                        ;       Child Loop BB5_47 Depth 3
	s_lshl_b32 s55, s16, 4
	s_cmp_le_i32 s30, s16
	v_dual_mov_b32 v9, v16 :: v_dual_add_nc_u32 v8, s55, v10
	s_mov_b32 s27, s17
	s_mov_b32 s56, s30
	ds_load_b32 v19, v8
	s_cbranch_scc1 .LBB5_46
.LBB5_45:                               ;   Parent Loop BB5_3 Depth=1
                                        ;     Parent Loop BB5_44 Depth=2
                                        ; =>    This Inner Loop Header: Depth=3
	v_mov_b32_e32 v20, s27
	s_add_co_i32 s56, s56, -1
	s_add_co_i32 s27, s27, -16
	s_cmp_le_i32 s56, s16
	ds_load_b32 v21, v9
	ds_load_b32 v20, v20
	s_wait_dscnt 0x0
	v_dual_add_nc_u32 v9, -16, v9 :: v_dual_fma_f32 v19, -v21, v20, v19
	s_cbranch_scc0 .LBB5_45
.LBB5_46:                               ;   in Loop: Header=BB5_44 Depth=2
	s_lshl_b32 s27, s16, 2
	s_mov_b32 s57, s29
	s_add_co_i32 s56, s27, s55
	s_add_co_i32 s55, s55, -16
	v_mov_b32_e32 v9, s56
	s_cmp_le_i32 s29, s16
	s_mov_b32 s56, s26
	ds_load_b32 v21, v9
	s_wait_dscnt 0x0
	v_div_scale_f32 v22, null, v21, v21, v19
	s_delay_alu instid0(VALU_DEP_1) | instskip(SKIP_1) | instid1(TRANS32_DEP_1)
	v_rcp_f32_e32 v23, v22
	v_nop
	v_fma_f32 v24, -v22, v23, 1.0
	s_delay_alu instid0(VALU_DEP_1) | instskip(SKIP_1) | instid1(VALU_DEP_1)
	v_fmac_f32_e32 v23, v24, v23
	v_div_scale_f32 v24, vcc_lo, v19, v21, v19
	v_dual_add_nc_u32 v9, s55, v10 :: v_dual_mul_f32 v25, v24, v23
	ds_load_b32 v20, v9
	v_fma_f32 v26, -v22, v25, v24
	s_delay_alu instid0(VALU_DEP_1) | instskip(NEXT) | instid1(VALU_DEP_1)
	v_fmac_f32_e32 v25, v26, v23
	v_fma_f32 v22, -v22, v25, v24
	s_delay_alu instid0(VALU_DEP_1) | instskip(NEXT) | instid1(VALU_DEP_1)
	v_div_fmas_f32 v22, v22, v23, v25
	v_div_fixup_f32 v21, v22, v21, v19
	v_mov_b32_e32 v19, v16
	ds_store_b32 v8, v21
	s_cbranch_scc1 .LBB5_43
.LBB5_47:                               ;   Parent Loop BB5_3 Depth=1
                                        ;     Parent Loop BB5_44 Depth=2
                                        ; =>    This Inner Loop Header: Depth=3
	v_mov_b32_e32 v8, s56
	s_add_co_i32 s57, s57, -1
	s_add_co_i32 s56, s56, -16
	s_cmp_gt_i32 s57, s16
	ds_load_b32 v21, v19
	ds_load_b32 v8, v8
	s_wait_dscnt 0x0
	v_dual_add_nc_u32 v19, -16, v19 :: v_dual_fma_f32 v20, -v21, v8, v20
	s_cbranch_scc1 .LBB5_47
	s_branch .LBB5_43
.LBB5_48:                               ;   in Loop: Header=BB5_3 Depth=1
	s_mov_b32 s16, 0
.LBB5_49:                               ;   in Loop: Header=BB5_3 Depth=1
	s_delay_alu instid0(SALU_CYCLE_1)
	s_and_not1_b32 vcc_lo, exec_lo, s16
	s_cbranch_vccnz .LBB5_65
; %bb.50:                               ;   in Loop: Header=BB5_3 Depth=1
	s_and_b32 vcc_lo, exec_lo, s34
	s_mov_b32 s17, s30
	s_cbranch_vccz .LBB5_52
; %bb.51:                               ;   in Loop: Header=BB5_3 Depth=1
	s_add_co_i32 s16, s40, s36
	s_mov_b32 s17, s46
	v_dual_mov_b32 v8, s16 :: v_dual_mov_b32 v21, s47
	s_add_co_i32 s16, s39, s38
	ds_load_b32 v19, v12
	ds_load_b32 v20, v8
	v_mov_b32_e32 v8, s16
	ds_load_b32 v22, v13
	ds_load_b32 v23, v14
	;; [unrolled: 1-line block ×3, first 2 shown]
	ds_load_2addr_b32 v[8:9], v8 offset1:1
	ds_load_b32 v25, v21
	s_wait_dscnt 0x5
	v_div_scale_f32 v21, null, v20, v20, v19
	v_div_scale_f32 v28, vcc_lo, v19, v20, v19
	s_delay_alu instid0(VALU_DEP_2) | instskip(SKIP_1) | instid1(TRANS32_DEP_1)
	v_rcp_f32_e32 v26, v21
	v_nop
	v_fma_f32 v27, -v21, v26, 1.0
	s_delay_alu instid0(VALU_DEP_1) | instskip(NEXT) | instid1(VALU_DEP_1)
	v_fmac_f32_e32 v26, v27, v26
	v_mul_f32_e32 v27, v28, v26
	s_delay_alu instid0(VALU_DEP_1) | instskip(NEXT) | instid1(VALU_DEP_1)
	v_fma_f32 v29, -v21, v27, v28
	v_fmac_f32_e32 v27, v29, v26
	s_delay_alu instid0(VALU_DEP_1) | instskip(NEXT) | instid1(VALU_DEP_1)
	v_fma_f32 v21, -v21, v27, v28
	v_div_fmas_f32 v21, v21, v26, v27
	s_delay_alu instid0(VALU_DEP_1) | instskip(SKIP_1) | instid1(VALU_DEP_1)
	v_div_fixup_f32 v19, v21, v20, v19
	s_wait_dscnt 0x1
	v_fma_f32 v9, -v19, v9, v22
	s_wait_dscnt 0x0
	v_fma_f32 v25, -v19, v25, v23
	s_delay_alu instid0(VALU_DEP_2) | instskip(SKIP_1) | instid1(VALU_DEP_2)
	v_div_scale_f32 v22, null, v8, v8, v9
	v_div_scale_f32 v27, vcc_lo, v9, v8, v9
	v_rcp_f32_e32 v26, v22
	v_nop
	s_delay_alu instid0(TRANS32_DEP_1) | instskip(NEXT) | instid1(VALU_DEP_1)
	v_fma_f32 v20, -v22, v26, 1.0
	v_dual_fmac_f32 v26, v20, v26 :: v_dual_mov_b32 v20, s24
	s_delay_alu instid0(VALU_DEP_1) | instskip(SKIP_2) | instid1(VALU_DEP_1)
	v_mul_f32_e32 v28, v27, v26
	ds_load_2addr_b32 v[20:21], v20 offset1:1
	v_fma_f32 v29, -v22, v28, v27
	v_fmac_f32_e32 v28, v29, v26
	s_delay_alu instid0(VALU_DEP_1) | instskip(NEXT) | instid1(VALU_DEP_1)
	v_dual_fma_f32 v22, -v22, v28, v27 :: v_dual_mov_b32 v27, s25
	v_div_fmas_f32 v22, v22, v26, v28
	v_mov_b32_e32 v26, s48
	s_delay_alu instid0(VALU_DEP_2) | instskip(SKIP_4) | instid1(VALU_DEP_1)
	v_div_fixup_f32 v28, v22, v8, v9
	ds_load_2addr_b32 v[8:9], v26 offset1:1
	ds_load_2addr_b32 v[22:23], v27 offset1:1
	s_wait_dscnt 0x2
	v_fma_f32 v21, -v28, v21, v25
	v_div_scale_f32 v25, null, v20, v20, v21
	s_delay_alu instid0(VALU_DEP_1) | instskip(SKIP_2) | instid1(TRANS32_DEP_1)
	v_rcp_f32_e32 v26, v25
	s_wait_dscnt 0x1
	v_fma_f32 v9, -v19, v9, v24
	v_fma_f32 v27, -v25, v26, 1.0
	s_delay_alu instid0(VALU_DEP_1) | instskip(SKIP_1) | instid1(VALU_DEP_1)
	v_dual_fma_f32 v8, -v28, v8, v9 :: v_dual_fmac_f32 v26, v27, v26
	v_div_scale_f32 v29, vcc_lo, v21, v20, v21
	v_mul_f32_e32 v27, v29, v26
	s_delay_alu instid0(VALU_DEP_1) | instskip(NEXT) | instid1(VALU_DEP_1)
	v_fma_f32 v30, -v25, v27, v29
	v_fmac_f32_e32 v27, v30, v26
	s_delay_alu instid0(VALU_DEP_1) | instskip(NEXT) | instid1(VALU_DEP_1)
	v_fma_f32 v25, -v25, v27, v29
	v_div_fmas_f32 v24, v25, v26, v27
	s_delay_alu instid0(VALU_DEP_1) | instskip(SKIP_1) | instid1(VALU_DEP_1)
	v_div_fixup_f32 v9, v24, v20, v21
	s_wait_dscnt 0x0
	v_fma_f32 v8, -v9, v23, v8
	s_delay_alu instid0(VALU_DEP_1) | instskip(NEXT) | instid1(VALU_DEP_1)
	v_div_scale_f32 v20, null, v22, v22, v8
	v_rcp_f32_e32 v21, v20
	v_nop
	s_delay_alu instid0(TRANS32_DEP_1) | instskip(NEXT) | instid1(VALU_DEP_1)
	v_fma_f32 v23, -v20, v21, 1.0
	v_fmac_f32_e32 v21, v23, v21
	v_div_scale_f32 v23, vcc_lo, v8, v22, v8
	s_delay_alu instid0(VALU_DEP_1) | instskip(NEXT) | instid1(VALU_DEP_1)
	v_mul_f32_e32 v24, v23, v21
	v_fma_f32 v25, -v20, v24, v23
	s_delay_alu instid0(VALU_DEP_1) | instskip(NEXT) | instid1(VALU_DEP_1)
	v_fmac_f32_e32 v24, v25, v21
	v_fma_f32 v20, -v20, v24, v23
	s_delay_alu instid0(VALU_DEP_1) | instskip(NEXT) | instid1(VALU_DEP_1)
	v_div_fmas_f32 v20, v20, v21, v24
	v_div_fixup_f32 v8, v20, v22, v8
	ds_store_b32 v12, v19
	ds_store_b32 v13, v28
	;; [unrolled: 1-line block ×4, first 2 shown]
.LBB5_52:                               ;   in Loop: Header=BB5_3 Depth=1
	s_cmp_lt_i32 s17, 0
	s_cbranch_scc1 .LBB5_65
; %bb.53:                               ;   in Loop: Header=BB5_3 Depth=1
	s_bitcmp1_b32 s17, 0
	s_cselect_b32 s16, -1, 0
	s_delay_alu instid0(SALU_CYCLE_1)
	s_and_b32 vcc_lo, exec_lo, s16
	s_mov_b32 s16, s17
	s_cbranch_vccnz .LBB5_58
; %bb.54:                               ;   in Loop: Header=BB5_3 Depth=1
	v_lshl_add_u32 v8, s17, 4, v10
	s_cmp_le_i32 s30, s17
	ds_load_b32 v9, v8
	s_cbranch_scc1 .LBB5_57
; %bb.55:                               ;   in Loop: Header=BB5_3 Depth=1
	v_mov_b32_e32 v19, v16
	s_lshl_b32 s16, s17, 4
	s_mov_b32 s26, s30
	s_add_co_i32 s16, s22, s16
.LBB5_56:                               ;   Parent Loop BB5_3 Depth=1
                                        ; =>  This Inner Loop Header: Depth=2
	s_delay_alu instid0(SALU_CYCLE_1)
	v_mov_b32_e32 v20, s16
	s_add_co_i32 s26, s26, -1
	s_add_co_i32 s16, s16, -4
	s_cmp_gt_u32 s26, s17
	ds_load_b32 v21, v19
	ds_load_b32 v20, v20
	s_wait_dscnt 0x0
	v_dual_add_nc_u32 v19, -16, v19 :: v_dual_fma_f32 v9, -v21, v20, v9
	s_cbranch_scc1 .LBB5_56
.LBB5_57:                               ;   in Loop: Header=BB5_3 Depth=1
	s_mul_i32 s16, s17, 20
	s_delay_alu instid0(SALU_CYCLE_1) | instskip(SKIP_4) | instid1(VALU_DEP_1)
	v_mov_b32_e32 v19, s16
	s_add_co_i32 s16, s17, -1
	ds_load_b32 v19, v19
	s_wait_dscnt 0x0
	v_div_scale_f32 v20, null, v19, v19, v9
	v_rcp_f32_e32 v21, v20
	v_nop
	s_delay_alu instid0(TRANS32_DEP_1) | instskip(NEXT) | instid1(VALU_DEP_1)
	v_fma_f32 v22, -v20, v21, 1.0
	v_fmac_f32_e32 v21, v22, v21
	v_div_scale_f32 v22, vcc_lo, v9, v19, v9
	s_delay_alu instid0(VALU_DEP_1) | instskip(NEXT) | instid1(VALU_DEP_1)
	v_mul_f32_e32 v23, v22, v21
	v_fma_f32 v24, -v20, v23, v22
	s_delay_alu instid0(VALU_DEP_1) | instskip(NEXT) | instid1(VALU_DEP_1)
	v_fmac_f32_e32 v23, v24, v21
	v_fma_f32 v20, -v20, v23, v22
	s_delay_alu instid0(VALU_DEP_1) | instskip(NEXT) | instid1(VALU_DEP_1)
	v_div_fmas_f32 v20, v20, v21, v23
	v_div_fixup_f32 v9, v20, v19, v9
	ds_store_b32 v8, v9
.LBB5_58:                               ;   in Loop: Header=BB5_3 Depth=1
	s_cmp_eq_u32 s17, 0
	s_cbranch_scc1 .LBB5_65
; %bb.59:                               ;   in Loop: Header=BB5_3 Depth=1
	s_lshl_b32 s26, s16, 4
	s_delay_alu instid0(SALU_CYCLE_1)
	s_add_co_i32 s17, s22, s26
	s_add_co_i32 s26, s23, s26
	s_branch .LBB5_61
.LBB5_60:                               ;   in Loop: Header=BB5_61 Depth=2
	s_sub_co_i32 s55, s55, 20
	s_add_co_i32 s16, s16, -2
	v_mov_b32_e32 v8, s55
	s_sub_co_i32 s17, s17, 32
	s_sub_co_i32 s26, s26, 32
	s_cmp_eq_u32 s27, 0
	ds_load_b32 v8, v8
	s_wait_dscnt 0x0
	v_div_scale_f32 v19, null, v8, v8, v20
	v_div_scale_f32 v23, vcc_lo, v20, v8, v20
	s_delay_alu instid0(VALU_DEP_2) | instskip(SKIP_1) | instid1(TRANS32_DEP_1)
	v_rcp_f32_e32 v21, v19
	v_nop
	v_fma_f32 v22, -v19, v21, 1.0
	s_delay_alu instid0(VALU_DEP_1) | instskip(NEXT) | instid1(VALU_DEP_1)
	v_fmac_f32_e32 v21, v22, v21
	v_mul_f32_e32 v22, v23, v21
	s_delay_alu instid0(VALU_DEP_1) | instskip(NEXT) | instid1(VALU_DEP_1)
	v_fma_f32 v24, -v19, v22, v23
	v_fmac_f32_e32 v22, v24, v21
	s_delay_alu instid0(VALU_DEP_1) | instskip(NEXT) | instid1(VALU_DEP_1)
	v_fma_f32 v19, -v19, v22, v23
	v_div_fmas_f32 v19, v19, v21, v22
	s_delay_alu instid0(VALU_DEP_1)
	v_div_fixup_f32 v8, v19, v8, v20
	ds_store_b32 v9, v8
	s_cbranch_scc1 .LBB5_65
.LBB5_61:                               ;   Parent Loop BB5_3 Depth=1
                                        ; =>  This Loop Header: Depth=2
                                        ;       Child Loop BB5_62 Depth 3
                                        ;       Child Loop BB5_64 Depth 3
	v_lshl_add_u32 v8, s16, 4, v10
	v_mov_b32_e32 v9, v16
	s_cmp_le_i32 s30, s16
	s_mov_b32 s27, s17
	s_mov_b32 s55, s30
	ds_load_b32 v19, v8
	s_cbranch_scc1 .LBB5_63
.LBB5_62:                               ;   Parent Loop BB5_3 Depth=1
                                        ;     Parent Loop BB5_61 Depth=2
                                        ; =>    This Inner Loop Header: Depth=3
	v_mov_b32_e32 v20, s27
	s_add_co_i32 s55, s55, -1
	s_add_co_i32 s27, s27, -4
	s_cmp_le_u32 s55, s16
	ds_load_b32 v21, v9
	ds_load_b32 v20, v20
	s_wait_dscnt 0x0
	v_dual_add_nc_u32 v9, -16, v9 :: v_dual_fma_f32 v19, -v21, v20, v19
	s_cbranch_scc0 .LBB5_62
.LBB5_63:                               ;   in Loop: Header=BB5_61 Depth=2
	s_mul_i32 s55, s16, 20
	s_add_co_i32 s27, s16, -1
	v_mov_b32_e32 v9, s55
	s_cmp_le_i32 s29, s16
	s_mov_b32 s56, s26
	s_mov_b32 s57, s30
	ds_load_b32 v21, v9
	v_lshl_add_u32 v9, s27, 4, v10
	ds_load_b32 v20, v9
	s_wait_dscnt 0x1
	v_div_scale_f32 v22, null, v21, v21, v19
	s_delay_alu instid0(VALU_DEP_1) | instskip(SKIP_1) | instid1(TRANS32_DEP_1)
	v_rcp_f32_e32 v23, v22
	v_nop
	v_fma_f32 v24, -v22, v23, 1.0
	s_delay_alu instid0(VALU_DEP_1) | instskip(SKIP_1) | instid1(VALU_DEP_1)
	v_fmac_f32_e32 v23, v24, v23
	v_div_scale_f32 v24, vcc_lo, v19, v21, v19
	v_mul_f32_e32 v25, v24, v23
	s_delay_alu instid0(VALU_DEP_1) | instskip(NEXT) | instid1(VALU_DEP_1)
	v_fma_f32 v26, -v22, v25, v24
	v_fmac_f32_e32 v25, v26, v23
	s_delay_alu instid0(VALU_DEP_1) | instskip(NEXT) | instid1(VALU_DEP_1)
	v_fma_f32 v22, -v22, v25, v24
	v_div_fmas_f32 v22, v22, v23, v25
	s_delay_alu instid0(VALU_DEP_1)
	v_div_fixup_f32 v21, v22, v21, v19
	v_mov_b32_e32 v19, v16
	ds_store_b32 v8, v21
	s_cbranch_scc1 .LBB5_60
.LBB5_64:                               ;   Parent Loop BB5_3 Depth=1
                                        ;     Parent Loop BB5_61 Depth=2
                                        ; =>    This Inner Loop Header: Depth=3
	v_mov_b32_e32 v8, s56
	s_add_co_i32 s57, s57, -1
	s_add_co_i32 s56, s56, -4
	s_cmp_gt_u32 s57, s27
	ds_load_b32 v21, v19
	ds_load_b32 v8, v8
	s_wait_dscnt 0x0
	v_dual_add_nc_u32 v19, -16, v19 :: v_dual_fma_f32 v20, -v21, v8, v20
	s_cbranch_scc1 .LBB5_64
	s_branch .LBB5_60
.LBB5_65:                               ;   in Loop: Header=BB5_3 Depth=1
	s_mov_b32 s16, 0
.LBB5_66:                               ;   in Loop: Header=BB5_3 Depth=1
	s_delay_alu instid0(SALU_CYCLE_1)
	s_and_not1_b32 vcc_lo, exec_lo, s16
	s_cbranch_vccnz .LBB5_74
; %bb.67:                               ;   in Loop: Header=BB5_3 Depth=1
	s_and_b32 vcc_lo, exec_lo, s34
	s_mov_b32 s16, 0
	s_cbranch_vccz .LBB5_69
; %bb.68:                               ;   in Loop: Header=BB5_3 Depth=1
	ds_load_2addr_b32 v[8:9], v10 offset1:4
	ds_load_b32 v19, v3
	ds_load_b64 v[20:21], v3 offset:16
	ds_load_b96 v[22:24], v3 offset:32
	s_mov_b32 s16, 4
	s_wait_dscnt 0x2
	v_div_scale_f32 v25, null, v19, v19, v8
	v_div_scale_f32 v28, vcc_lo, v8, v19, v8
	s_delay_alu instid0(VALU_DEP_2) | instskip(SKIP_1) | instid1(TRANS32_DEP_1)
	v_rcp_f32_e32 v26, v25
	v_nop
	v_fma_f32 v27, -v25, v26, 1.0
	s_delay_alu instid0(VALU_DEP_1) | instskip(NEXT) | instid1(VALU_DEP_1)
	v_fmac_f32_e32 v26, v27, v26
	v_mul_f32_e32 v27, v28, v26
	s_delay_alu instid0(VALU_DEP_1) | instskip(NEXT) | instid1(VALU_DEP_1)
	v_fma_f32 v29, -v25, v27, v28
	v_fmac_f32_e32 v27, v29, v26
	s_delay_alu instid0(VALU_DEP_1) | instskip(NEXT) | instid1(VALU_DEP_1)
	v_fma_f32 v25, -v25, v27, v28
	v_div_fmas_f32 v25, v25, v26, v27
	s_delay_alu instid0(VALU_DEP_1) | instskip(SKIP_1) | instid1(VALU_DEP_1)
	v_div_fixup_f32 v19, v25, v19, v8
	s_wait_dscnt 0x1
	v_fma_f32 v20, -v19, v20, v9
	s_delay_alu instid0(VALU_DEP_1) | instskip(SKIP_1) | instid1(VALU_DEP_2)
	v_div_scale_f32 v25, null, v21, v21, v20
	v_div_scale_f32 v27, vcc_lo, v20, v21, v20
	v_rcp_f32_e32 v26, v25
	v_nop
	s_delay_alu instid0(TRANS32_DEP_1) | instskip(NEXT) | instid1(VALU_DEP_1)
	v_fma_f32 v8, -v25, v26, 1.0
	v_fmac_f32_e32 v26, v8, v26
	ds_load_2addr_b32 v[8:9], v10 offset0:8 offset1:12
	v_mul_f32_e32 v28, v27, v26
	s_delay_alu instid0(VALU_DEP_1) | instskip(NEXT) | instid1(VALU_DEP_1)
	v_fma_f32 v29, -v25, v28, v27
	v_fmac_f32_e32 v28, v29, v26
	s_wait_dscnt 0x0
	s_delay_alu instid0(VALU_DEP_1) | instskip(NEXT) | instid1(VALU_DEP_1)
	v_dual_fma_f32 v25, -v25, v28, v27 :: v_dual_fma_f32 v8, -v19, v22, v8
	v_div_fmas_f32 v25, v25, v26, v28
	s_delay_alu instid0(VALU_DEP_1) | instskip(NEXT) | instid1(VALU_DEP_1)
	v_div_fixup_f32 v25, v25, v21, v20
	v_fma_f32 v8, -v25, v23, v8
	ds_store_2addr_b32 v10, v19, v25 offset1:4
	v_div_scale_f32 v26, null, v24, v24, v8
	s_delay_alu instid0(VALU_DEP_1) | instskip(SKIP_1) | instid1(TRANS32_DEP_1)
	v_rcp_f32_e32 v27, v26
	v_nop
	v_fma_f32 v20, -v26, v27, 1.0
	s_delay_alu instid0(VALU_DEP_1) | instskip(SKIP_4) | instid1(VALU_DEP_1)
	v_fmac_f32_e32 v27, v20, v27
	ds_load_b128 v[20:23], v3 offset:48
	s_wait_dscnt 0x0
	v_fma_f32 v9, -v19, v20, v9
	v_div_scale_f32 v28, vcc_lo, v8, v24, v8
	v_dual_fma_f32 v9, -v25, v21, v9 :: v_dual_mul_f32 v29, v28, v27
	s_delay_alu instid0(VALU_DEP_1) | instskip(NEXT) | instid1(VALU_DEP_1)
	v_fma_f32 v30, -v26, v29, v28
	v_fmac_f32_e32 v29, v30, v27
	s_delay_alu instid0(VALU_DEP_1) | instskip(NEXT) | instid1(VALU_DEP_1)
	v_fma_f32 v26, -v26, v29, v28
	v_div_fmas_f32 v20, v26, v27, v29
	s_delay_alu instid0(VALU_DEP_1) | instskip(NEXT) | instid1(VALU_DEP_1)
	v_div_fixup_f32 v8, v20, v24, v8
	v_fma_f32 v9, -v8, v22, v9
	s_delay_alu instid0(VALU_DEP_1) | instskip(NEXT) | instid1(VALU_DEP_1)
	v_div_scale_f32 v20, null, v23, v23, v9
	v_rcp_f32_e32 v21, v20
	v_nop
	s_delay_alu instid0(TRANS32_DEP_1) | instskip(NEXT) | instid1(VALU_DEP_1)
	v_fma_f32 v22, -v20, v21, 1.0
	v_fmac_f32_e32 v21, v22, v21
	v_div_scale_f32 v22, vcc_lo, v9, v23, v9
	s_delay_alu instid0(VALU_DEP_1) | instskip(NEXT) | instid1(VALU_DEP_1)
	v_mul_f32_e32 v24, v22, v21
	v_fma_f32 v26, -v20, v24, v22
	s_delay_alu instid0(VALU_DEP_1) | instskip(NEXT) | instid1(VALU_DEP_1)
	v_fmac_f32_e32 v24, v26, v21
	v_fma_f32 v20, -v20, v24, v22
	s_delay_alu instid0(VALU_DEP_1) | instskip(NEXT) | instid1(VALU_DEP_1)
	v_div_fmas_f32 v20, v20, v21, v24
	v_div_fixup_f32 v9, v20, v23, v9
	ds_store_2addr_b32 v10, v8, v9 offset0:8 offset1:12
.LBB5_69:                               ;   in Loop: Header=BB5_3 Depth=1
	s_cmp_ge_i32 s16, s29
	s_cbranch_scc1 .LBB5_74
; %bb.70:                               ;   in Loop: Header=BB5_3 Depth=1
	s_lshl_b32 s17, s16, 4
	s_branch .LBB5_72
.LBB5_71:                               ;   in Loop: Header=BB5_72 Depth=2
	s_mul_i32 s26, s16, 20
	s_add_co_i32 s16, s16, 1
	v_mov_b32_e32 v19, s26
	s_add_co_i32 s17, s17, 16
	s_cmp_ge_i32 s16, s29
	ds_load_b32 v19, v19
	s_wait_dscnt 0x0
	v_div_scale_f32 v20, null, v19, v19, v9
	s_delay_alu instid0(VALU_DEP_1) | instskip(SKIP_1) | instid1(TRANS32_DEP_1)
	v_rcp_f32_e32 v21, v20
	v_nop
	v_fma_f32 v22, -v20, v21, 1.0
	s_delay_alu instid0(VALU_DEP_1) | instskip(SKIP_1) | instid1(VALU_DEP_1)
	v_fmac_f32_e32 v21, v22, v21
	v_div_scale_f32 v22, vcc_lo, v9, v19, v9
	v_mul_f32_e32 v23, v22, v21
	s_delay_alu instid0(VALU_DEP_1) | instskip(NEXT) | instid1(VALU_DEP_1)
	v_fma_f32 v24, -v20, v23, v22
	v_fmac_f32_e32 v23, v24, v21
	s_delay_alu instid0(VALU_DEP_1) | instskip(NEXT) | instid1(VALU_DEP_1)
	v_fma_f32 v20, -v20, v23, v22
	v_div_fmas_f32 v20, v20, v21, v23
	s_delay_alu instid0(VALU_DEP_1)
	v_div_fixup_f32 v9, v20, v19, v9
	ds_store_b32 v8, v9
	s_cbranch_scc1 .LBB5_74
.LBB5_72:                               ;   Parent Loop BB5_3 Depth=1
                                        ; =>  This Loop Header: Depth=2
                                        ;       Child Loop BB5_73 Depth 3
	v_lshl_add_u32 v8, s16, 4, v10
	v_mov_b32_e32 v19, v10
	s_cmp_eq_u32 s16, 0
	s_mov_b32 s26, s17
	s_mov_b32 s27, s16
	ds_load_b32 v9, v8
	s_cbranch_scc1 .LBB5_71
.LBB5_73:                               ;   Parent Loop BB5_3 Depth=1
                                        ;     Parent Loop BB5_72 Depth=2
                                        ; =>    This Inner Loop Header: Depth=3
	v_mov_b32_e32 v20, s26
	s_add_co_i32 s27, s27, -1
	s_add_co_i32 s26, s26, 4
	s_cmp_eq_u32 s27, 0
	ds_load_b32 v21, v19
	ds_load_b32 v20, v20
	s_wait_dscnt 0x0
	v_dual_add_nc_u32 v19, 16, v19 :: v_dual_fma_f32 v9, -v21, v20, v9
	s_cbranch_scc0 .LBB5_73
	s_branch .LBB5_71
.LBB5_74:                               ;   in Loop: Header=BB5_3 Depth=1
	s_and_saveexec_b32 s26, s35
	s_cbranch_execz .LBB5_2
; %bb.75:                               ;   in Loop: Header=BB5_3 Depth=1
	s_and_not1_b32 vcc_lo, exec_lo, s53
	s_cbranch_vccnz .LBB5_79
; %bb.76:                               ;   in Loop: Header=BB5_3 Depth=1
	s_mov_b32 s17, 1
	s_mov_b32 s27, 0
	s_mov_b32 s55, s52
.LBB5_77:                               ;   Parent Loop BB5_3 Depth=1
                                        ; =>  This Inner Loop Header: Depth=2
	v_lshl_add_u32 v8, s27, 4, v10
	v_lshl_add_u32 v9, s17, 4, v10
	s_add_co_i32 s55, s55, -2
	s_add_co_i32 s27, s27, 2
	s_add_co_i32 s17, s17, 2
	ds_load_b32 v8, v8
	ds_load_b32 v9, v9
	s_mov_b32 s16, s52
	s_cmp_lg_u32 s55, 0
	s_mov_b32 s56, s54
	s_wait_dscnt 0x0
	global_store_b64 v[6:7], v[8:9], off
	s_wait_xcnt 0x0
	v_add_nc_u64_e32 v[6:7], 8, v[6:7]
	s_cbranch_scc1 .LBB5_77
; %bb.78:                               ;   in Loop: Header=BB5_3 Depth=1
	s_and_b32 vcc_lo, exec_lo, s56
	s_cbranch_vccz .LBB5_2
	s_branch .LBB5_80
.LBB5_79:                               ;   in Loop: Header=BB5_3 Depth=1
	s_mov_b32 s16, 0
	s_cbranch_execz .LBB5_2
.LBB5_80:                               ;   in Loop: Header=BB5_3 Depth=1
	s_mov_b32 s17, s3
	v_lshl_add_u32 v8, s16, 4, v10
	s_mul_u64 s[56:57], s[12:13], s[16:17]
	s_delay_alu instid0(SALU_CYCLE_1) | instskip(NEXT) | instid1(SALU_CYCLE_1)
	s_add_nc_u64 s[14:15], s[56:57], s[14:15]
	v_add_nc_u64_e32 v[6:7], s[14:15], v[4:5]
	s_sub_co_i32 s14, s20, s16
.LBB5_81:                               ;   Parent Loop BB5_3 Depth=1
                                        ; =>  This Inner Loop Header: Depth=2
	ds_load_b32 v9, v8
	v_add_nc_u32_e32 v8, 16, v8
	s_add_co_i32 s14, s14, -1
	s_delay_alu instid0(SALU_CYCLE_1)
	s_cmp_lg_u32 s14, 0
	s_wait_dscnt 0x0
	global_store_b32 v[6:7], v9, off
	s_wait_xcnt 0x0
	v_add_nc_u64_e32 v[6:7], s[12:13], v[6:7]
	s_cbranch_scc1 .LBB5_81
	s_branch .LBB5_2
.LBB5_82:
	s_endpgm
	.section	.rodata,"a",@progbits
	.p2align	6, 0x0
	.amdhsa_kernel _ZL31rocblas_trsm_small_right_deviceIffPKfPfLi4EEv13rocblas_fill_18rocblas_operation_17rocblas_diagonal_iiT0_T1_lilT2_lili
		.amdhsa_group_segment_fixed_size 128
		.amdhsa_private_segment_fixed_size 0
		.amdhsa_kernarg_size 352
		.amdhsa_user_sgpr_count 2
		.amdhsa_user_sgpr_dispatch_ptr 0
		.amdhsa_user_sgpr_queue_ptr 0
		.amdhsa_user_sgpr_kernarg_segment_ptr 1
		.amdhsa_user_sgpr_dispatch_id 0
		.amdhsa_user_sgpr_kernarg_preload_length 0
		.amdhsa_user_sgpr_kernarg_preload_offset 0
		.amdhsa_user_sgpr_private_segment_size 0
		.amdhsa_wavefront_size32 1
		.amdhsa_uses_dynamic_stack 0
		.amdhsa_enable_private_segment 0
		.amdhsa_system_sgpr_workgroup_id_x 1
		.amdhsa_system_sgpr_workgroup_id_y 0
		.amdhsa_system_sgpr_workgroup_id_z 1
		.amdhsa_system_sgpr_workgroup_info 0
		.amdhsa_system_vgpr_workitem_id 0
		.amdhsa_next_free_vgpr 32
		.amdhsa_next_free_sgpr 58
		.amdhsa_named_barrier_count 0
		.amdhsa_reserve_vcc 1
		.amdhsa_float_round_mode_32 0
		.amdhsa_float_round_mode_16_64 0
		.amdhsa_float_denorm_mode_32 3
		.amdhsa_float_denorm_mode_16_64 3
		.amdhsa_fp16_overflow 0
		.amdhsa_memory_ordered 1
		.amdhsa_forward_progress 1
		.amdhsa_inst_pref_size 45
		.amdhsa_round_robin_scheduling 0
		.amdhsa_exception_fp_ieee_invalid_op 0
		.amdhsa_exception_fp_denorm_src 0
		.amdhsa_exception_fp_ieee_div_zero 0
		.amdhsa_exception_fp_ieee_overflow 0
		.amdhsa_exception_fp_ieee_underflow 0
		.amdhsa_exception_fp_ieee_inexact 0
		.amdhsa_exception_int_div_zero 0
	.end_amdhsa_kernel
	.section	.text._ZL31rocblas_trsm_small_right_deviceIffPKfPfLi4EEv13rocblas_fill_18rocblas_operation_17rocblas_diagonal_iiT0_T1_lilT2_lili,"axG",@progbits,_ZL31rocblas_trsm_small_right_deviceIffPKfPfLi4EEv13rocblas_fill_18rocblas_operation_17rocblas_diagonal_iiT0_T1_lilT2_lili,comdat
.Lfunc_end5:
	.size	_ZL31rocblas_trsm_small_right_deviceIffPKfPfLi4EEv13rocblas_fill_18rocblas_operation_17rocblas_diagonal_iiT0_T1_lilT2_lili, .Lfunc_end5-_ZL31rocblas_trsm_small_right_deviceIffPKfPfLi4EEv13rocblas_fill_18rocblas_operation_17rocblas_diagonal_iiT0_T1_lilT2_lili
                                        ; -- End function
	.set _ZL31rocblas_trsm_small_right_deviceIffPKfPfLi4EEv13rocblas_fill_18rocblas_operation_17rocblas_diagonal_iiT0_T1_lilT2_lili.num_vgpr, 32
	.set _ZL31rocblas_trsm_small_right_deviceIffPKfPfLi4EEv13rocblas_fill_18rocblas_operation_17rocblas_diagonal_iiT0_T1_lilT2_lili.num_agpr, 0
	.set _ZL31rocblas_trsm_small_right_deviceIffPKfPfLi4EEv13rocblas_fill_18rocblas_operation_17rocblas_diagonal_iiT0_T1_lilT2_lili.numbered_sgpr, 58
	.set _ZL31rocblas_trsm_small_right_deviceIffPKfPfLi4EEv13rocblas_fill_18rocblas_operation_17rocblas_diagonal_iiT0_T1_lilT2_lili.num_named_barrier, 0
	.set _ZL31rocblas_trsm_small_right_deviceIffPKfPfLi4EEv13rocblas_fill_18rocblas_operation_17rocblas_diagonal_iiT0_T1_lilT2_lili.private_seg_size, 0
	.set _ZL31rocblas_trsm_small_right_deviceIffPKfPfLi4EEv13rocblas_fill_18rocblas_operation_17rocblas_diagonal_iiT0_T1_lilT2_lili.uses_vcc, 1
	.set _ZL31rocblas_trsm_small_right_deviceIffPKfPfLi4EEv13rocblas_fill_18rocblas_operation_17rocblas_diagonal_iiT0_T1_lilT2_lili.uses_flat_scratch, 0
	.set _ZL31rocblas_trsm_small_right_deviceIffPKfPfLi4EEv13rocblas_fill_18rocblas_operation_17rocblas_diagonal_iiT0_T1_lilT2_lili.has_dyn_sized_stack, 0
	.set _ZL31rocblas_trsm_small_right_deviceIffPKfPfLi4EEv13rocblas_fill_18rocblas_operation_17rocblas_diagonal_iiT0_T1_lilT2_lili.has_recursion, 0
	.set _ZL31rocblas_trsm_small_right_deviceIffPKfPfLi4EEv13rocblas_fill_18rocblas_operation_17rocblas_diagonal_iiT0_T1_lilT2_lili.has_indirect_call, 0
	.section	.AMDGPU.csdata,"",@progbits
; Kernel info:
; codeLenInByte = 5752
; TotalNumSgprs: 60
; NumVgprs: 32
; ScratchSize: 0
; MemoryBound: 0
; FloatMode: 240
; IeeeMode: 1
; LDSByteSize: 128 bytes/workgroup (compile time only)
; SGPRBlocks: 0
; VGPRBlocks: 1
; NumSGPRsForWavesPerEU: 60
; NumVGPRsForWavesPerEU: 32
; NamedBarCnt: 0
; Occupancy: 16
; WaveLimiterHint : 0
; COMPUTE_PGM_RSRC2:SCRATCH_EN: 0
; COMPUTE_PGM_RSRC2:USER_SGPR: 2
; COMPUTE_PGM_RSRC2:TRAP_HANDLER: 0
; COMPUTE_PGM_RSRC2:TGID_X_EN: 1
; COMPUTE_PGM_RSRC2:TGID_Y_EN: 0
; COMPUTE_PGM_RSRC2:TGID_Z_EN: 1
; COMPUTE_PGM_RSRC2:TIDIG_COMP_CNT: 0
	.section	.text._ZL38rocblas_trsm_small_left_device_sharedBILi8ELi8ELb0EffPKfPfEv13rocblas_fill_18rocblas_operation_17rocblas_diagonal_iiT3_T4_lilT5_lili,"axG",@progbits,_ZL38rocblas_trsm_small_left_device_sharedBILi8ELi8ELb0EffPKfPfEv13rocblas_fill_18rocblas_operation_17rocblas_diagonal_iiT3_T4_lilT5_lili,comdat
	.globl	_ZL38rocblas_trsm_small_left_device_sharedBILi8ELi8ELb0EffPKfPfEv13rocblas_fill_18rocblas_operation_17rocblas_diagonal_iiT3_T4_lilT5_lili ; -- Begin function _ZL38rocblas_trsm_small_left_device_sharedBILi8ELi8ELb0EffPKfPfEv13rocblas_fill_18rocblas_operation_17rocblas_diagonal_iiT3_T4_lilT5_lili
	.p2align	8
	.type	_ZL38rocblas_trsm_small_left_device_sharedBILi8ELi8ELb0EffPKfPfEv13rocblas_fill_18rocblas_operation_17rocblas_diagonal_iiT3_T4_lilT5_lili,@function
_ZL38rocblas_trsm_small_left_device_sharedBILi8ELi8ELb0EffPKfPfEv13rocblas_fill_18rocblas_operation_17rocblas_diagonal_iiT3_T4_lilT5_lili: ; @_ZL38rocblas_trsm_small_left_device_sharedBILi8ELi8ELb0EffPKfPfEv13rocblas_fill_18rocblas_operation_17rocblas_diagonal_iiT3_T4_lilT5_lili
; %bb.0:
	s_load_b32 s18, s[0:1], 0x58
	s_bfe_u32 s2, ttmp6, 0x40014
	s_lshr_b32 s3, ttmp7, 16
	s_add_co_i32 s2, s2, 1
	s_bfe_u32 s4, ttmp6, 0x40008
	s_mul_i32 s2, s3, s2
	s_getreg_b32 s8, hwreg(HW_REG_IB_STS2, 6, 4)
	s_add_co_i32 s4, s4, s2
	s_cmp_eq_u32 s8, 0
	s_cselect_b32 s2, s3, s4
	s_mov_b32 s3, 0
	s_wait_kmcnt 0x0
	s_cmp_ge_u32 s2, s18
	s_cbranch_scc1 .LBB6_62
; %bb.1:
	s_clause 0x3
	s_load_b32 s16, s[0:1], 0x28
	s_load_b96 s[12:14], s[0:1], 0x40
	s_load_b128 s[4:7], s[0:1], 0x4
	s_load_b32 s9, s[0:1], 0x60
	v_dual_mov_b32 v19, 0 :: v_dual_lshlrev_b32 v18, 2, v0
	s_load_b32 s19, s[0:1], 0x14
	v_lshlrev_b32_e32 v10, 5, v0
	s_delay_alu instid0(VALU_DEP_2) | instskip(NEXT) | instid1(VALU_DEP_3)
	v_or_b32_e32 v24, 0x100, v18
	v_dual_mov_b32 v2, v19 :: v_dual_mov_b32 v3, v19
	v_dual_mov_b32 v4, v19 :: v_dual_mov_b32 v5, v19
	;; [unrolled: 1-line block ×3, first 2 shown]
	s_wait_kmcnt 0x0
	s_ashr_i32 s17, s16, 31
	s_delay_alu instid0(SALU_CYCLE_1)
	s_cmp_eq_u64 s[16:17], 1
	s_cselect_b32 s15, -1, 0
	s_bfe_u32 s10, ttmp6, 0x4000c
	s_min_i32 s20, s6, 8
	s_add_co_i32 s10, s10, 1
	s_and_b32 s11, ttmp6, 15
	s_mul_i32 s10, ttmp9, s10
	s_ashr_i32 s33, s14, 31
	s_add_co_i32 s9, s9, -1
	s_add_co_i32 s21, s20, -1
	s_add_co_i32 s11, s11, s10
	s_cmp_eq_u32 s8, 0
	s_cselect_b32 s8, ttmp9, s11
	s_delay_alu instid0(SALU_CYCLE_1) | instskip(NEXT) | instid1(SALU_CYCLE_1)
	s_lshl_b32 s28, s8, 3
	s_sub_co_i32 s7, s7, s28
	s_cmp_ge_u32 s8, s9
	s_load_b128 s[8:11], s[0:1], 0x30
	s_cselect_b32 s7, s7, 8
	s_ashr_i32 s29, s28, 31
	s_cmp_lg_u32 s5, 0x84
	v_cmp_gt_i32_e32 vcc_lo, s7, v0
	s_cselect_b32 s22, -1, 0
	s_cmp_gt_i32 s6, 0
	s_cselect_b32 s5, -1, 0
	s_cmp_lg_u32 s4, 0x6f
	s_cselect_b32 s23, -1, 0
	s_and_b32 s24, vcc_lo, s5
	s_cmp_gt_u32 s20, 1
	s_cselect_b32 s4, -1, 0
	s_and_b32 s25, s20, -2
	s_and_b32 s26, s4, s15
	s_cmp_lg_u32 s20, s25
	s_cselect_b32 s27, -1, 0
	s_lshl_b64 s[4:5], s[28:29], 2
	s_lshl_b64 s[6:7], s[12:13], 2
	v_or_b32_e32 v6, s4, v18
	s_wait_kmcnt 0x0
	s_add_nc_u64 s[6:7], s[10:11], s[6:7]
	s_clause 0x1
	s_load_b128 s[28:31], s[0:1], 0x18
	s_load_b64 s[10:11], s[0:1], 0x50
	s_wait_xcnt 0x0
	v_cmp_gt_i32_e64 s0, s20, v0
	v_mad_nc_u64_u32 v[20:21], v6, s14, s[6:7]
	s_lshl_b32 s1, s20, 5
	s_delay_alu instid0(SALU_CYCLE_1) | instskip(NEXT) | instid1(VALU_DEP_1)
	s_sub_co_i32 s1, s1, 32
	v_mad_u32 v7, s5, s14, v21
	s_lshl_b64 s[4:5], s[8:9], 2
	s_wait_kmcnt 0x0
	s_lshl_b64 s[6:7], s[30:31], 2
	s_lshl_b64 s[10:11], s[10:11], 2
	s_add_nc_u64 s[8:9], s[28:29], s[6:7]
	s_lshl_b64 s[6:7], s[16:17], 2
	v_add_nc_u64_e32 v[0:1], s[8:9], v[18:19]
	s_delay_alu instid0(VALU_DEP_2)
	v_mad_u32 v21, v6, s33, v7
	v_dual_mov_b32 v6, v19 :: v_dual_mov_b32 v7, v19
	v_add_nc_u32_e32 v19, v18, v10
	s_get_pc_i64 s[8:9]
	s_add_nc_u64 s[8:9], s[8:9], __const._ZL38rocblas_trsm_small_left_device_sharedBILi8ELi8ELb0EffPKfPfEv13rocblas_fill_18rocblas_operation_17rocblas_diagonal_iiT3_T4_lilT5_lili.step_sizes@rel64+4
	s_branch .LBB6_3
.LBB6_2:                                ;   in Loop: Header=BB6_3 Depth=1
	s_or_b32 exec_lo, exec_lo, s12
	s_delay_alu instid0(VALU_DEP_1) | instskip(SKIP_4) | instid1(SALU_CYCLE_1)
	v_mov_b64_e32 v[2:3], v[10:11]
	v_mov_b64_e32 v[4:5], v[12:13]
	;; [unrolled: 1-line block ×4, first 2 shown]
	s_add_co_i32 s2, s2, 0x10000
	s_cmp_lt_u32 s2, s18
	s_cbranch_scc0 .LBB6_62
.LBB6_3:                                ; =>This Loop Header: Depth=1
                                        ;     Child Loop BB6_6 Depth 2
                                        ;     Child Loop BB6_10 Depth 2
	;; [unrolled: 1-line block ×4, first 2 shown]
                                        ;       Child Loop BB6_22 Depth 3
                                        ;         Child Loop BB6_23 Depth 4
                                        ;         Child Loop BB6_26 Depth 4
                                        ;           Child Loop BB6_27 Depth 5
                                        ;         Child Loop BB6_32 Depth 4
                                        ;           Child Loop BB6_34 Depth 5
                                        ;     Child Loop BB6_43 Depth 2
                                        ;       Child Loop BB6_44 Depth 3
                                        ;       Child Loop BB6_46 Depth 3
                                        ;         Child Loop BB6_47 Depth 4
                                        ;       Child Loop BB6_52 Depth 3
                                        ;         Child Loop BB6_54 Depth 4
                                        ;     Child Loop BB6_56 Depth 2
                                        ;     Child Loop BB6_61 Depth 2
	s_and_saveexec_b32 s16, s0
	s_cbranch_execz .LBB6_14
; %bb.4:                                ;   in Loop: Header=BB6_3 Depth=1
	s_and_not1_b32 vcc_lo, exec_lo, s26
	s_mul_u64 s[12:13], s[4:5], s[2:3]
	s_cbranch_vccnz .LBB6_8
; %bb.5:                                ;   in Loop: Header=BB6_3 Depth=1
	v_add_nc_u64_e32 v[10:11], s[12:13], v[0:1]
	s_mov_b32 s15, 1
	s_wait_xcnt 0x0
	s_mov_b32 s17, 0
	s_mov_b32 s28, s25
.LBB6_6:                                ;   Parent Loop BB6_3 Depth=1
                                        ; =>  This Inner Loop Header: Depth=2
	global_load_b64 v[12:13], v[10:11], off
	s_wait_xcnt 0x0
	v_add_nc_u64_e32 v[10:11], 8, v[10:11]
	v_lshl_or_b32 v14, s17, 5, v18
	v_lshl_or_b32 v15, s15, 5, v18
	s_add_co_i32 s28, s28, -2
	s_add_co_i32 s17, s17, 2
	s_add_co_i32 s15, s15, 2
	s_mov_b32 s14, s25
	s_mov_b32 s29, s27
	s_cmp_lg_u32 s28, 0
	s_wait_loadcnt 0x0
	ds_store_b32 v14, v12
	ds_store_b32 v15, v13
	s_cbranch_scc1 .LBB6_6
; %bb.7:                                ;   in Loop: Header=BB6_3 Depth=1
	s_and_b32 vcc_lo, exec_lo, s29
	s_cbranch_vccnz .LBB6_9
	s_branch .LBB6_11
.LBB6_8:                                ;   in Loop: Header=BB6_3 Depth=1
	s_mov_b32 s14, 0
	s_cbranch_execz .LBB6_11
.LBB6_9:                                ;   in Loop: Header=BB6_3 Depth=1
	s_mov_b32 s15, s3
	v_lshl_or_b32 v12, s14, 5, v18
	s_mul_u64 s[28:29], s[6:7], s[14:15]
	s_delay_alu instid0(SALU_CYCLE_1) | instskip(NEXT) | instid1(SALU_CYCLE_1)
	s_add_nc_u64 s[12:13], s[28:29], s[12:13]
	v_add_nc_u64_e32 v[10:11], s[12:13], v[0:1]
	s_sub_co_i32 s12, s20, s14
.LBB6_10:                               ;   Parent Loop BB6_3 Depth=1
                                        ; =>  This Inner Loop Header: Depth=2
	global_load_b32 v13, v[10:11], off
	s_wait_xcnt 0x0
	v_add_nc_u64_e32 v[10:11], s[6:7], v[10:11]
	s_add_co_i32 s12, s12, -1
	s_delay_alu instid0(SALU_CYCLE_1)
	s_cmp_eq_u32 s12, 0
	s_wait_loadcnt 0x0
	ds_store_b32 v12, v13
	v_add_nc_u32_e32 v12, 32, v12
	s_cbranch_scc0 .LBB6_10
.LBB6_11:                               ;   in Loop: Header=BB6_3 Depth=1
	v_mov_b32_e32 v10, 1.0
	s_and_b32 vcc_lo, exec_lo, s22
	s_cbranch_vccz .LBB6_13
; %bb.12:                               ;   in Loop: Header=BB6_3 Depth=1
	ds_load_b32 v10, v19
	s_wait_dscnt 0x0
	v_div_scale_f32 v11, null, v10, v10, 1.0
	s_delay_alu instid0(VALU_DEP_1) | instskip(SKIP_1) | instid1(TRANS32_DEP_1)
	v_rcp_f32_e32 v12, v11
	v_nop
	v_fma_f32 v13, -v11, v12, 1.0
	s_delay_alu instid0(VALU_DEP_1) | instskip(SKIP_1) | instid1(VALU_DEP_1)
	v_fmac_f32_e32 v12, v13, v12
	v_div_scale_f32 v13, vcc_lo, 1.0, v10, 1.0
	v_mul_f32_e32 v14, v13, v12
	s_delay_alu instid0(VALU_DEP_1) | instskip(NEXT) | instid1(VALU_DEP_1)
	v_fma_f32 v15, -v11, v14, v13
	v_fmac_f32_e32 v14, v15, v12
	s_delay_alu instid0(VALU_DEP_1) | instskip(NEXT) | instid1(VALU_DEP_1)
	v_fma_f32 v11, -v11, v14, v13
	v_div_fmas_f32 v11, v11, v12, v14
	s_delay_alu instid0(VALU_DEP_1)
	v_div_fixup_f32 v10, v11, v10, 1.0
.LBB6_13:                               ;   in Loop: Header=BB6_3 Depth=1
	ds_store_b32 v19, v10
.LBB6_14:                               ;   in Loop: Header=BB6_3 Depth=1
	s_or_b32 exec_lo, exec_lo, s16
	s_delay_alu instid0(VALU_DEP_3) | instskip(NEXT) | instid1(VALU_DEP_1)
	v_mad_nc_u64_u32 v[22:23], s10, s2, v[20:21]
	v_mad_u32 v23, s11, s2, v23
	s_and_saveexec_b32 s12, s24
	s_cbranch_execz .LBB6_17
; %bb.15:                               ;   in Loop: Header=BB6_3 Depth=1
	s_delay_alu instid0(VALU_DEP_1)
	v_mov_b64_e32 v[10:11], v[22:23]
	v_mov_b32_e32 v12, v24
	s_mov_b32 s13, s20
.LBB6_16:                               ;   Parent Loop BB6_3 Depth=1
                                        ; =>  This Inner Loop Header: Depth=2
	global_load_b32 v13, v[10:11], off
	s_wait_xcnt 0x0
	v_add_nc_u64_e32 v[10:11], 4, v[10:11]
	s_add_co_i32 s13, s13, -1
	s_delay_alu instid0(SALU_CYCLE_1)
	s_cmp_lg_u32 s13, 0
	s_wait_loadcnt 0x0
	v_mul_f32_e32 v13, s19, v13
	ds_store_b32 v12, v13
	v_add_nc_u32_e32 v12, 32, v12
	s_cbranch_scc1 .LBB6_16
.LBB6_17:                               ;   in Loop: Header=BB6_3 Depth=1
	s_or_b32 exec_lo, exec_lo, s12
	s_delay_alu instid0(SALU_CYCLE_1)
	s_and_not1_b32 vcc_lo, exec_lo, s23
	s_mov_b32 s12, -1
	s_wait_dscnt 0x0
	; wave barrier
                                        ; implicit-def: $vgpr10_vgpr11_vgpr12_vgpr13_vgpr14_vgpr15_vgpr16_vgpr17
	s_cbranch_vccnz .LBB6_39
; %bb.18:                               ;   in Loop: Header=BB6_3 Depth=1
	v_mov_b64_e32 v[16:17], v[8:9]
	v_mov_b64_e32 v[14:15], v[6:7]
	;; [unrolled: 1-line block ×4, first 2 shown]
	s_wait_xcnt 0x0
	s_mov_b32 s17, 0
	s_mov_b32 s16, 0
.LBB6_19:                               ;   Parent Loop BB6_3 Depth=1
                                        ; =>  This Loop Header: Depth=2
                                        ;       Child Loop BB6_22 Depth 3
                                        ;         Child Loop BB6_23 Depth 4
                                        ;         Child Loop BB6_26 Depth 4
                                        ;           Child Loop BB6_27 Depth 5
                                        ;         Child Loop BB6_32 Depth 4
                                        ;           Child Loop BB6_34 Depth 5
	s_load_b32 s28, s[8:9], s17 offset:0x0 scale_offset
	s_wait_kmcnt 0x0
	s_add_co_i32 s29, s28, -1
	s_delay_alu instid0(SALU_CYCLE_1) | instskip(NEXT) | instid1(SALU_CYCLE_1)
	s_add_co_i32 s12, s29, s16
	s_cmp_ge_i32 s12, s20
	s_cbranch_scc1 .LBB6_36
; %bb.20:                               ;   in Loop: Header=BB6_19 Depth=2
	s_lshl_b32 s30, s16, 5
	s_max_i32 s31, s28, 1
	v_add_nc_u32_e32 v25, s30, v24
	s_lshl_b32 s33, s28, 5
	s_mul_i32 s34, s16, 36
	s_mul_i32 s35, s28, 36
	s_branch .LBB6_22
.LBB6_21:                               ;   in Loop: Header=BB6_22 Depth=3
	s_add_co_i32 s16, s16, s28
	v_add_nc_u32_e32 v25, s33, v25
	s_add_co_i32 s12, s29, s16
	s_add_co_i32 s30, s30, s33
	;; [unrolled: 1-line block ×3, first 2 shown]
	s_cmp_ge_i32 s12, s20
	s_cbranch_scc1 .LBB6_36
.LBB6_22:                               ;   Parent Loop BB6_3 Depth=1
                                        ;     Parent Loop BB6_19 Depth=2
                                        ; =>    This Loop Header: Depth=3
                                        ;         Child Loop BB6_23 Depth 4
                                        ;         Child Loop BB6_26 Depth 4
                                        ;           Child Loop BB6_27 Depth 5
                                        ;         Child Loop BB6_32 Depth 4
                                        ;           Child Loop BB6_34 Depth 5
	v_mov_b32_e32 v26, v25
	s_mov_b64 s[12:13], 0
.LBB6_23:                               ;   Parent Loop BB6_3 Depth=1
                                        ;     Parent Loop BB6_19 Depth=2
                                        ;       Parent Loop BB6_22 Depth=3
                                        ; =>      This Inner Loop Header: Depth=4
	ds_load_b32 v27, v26
	v_add_nc_u32_e32 v26, 32, v26
	s_mov_b32 m0, s12
	s_add_nc_u64 s[12:13], s[12:13], 1
	s_delay_alu instid0(SALU_CYCLE_1)
	s_cmp_eq_u32 s31, s12
	s_wait_dscnt 0x0
	v_movreld_b32_e32 v10, v27
	s_cbranch_scc0 .LBB6_23
; %bb.24:                               ;   in Loop: Header=BB6_22 Depth=3
	s_cmp_lt_i32 s16, 1
	s_cbranch_scc1 .LBB6_29
; %bb.25:                               ;   in Loop: Header=BB6_22 Depth=3
	s_mov_b32 s14, 0
	s_mov_b32 s15, s30
.LBB6_26:                               ;   Parent Loop BB6_3 Depth=1
                                        ;     Parent Loop BB6_19 Depth=2
                                        ;       Parent Loop BB6_22 Depth=3
                                        ; =>      This Loop Header: Depth=4
                                        ;           Child Loop BB6_27 Depth 5
	v_lshl_add_u32 v26, s14, 5, v24
	s_mov_b64 s[12:13], 0
	s_mov_b32 s36, s15
	ds_load_b32 v26, v26
.LBB6_27:                               ;   Parent Loop BB6_3 Depth=1
                                        ;     Parent Loop BB6_19 Depth=2
                                        ;       Parent Loop BB6_22 Depth=3
                                        ;         Parent Loop BB6_26 Depth=4
                                        ; =>        This Inner Loop Header: Depth=5
	v_mov_b32_e32 v27, s36
	s_mov_b32 m0, s12
	s_add_nc_u64 s[12:13], s[12:13], 1
	v_movrels_b32_e32 v28, v10
	s_add_co_i32 s36, s36, 32
	ds_load_b32 v27, v27
	s_cmp_eq_u32 s31, s12
	s_wait_dscnt 0x0
	v_fma_f32 v27, -v26, v27, v28
	s_delay_alu instid0(VALU_DEP_1)
	v_movreld_b32_e32 v10, v27
	s_cbranch_scc0 .LBB6_27
; %bb.28:                               ;   in Loop: Header=BB6_26 Depth=4
	s_add_co_i32 s14, s14, 1
	s_add_co_i32 s15, s15, 4
	s_cmp_eq_u32 s14, s16
	s_cbranch_scc0 .LBB6_26
.LBB6_29:                               ;   in Loop: Header=BB6_22 Depth=3
	s_lshl_b32 s36, s16, 5
	s_mov_b64 s[12:13], 0
	s_mov_b32 s37, s34
	s_branch .LBB6_32
.LBB6_30:                               ;   in Loop: Header=BB6_32 Depth=4
	s_mov_b32 s39, s16
	s_mov_b64 s[14:15], 0
	s_mov_b32 s38, s36
.LBB6_31:                               ;   in Loop: Header=BB6_32 Depth=4
	s_mov_b32 m0, s14
	s_mul_i32 s14, s39, 36
	v_movrels_b32_e32 v27, v10
	v_mov_b32_e32 v26, s14
	s_add_nc_u64 s[12:13], s[12:13], 1
	s_add_co_i32 s37, s37, 32
	s_cmp_eq_u32 s12, s31
	ds_load_b32 v26, v26
	s_wait_dscnt 0x0
	v_dual_mul_f32 v26, v27, v26 :: v_dual_add_nc_u32 v27, s38, v24
	s_delay_alu instid0(VALU_DEP_1)
	v_movreld_b32_e32 v10, v26
	ds_store_b32 v27, v26
	s_cbranch_scc1 .LBB6_21
.LBB6_32:                               ;   Parent Loop BB6_3 Depth=1
                                        ;     Parent Loop BB6_19 Depth=2
                                        ;       Parent Loop BB6_22 Depth=3
                                        ; =>      This Loop Header: Depth=4
                                        ;           Child Loop BB6_34 Depth 5
	s_cmp_eq_u32 s12, 0
	s_cbranch_scc1 .LBB6_30
; %bb.33:                               ;   in Loop: Header=BB6_32 Depth=4
	s_add_co_i32 s39, s12, s16
	s_mov_b64 s[14:15], 0
	s_lshl_b32 s38, s39, 5
	s_mov_b32 s40, s37
.LBB6_34:                               ;   Parent Loop BB6_3 Depth=1
                                        ;     Parent Loop BB6_19 Depth=2
                                        ;       Parent Loop BB6_22 Depth=3
                                        ;         Parent Loop BB6_32 Depth=4
                                        ; =>        This Inner Loop Header: Depth=5
	s_delay_alu instid0(SALU_CYCLE_1)
	v_mov_b32_e32 v26, s40
	s_mov_b32 m0, s14
	s_add_nc_u64 s[14:15], s[14:15], 1
	v_movrels_b32_e32 v27, v10
	s_mov_b32 m0, s12
	ds_load_b32 v26, v26
	v_movrels_b32_e32 v28, v10
	s_add_co_i32 s40, s40, 4
	s_cmp_eq_u32 s12, s14
	s_wait_dscnt 0x0
	s_delay_alu instid0(VALU_DEP_1) | instskip(NEXT) | instid1(VALU_DEP_1)
	v_fma_f32 v26, -v27, v26, v28
	v_movreld_b32_e32 v10, v26
	s_cbranch_scc0 .LBB6_34
; %bb.35:                               ;   in Loop: Header=BB6_32 Depth=4
	s_mov_b64 s[14:15], s[12:13]
	s_branch .LBB6_31
.LBB6_36:                               ;   in Loop: Header=BB6_19 Depth=2
	s_cmp_lt_i32 s16, s20
	s_cselect_b32 s13, -1, 0
	s_add_co_i32 s12, s17, 1
	s_cmp_lt_u32 s17, 2
	s_cselect_b32 s14, -1, 0
	s_delay_alu instid0(SALU_CYCLE_1) | instskip(NEXT) | instid1(SALU_CYCLE_1)
	s_and_b32 s13, s13, s14
	s_and_b32 vcc_lo, exec_lo, s13
	s_cbranch_vccz .LBB6_38
; %bb.37:                               ;   in Loop: Header=BB6_19 Depth=2
	s_wait_xcnt 0x0
	s_mov_b32 s17, s12
	s_branch .LBB6_19
.LBB6_38:                               ;   in Loop: Header=BB6_3 Depth=1
	s_mov_b32 s12, 0
.LBB6_39:                               ;   in Loop: Header=BB6_3 Depth=1
	s_delay_alu instid0(SALU_CYCLE_1)
	s_and_b32 vcc_lo, exec_lo, s12
	s_cbranch_vccz .LBB6_59
; %bb.40:                               ;   in Loop: Header=BB6_3 Depth=1
	s_wait_xcnt 0x0
	s_mov_b32 s17, 0
	s_mov_b32 s16, s21
	s_load_b32 s28, s[8:9], s17 offset:0x0 scale_offset
	s_wait_kmcnt 0x0
	s_add_co_i32 s29, s28, -1
	s_delay_alu instid0(SALU_CYCLE_1)
	s_cmp_lt_i32 s16, s29
	s_cbranch_scc1 .LBB6_56
.LBB6_41:                               ;   in Loop: Header=BB6_3 Depth=1
	s_lshl_b32 s12, s28, 5
	v_lshl_add_u32 v10, s16, 5, v24
	s_sub_co_i32 s31, 0, s12
	s_lshl_b32 s12, s16, 2
	s_lshl_b32 s13, s28, 2
	s_max_i32 s30, s28, 1
	s_add_co_i32 s33, s1, s12
	s_sub_co_i32 s34, 0, s13
	s_mul_i32 s35, s16, 36
	s_mul_i32 s36, s28, 0xffffffdc
	s_branch .LBB6_43
.LBB6_42:                               ;   in Loop: Header=BB6_43 Depth=2
	v_add_nc_u32_e32 v10, s31, v10
	s_sub_co_i32 s16, s16, s28
	s_add_co_i32 s33, s33, s34
	s_add_co_i32 s35, s35, s36
	s_cmp_lt_i32 s16, s29
	s_cbranch_scc1 .LBB6_56
.LBB6_43:                               ;   Parent Loop BB6_3 Depth=1
                                        ; =>  This Loop Header: Depth=2
                                        ;       Child Loop BB6_44 Depth 3
                                        ;       Child Loop BB6_46 Depth 3
                                        ;         Child Loop BB6_47 Depth 4
                                        ;       Child Loop BB6_52 Depth 3
                                        ;         Child Loop BB6_54 Depth 4
	v_mov_b32_e32 v11, v10
	s_mov_b64 s[12:13], 0
.LBB6_44:                               ;   Parent Loop BB6_3 Depth=1
                                        ;     Parent Loop BB6_43 Depth=2
                                        ; =>    This Inner Loop Header: Depth=3
	ds_load_b32 v12, v11
	v_subrev_nc_u32_e32 v11, 32, v11
	s_mov_b32 m0, s12
	s_add_nc_u64 s[12:13], s[12:13], 1
	s_delay_alu instid0(SALU_CYCLE_1)
	s_cmp_eq_u32 s30, s12
	s_wait_dscnt 0x0
	v_movreld_b32_e32 v2, v12
	s_cbranch_scc0 .LBB6_44
; %bb.45:                               ;   in Loop: Header=BB6_43 Depth=2
	s_cmp_le_i32 s21, s16
	s_mov_b32 s14, s33
	s_mov_b32 s15, s21
	s_cbranch_scc1 .LBB6_49
.LBB6_46:                               ;   Parent Loop BB6_3 Depth=1
                                        ;     Parent Loop BB6_43 Depth=2
                                        ; =>    This Loop Header: Depth=3
                                        ;         Child Loop BB6_47 Depth 4
	v_lshl_add_u32 v11, s15, 5, v24
	s_mov_b64 s[12:13], 0
	s_mov_b32 s37, s14
	ds_load_b32 v11, v11
.LBB6_47:                               ;   Parent Loop BB6_3 Depth=1
                                        ;     Parent Loop BB6_43 Depth=2
                                        ;       Parent Loop BB6_46 Depth=3
                                        ; =>      This Inner Loop Header: Depth=4
	v_mov_b32_e32 v12, s37
	s_mov_b32 m0, s12
	s_add_nc_u64 s[12:13], s[12:13], 1
	v_movrels_b32_e32 v13, v2
	s_add_co_i32 s37, s37, -4
	ds_load_b32 v12, v12
	s_cmp_eq_u32 s30, s12
	s_wait_dscnt 0x0
	v_fma_f32 v12, -v11, v12, v13
	s_delay_alu instid0(VALU_DEP_1)
	v_movreld_b32_e32 v2, v12
	s_cbranch_scc0 .LBB6_47
; %bb.48:                               ;   in Loop: Header=BB6_46 Depth=3
	s_add_co_i32 s15, s15, -1
	s_sub_co_i32 s14, s14, 32
	s_cmp_le_i32 s15, s16
	s_cbranch_scc0 .LBB6_46
.LBB6_49:                               ;   in Loop: Header=BB6_43 Depth=2
	s_mov_b64 s[12:13], 0
	s_mov_b32 s37, s35
	s_branch .LBB6_52
.LBB6_50:                               ;   in Loop: Header=BB6_52 Depth=3
	s_mov_b32 s38, s16
	s_mov_b64 s[14:15], 0
.LBB6_51:                               ;   in Loop: Header=BB6_52 Depth=3
	s_delay_alu instid0(SALU_CYCLE_1)
	s_mov_b32 m0, s14
	s_mul_i32 s14, s38, 36
	v_movrels_b32_e32 v12, v2
	v_mov_b32_e32 v11, s14
	s_add_nc_u64 s[12:13], s[12:13], 1
	s_add_co_i32 s37, s37, -4
	s_cmp_eq_u32 s12, s30
	ds_load_b32 v11, v11
	s_wait_dscnt 0x0
	v_mul_f32_e32 v11, v12, v11
	v_lshl_add_u32 v12, s38, 5, v24
	s_delay_alu instid0(VALU_DEP_2)
	v_movreld_b32_e32 v2, v11
	ds_store_b32 v12, v11
	s_cbranch_scc1 .LBB6_42
.LBB6_52:                               ;   Parent Loop BB6_3 Depth=1
                                        ;     Parent Loop BB6_43 Depth=2
                                        ; =>    This Loop Header: Depth=3
                                        ;         Child Loop BB6_54 Depth 4
	s_cmp_eq_u32 s12, 0
	s_cbranch_scc1 .LBB6_50
; %bb.53:                               ;   in Loop: Header=BB6_52 Depth=3
	s_sub_co_i32 s38, s16, s12
	s_mov_b64 s[14:15], 0
	s_mov_b32 s39, s37
.LBB6_54:                               ;   Parent Loop BB6_3 Depth=1
                                        ;     Parent Loop BB6_43 Depth=2
                                        ;       Parent Loop BB6_52 Depth=3
                                        ; =>      This Inner Loop Header: Depth=4
	s_delay_alu instid0(SALU_CYCLE_1)
	v_mov_b32_e32 v11, s39
	s_mov_b32 m0, s14
	s_add_nc_u64 s[14:15], s[14:15], 1
	v_movrels_b32_e32 v12, v2
	s_mov_b32 m0, s12
	ds_load_b32 v11, v11
	v_movrels_b32_e32 v13, v2
	s_sub_co_i32 s39, s39, 32
	s_cmp_eq_u32 s12, s14
	s_wait_dscnt 0x0
	s_delay_alu instid0(VALU_DEP_1) | instskip(NEXT) | instid1(VALU_DEP_1)
	v_fma_f32 v11, -v12, v11, v13
	v_movreld_b32_e32 v2, v11
	s_cbranch_scc0 .LBB6_54
; %bb.55:                               ;   in Loop: Header=BB6_52 Depth=3
	s_mov_b64 s[14:15], s[12:13]
	s_branch .LBB6_51
.LBB6_56:                               ;   Parent Loop BB6_3 Depth=1
                                        ; =>  This Inner Loop Header: Depth=2
	s_cmp_gt_i32 s16, -1
	s_cselect_b32 s13, -1, 0
	s_add_co_i32 s12, s17, 1
	s_cmp_lt_u32 s17, 2
	s_cselect_b32 s14, -1, 0
	s_delay_alu instid0(SALU_CYCLE_1) | instskip(NEXT) | instid1(SALU_CYCLE_1)
	s_and_b32 s13, s13, s14
	s_and_not1_b32 vcc_lo, exec_lo, s13
	s_cbranch_vccnz .LBB6_58
; %bb.57:                               ;   in Loop: Header=BB6_56 Depth=2
	s_wait_xcnt 0x0
	s_mov_b32 s17, s12
	s_load_b32 s28, s[8:9], s17 offset:0x0 scale_offset
	s_wait_kmcnt 0x0
	s_add_co_i32 s29, s28, -1
	s_delay_alu instid0(SALU_CYCLE_1)
	s_cmp_lt_i32 s16, s29
	s_cbranch_scc0 .LBB6_41
	s_branch .LBB6_56
.LBB6_58:                               ;   in Loop: Header=BB6_3 Depth=1
	v_mov_b64_e32 v[16:17], v[8:9]
	v_mov_b64_e32 v[14:15], v[6:7]
	;; [unrolled: 1-line block ×4, first 2 shown]
.LBB6_59:                               ;   in Loop: Header=BB6_3 Depth=1
	s_wait_dscnt 0x0
	; wave barrier
	s_and_saveexec_b32 s12, s24
	s_cbranch_execz .LBB6_2
; %bb.60:                               ;   in Loop: Header=BB6_3 Depth=1
	v_mov_b32_e32 v2, v24
	s_mov_b32 s13, s20
.LBB6_61:                               ;   Parent Loop BB6_3 Depth=1
                                        ; =>  This Inner Loop Header: Depth=2
	ds_load_b32 v3, v2
	v_add_nc_u32_e32 v2, 32, v2
	s_add_co_i32 s13, s13, -1
	s_delay_alu instid0(SALU_CYCLE_1)
	s_cmp_lg_u32 s13, 0
	s_wait_dscnt 0x0
	global_store_b32 v[22:23], v3, off
	s_wait_xcnt 0x0
	v_add_nc_u64_e32 v[22:23], 4, v[22:23]
	s_cbranch_scc1 .LBB6_61
	s_branch .LBB6_2
.LBB6_62:
	s_endpgm
	.section	.rodata,"a",@progbits
	.p2align	6, 0x0
	.amdhsa_kernel _ZL38rocblas_trsm_small_left_device_sharedBILi8ELi8ELb0EffPKfPfEv13rocblas_fill_18rocblas_operation_17rocblas_diagonal_iiT3_T4_lilT5_lili
		.amdhsa_group_segment_fixed_size 512
		.amdhsa_private_segment_fixed_size 0
		.amdhsa_kernarg_size 352
		.amdhsa_user_sgpr_count 2
		.amdhsa_user_sgpr_dispatch_ptr 0
		.amdhsa_user_sgpr_queue_ptr 0
		.amdhsa_user_sgpr_kernarg_segment_ptr 1
		.amdhsa_user_sgpr_dispatch_id 0
		.amdhsa_user_sgpr_kernarg_preload_length 0
		.amdhsa_user_sgpr_kernarg_preload_offset 0
		.amdhsa_user_sgpr_private_segment_size 0
		.amdhsa_wavefront_size32 1
		.amdhsa_uses_dynamic_stack 0
		.amdhsa_enable_private_segment 0
		.amdhsa_system_sgpr_workgroup_id_x 1
		.amdhsa_system_sgpr_workgroup_id_y 0
		.amdhsa_system_sgpr_workgroup_id_z 1
		.amdhsa_system_sgpr_workgroup_info 0
		.amdhsa_system_vgpr_workitem_id 0
		.amdhsa_next_free_vgpr 29
		.amdhsa_next_free_sgpr 41
		.amdhsa_named_barrier_count 0
		.amdhsa_reserve_vcc 1
		.amdhsa_float_round_mode_32 0
		.amdhsa_float_round_mode_16_64 0
		.amdhsa_float_denorm_mode_32 3
		.amdhsa_float_denorm_mode_16_64 3
		.amdhsa_fp16_overflow 0
		.amdhsa_memory_ordered 1
		.amdhsa_forward_progress 1
		.amdhsa_inst_pref_size 17
		.amdhsa_round_robin_scheduling 0
		.amdhsa_exception_fp_ieee_invalid_op 0
		.amdhsa_exception_fp_denorm_src 0
		.amdhsa_exception_fp_ieee_div_zero 0
		.amdhsa_exception_fp_ieee_overflow 0
		.amdhsa_exception_fp_ieee_underflow 0
		.amdhsa_exception_fp_ieee_inexact 0
		.amdhsa_exception_int_div_zero 0
	.end_amdhsa_kernel
	.section	.text._ZL38rocblas_trsm_small_left_device_sharedBILi8ELi8ELb0EffPKfPfEv13rocblas_fill_18rocblas_operation_17rocblas_diagonal_iiT3_T4_lilT5_lili,"axG",@progbits,_ZL38rocblas_trsm_small_left_device_sharedBILi8ELi8ELb0EffPKfPfEv13rocblas_fill_18rocblas_operation_17rocblas_diagonal_iiT3_T4_lilT5_lili,comdat
.Lfunc_end6:
	.size	_ZL38rocblas_trsm_small_left_device_sharedBILi8ELi8ELb0EffPKfPfEv13rocblas_fill_18rocblas_operation_17rocblas_diagonal_iiT3_T4_lilT5_lili, .Lfunc_end6-_ZL38rocblas_trsm_small_left_device_sharedBILi8ELi8ELb0EffPKfPfEv13rocblas_fill_18rocblas_operation_17rocblas_diagonal_iiT3_T4_lilT5_lili
                                        ; -- End function
	.set _ZL38rocblas_trsm_small_left_device_sharedBILi8ELi8ELb0EffPKfPfEv13rocblas_fill_18rocblas_operation_17rocblas_diagonal_iiT3_T4_lilT5_lili.num_vgpr, 29
	.set _ZL38rocblas_trsm_small_left_device_sharedBILi8ELi8ELb0EffPKfPfEv13rocblas_fill_18rocblas_operation_17rocblas_diagonal_iiT3_T4_lilT5_lili.num_agpr, 0
	.set _ZL38rocblas_trsm_small_left_device_sharedBILi8ELi8ELb0EffPKfPfEv13rocblas_fill_18rocblas_operation_17rocblas_diagonal_iiT3_T4_lilT5_lili.numbered_sgpr, 41
	.set _ZL38rocblas_trsm_small_left_device_sharedBILi8ELi8ELb0EffPKfPfEv13rocblas_fill_18rocblas_operation_17rocblas_diagonal_iiT3_T4_lilT5_lili.num_named_barrier, 0
	.set _ZL38rocblas_trsm_small_left_device_sharedBILi8ELi8ELb0EffPKfPfEv13rocblas_fill_18rocblas_operation_17rocblas_diagonal_iiT3_T4_lilT5_lili.private_seg_size, 0
	.set _ZL38rocblas_trsm_small_left_device_sharedBILi8ELi8ELb0EffPKfPfEv13rocblas_fill_18rocblas_operation_17rocblas_diagonal_iiT3_T4_lilT5_lili.uses_vcc, 1
	.set _ZL38rocblas_trsm_small_left_device_sharedBILi8ELi8ELb0EffPKfPfEv13rocblas_fill_18rocblas_operation_17rocblas_diagonal_iiT3_T4_lilT5_lili.uses_flat_scratch, 0
	.set _ZL38rocblas_trsm_small_left_device_sharedBILi8ELi8ELb0EffPKfPfEv13rocblas_fill_18rocblas_operation_17rocblas_diagonal_iiT3_T4_lilT5_lili.has_dyn_sized_stack, 0
	.set _ZL38rocblas_trsm_small_left_device_sharedBILi8ELi8ELb0EffPKfPfEv13rocblas_fill_18rocblas_operation_17rocblas_diagonal_iiT3_T4_lilT5_lili.has_recursion, 0
	.set _ZL38rocblas_trsm_small_left_device_sharedBILi8ELi8ELb0EffPKfPfEv13rocblas_fill_18rocblas_operation_17rocblas_diagonal_iiT3_T4_lilT5_lili.has_indirect_call, 0
	.section	.AMDGPU.csdata,"",@progbits
; Kernel info:
; codeLenInByte = 2176
; TotalNumSgprs: 43
; NumVgprs: 29
; ScratchSize: 0
; MemoryBound: 0
; FloatMode: 240
; IeeeMode: 1
; LDSByteSize: 512 bytes/workgroup (compile time only)
; SGPRBlocks: 0
; VGPRBlocks: 1
; NumSGPRsForWavesPerEU: 43
; NumVGPRsForWavesPerEU: 29
; NamedBarCnt: 0
; Occupancy: 16
; WaveLimiterHint : 0
; COMPUTE_PGM_RSRC2:SCRATCH_EN: 0
; COMPUTE_PGM_RSRC2:USER_SGPR: 2
; COMPUTE_PGM_RSRC2:TRAP_HANDLER: 0
; COMPUTE_PGM_RSRC2:TGID_X_EN: 1
; COMPUTE_PGM_RSRC2:TGID_Y_EN: 0
; COMPUTE_PGM_RSRC2:TGID_Z_EN: 1
; COMPUTE_PGM_RSRC2:TIDIG_COMP_CNT: 0
	.section	.text._ZL30rocblas_trsm_small_left_deviceILi8ELi8ELb0EffPKfPfEv13rocblas_fill_18rocblas_operation_17rocblas_diagonal_iiT3_T4_lilT5_lili,"axG",@progbits,_ZL30rocblas_trsm_small_left_deviceILi8ELi8ELb0EffPKfPfEv13rocblas_fill_18rocblas_operation_17rocblas_diagonal_iiT3_T4_lilT5_lili,comdat
	.globl	_ZL30rocblas_trsm_small_left_deviceILi8ELi8ELb0EffPKfPfEv13rocblas_fill_18rocblas_operation_17rocblas_diagonal_iiT3_T4_lilT5_lili ; -- Begin function _ZL30rocblas_trsm_small_left_deviceILi8ELi8ELb0EffPKfPfEv13rocblas_fill_18rocblas_operation_17rocblas_diagonal_iiT3_T4_lilT5_lili
	.p2align	8
	.type	_ZL30rocblas_trsm_small_left_deviceILi8ELi8ELb0EffPKfPfEv13rocblas_fill_18rocblas_operation_17rocblas_diagonal_iiT3_T4_lilT5_lili,@function
_ZL30rocblas_trsm_small_left_deviceILi8ELi8ELb0EffPKfPfEv13rocblas_fill_18rocblas_operation_17rocblas_diagonal_iiT3_T4_lilT5_lili: ; @_ZL30rocblas_trsm_small_left_deviceILi8ELi8ELb0EffPKfPfEv13rocblas_fill_18rocblas_operation_17rocblas_diagonal_iiT3_T4_lilT5_lili
; %bb.0:
	s_load_b32 s30, s[0:1], 0x58
	s_bfe_u32 s2, ttmp6, 0x40014
	s_lshr_b32 s4, ttmp7, 16
	s_add_co_i32 s2, s2, 1
	s_bfe_u32 s5, ttmp6, 0x40008
	s_mul_i32 s2, s4, s2
	s_getreg_b32 s3, hwreg(HW_REG_IB_STS2, 6, 4)
	s_add_co_i32 s5, s5, s2
	s_cmp_eq_u32 s3, 0
	s_mov_b32 s19, 0
	s_cselect_b32 s2, s4, s5
	s_wait_kmcnt 0x0
	s_cmp_ge_u32 s2, s30
	s_cbranch_scc1 .LBB7_58
; %bb.1:
	s_clause 0x5
	s_load_b32 s20, s[0:1], 0x28
	s_load_b96 s[16:18], s[0:1], 0x40
	s_load_b128 s[4:7], s[0:1], 0x4
	s_load_b32 s8, s[0:1], 0x60
	s_load_b32 s31, s[0:1], 0x14
	s_load_b128 s[12:15], s[0:1], 0x18
	v_dual_lshlrev_b32 v18, 2, v0 :: v_dual_lshlrev_b32 v1, 5, v0
	s_mov_b32 s41, 0
	s_delay_alu instid0(VALU_DEP_1) | instskip(NEXT) | instid1(VALU_DEP_1)
	v_dual_mov_b32 v19, 0 :: v_dual_add_nc_u32 v30, v18, v1
	v_dual_mov_b32 v9, v19 :: v_dual_mov_b32 v2, v19
	v_dual_mov_b32 v3, v19 :: v_dual_mov_b32 v7, v19
	;; [unrolled: 1-line block ×3, first 2 shown]
	s_wait_kmcnt 0x0
	s_ashr_i32 s21, s20, 31
	s_mov_b32 s22, s18
	s_cmp_eq_u64 s[20:21], 1
	s_cselect_b32 s26, -1, 0
	s_min_i32 s33, s6, 8
	s_bfe_u32 s6, ttmp6, 0x4000c
	s_add_co_i32 s27, s8, -1
	s_add_co_i32 s6, s6, 1
	s_and_b32 s8, ttmp6, 15
	s_mul_i32 s6, ttmp9, s6
	s_ashr_i32 s23, s18, 31
	s_lshl_b64 s[24:25], s[16:17], 2
	s_add_co_i32 s34, s33, -1
	s_add_co_i32 s8, s8, s6
	s_cmp_eq_u32 s3, 0
	s_load_b64 s[16:17], s[0:1], 0x50
	s_cselect_b32 s3, ttmp9, s8
	s_load_b128 s[8:11], s[0:1], 0x30
	s_lshl_b32 s6, s3, 3
	s_delay_alu instid0(SALU_CYCLE_1)
	v_or_b32_e32 v4, s6, v0
	s_wait_xcnt 0x0
	s_sub_co_i32 s0, s7, s6
	s_cmp_ge_u32 s3, s27
	s_cselect_b32 s1, s0, 8
	v_ashrrev_i32_e32 v5, 31, v4
	s_cmp_lg_u32 s5, 0x84
	v_cmp_gt_i32_e64 s0, s33, v0
	s_cselect_b32 s35, -1, 0
	s_cmp_lg_u32 s4, 0x6f
	v_mul_u64_e32 v[10:11], s[22:23], v[4:5]
	s_cselect_b32 s36, -1, 0
	s_cmp_gt_u32 s33, 1
	v_cmp_gt_i32_e64 s1, s1, v0
	s_cselect_b32 s3, -1, 0
	s_and_b32 s37, s33, -2
	s_and_b32 s38, s3, s26
	s_cmp_lg_u32 s33, s37
	s_wait_kmcnt 0x0
	s_add_nc_u64 s[10:11], s[10:11], s[24:25]
	s_cselect_b32 s39, -1, 0
	s_lshl_b64 s[14:15], s[14:15], 2
	s_lshl_b64 s[4:5], s[8:9], 2
	s_add_nc_u64 s[8:9], s[12:13], s[14:15]
	v_mov_b32_e32 v4, v19
	v_add_nc_u64_e32 v[0:1], s[8:9], v[18:19]
	v_mov_b32_e32 v5, v19
	s_lshl_b32 s3, s33, 5
	s_lshl_b64 s[6:7], s[20:21], 2
	s_sub_co_i32 s40, s3, 32
	s_get_pc_i64 s[8:9]
	s_add_nc_u64 s[8:9], s[8:9], __const._ZL30rocblas_trsm_small_left_deviceILi8ELi8ELb0EffPKfPfEv13rocblas_fill_18rocblas_operation_17rocblas_diagonal_iiT3_T4_lilT5_lili.step_sizes@rel64+4
	v_lshl_add_u64 v[20:21], v[10:11], 2, s[10:11]
	s_lshl_b64 s[10:11], s[16:17], 2
	s_branch .LBB7_5
.LBB7_2:                                ;   in Loop: Header=BB7_5 Depth=1
	s_wait_xcnt 0x0
	v_mov_b64_e32 v[16:17], v[8:9]
	v_mov_b64_e32 v[14:15], v[6:7]
	;; [unrolled: 1-line block ×4, first 2 shown]
.LBB7_3:                                ;   in Loop: Header=BB7_5 Depth=1
	s_add_co_i32 s2, s2, 0x10000
	s_delay_alu instid0(SALU_CYCLE_1) | instskip(SKIP_1) | instid1(SALU_CYCLE_1)
	s_cmp_ge_u32 s2, s30
	s_cselect_b32 s3, -1, 0
	s_or_not1_b32 s12, s3, exec_lo
.LBB7_4:                                ;   in Loop: Header=BB7_5 Depth=1
	s_wait_xcnt 0x0
	s_or_b32 exec_lo, exec_lo, s42
	v_mov_b64_e32 v[2:3], v[10:11]
	v_mov_b64_e32 v[4:5], v[12:13]
	;; [unrolled: 1-line block ×4, first 2 shown]
	s_and_b32 s3, exec_lo, s12
	s_delay_alu instid0(SALU_CYCLE_1) | instskip(NEXT) | instid1(SALU_CYCLE_1)
	s_or_b32 s41, s3, s41
	s_and_not1_b32 exec_lo, exec_lo, s41
	s_cbranch_execz .LBB7_58
.LBB7_5:                                ; =>This Loop Header: Depth=1
                                        ;     Child Loop BB7_8 Depth 2
                                        ;     Child Loop BB7_12 Depth 2
                                        ;     Child Loop BB7_19 Depth 2
                                        ;       Child Loop BB7_22 Depth 3
                                        ;         Child Loop BB7_23 Depth 4
                                        ;         Child Loop BB7_26 Depth 4
                                        ;           Child Loop BB7_27 Depth 5
                                        ;         Child Loop BB7_32 Depth 4
                                        ;           Child Loop BB7_34 Depth 5
                                        ;     Child Loop BB7_43 Depth 2
                                        ;       Child Loop BB7_44 Depth 3
                                        ;       Child Loop BB7_46 Depth 3
                                        ;         Child Loop BB7_47 Depth 4
                                        ;       Child Loop BB7_52 Depth 3
                                        ;         Child Loop BB7_54 Depth 4
                                        ;     Child Loop BB7_56 Depth 2
	s_mov_b32 s3, s19
	s_and_saveexec_b32 s14, s0
	s_cbranch_execz .LBB7_16
; %bb.6:                                ;   in Loop: Header=BB7_5 Depth=1
	s_and_not1_b32 vcc_lo, exec_lo, s38
	s_mul_u64 s[12:13], s[4:5], s[2:3]
	s_cbranch_vccnz .LBB7_10
; %bb.7:                                ;   in Loop: Header=BB7_5 Depth=1
	v_add_nc_u64_e32 v[10:11], s[12:13], v[0:1]
	s_mov_b32 s15, 1
	s_mov_b32 s20, 0
	;; [unrolled: 1-line block ×3, first 2 shown]
.LBB7_8:                                ;   Parent Loop BB7_5 Depth=1
                                        ; =>  This Inner Loop Header: Depth=2
	global_load_b64 v[12:13], v[10:11], off
	s_wait_xcnt 0x0
	v_add_nc_u64_e32 v[10:11], 8, v[10:11]
	v_lshl_or_b32 v14, s20, 5, v18
	v_lshl_or_b32 v15, s15, 5, v18
	s_add_co_i32 s21, s21, -2
	s_add_co_i32 s20, s20, 2
	s_add_co_i32 s15, s15, 2
	s_mov_b32 s18, s37
	s_mov_b32 s22, s39
	s_cmp_lg_u32 s21, 0
	s_wait_loadcnt 0x0
	ds_store_b32 v14, v12
	ds_store_b32 v15, v13
	s_cbranch_scc1 .LBB7_8
; %bb.9:                                ;   in Loop: Header=BB7_5 Depth=1
	s_and_b32 vcc_lo, exec_lo, s22
	s_cbranch_vccnz .LBB7_11
	s_branch .LBB7_13
.LBB7_10:                               ;   in Loop: Header=BB7_5 Depth=1
	s_mov_b32 s18, 0
	s_cbranch_execz .LBB7_13
.LBB7_11:                               ;   in Loop: Header=BB7_5 Depth=1
	s_mul_u64 s[20:21], s[6:7], s[18:19]
	v_lshl_or_b32 v12, s18, 5, v18
	s_add_nc_u64 s[12:13], s[20:21], s[12:13]
	s_delay_alu instid0(SALU_CYCLE_1)
	v_add_nc_u64_e32 v[10:11], s[12:13], v[0:1]
	s_sub_co_i32 s12, s33, s18
.LBB7_12:                               ;   Parent Loop BB7_5 Depth=1
                                        ; =>  This Inner Loop Header: Depth=2
	global_load_b32 v13, v[10:11], off
	s_wait_xcnt 0x0
	v_add_nc_u64_e32 v[10:11], s[6:7], v[10:11]
	s_add_co_i32 s12, s12, -1
	s_delay_alu instid0(SALU_CYCLE_1)
	s_cmp_eq_u32 s12, 0
	s_wait_loadcnt 0x0
	ds_store_b32 v12, v13
	v_add_nc_u32_e32 v12, 32, v12
	s_cbranch_scc0 .LBB7_12
.LBB7_13:                               ;   in Loop: Header=BB7_5 Depth=1
	v_mov_b32_e32 v10, 1.0
	s_and_b32 vcc_lo, exec_lo, s35
	s_cbranch_vccz .LBB7_15
; %bb.14:                               ;   in Loop: Header=BB7_5 Depth=1
	ds_load_b32 v10, v30
	s_wait_dscnt 0x0
	v_div_scale_f32 v11, null, v10, v10, 1.0
	s_delay_alu instid0(VALU_DEP_1) | instskip(SKIP_1) | instid1(TRANS32_DEP_1)
	v_rcp_f32_e32 v12, v11
	v_nop
	v_fma_f32 v13, -v11, v12, 1.0
	s_delay_alu instid0(VALU_DEP_1) | instskip(SKIP_1) | instid1(VALU_DEP_1)
	v_fmac_f32_e32 v12, v13, v12
	v_div_scale_f32 v13, vcc_lo, 1.0, v10, 1.0
	v_mul_f32_e32 v14, v13, v12
	s_delay_alu instid0(VALU_DEP_1) | instskip(NEXT) | instid1(VALU_DEP_1)
	v_fma_f32 v15, -v11, v14, v13
	v_fmac_f32_e32 v14, v15, v12
	s_delay_alu instid0(VALU_DEP_1) | instskip(NEXT) | instid1(VALU_DEP_1)
	v_fma_f32 v11, -v11, v14, v13
	v_div_fmas_f32 v11, v11, v12, v14
	s_delay_alu instid0(VALU_DEP_1)
	v_div_fixup_f32 v10, v11, v10, 1.0
.LBB7_15:                               ;   in Loop: Header=BB7_5 Depth=1
	ds_store_b32 v30, v10
.LBB7_16:                               ;   in Loop: Header=BB7_5 Depth=1
	s_or_b32 exec_lo, exec_lo, s14
	s_mov_b32 s12, -1
	s_wait_dscnt 0x0
	; wave barrier
                                        ; implicit-def: $vgpr10_vgpr11_vgpr12_vgpr13_vgpr14_vgpr15_vgpr16_vgpr17
	s_and_saveexec_b32 s42, s1
	s_cbranch_execz .LBB7_4
; %bb.17:                               ;   in Loop: Header=BB7_5 Depth=1
	s_mul_u64 s[12:13], s[16:17], s[2:3]
	s_and_not1_b32 vcc_lo, exec_lo, s36
	v_lshl_add_u64 v[22:23], s[12:13], 2, v[20:21]
	s_mul_u64 s[12:13], s[10:11], s[2:3]
	s_mov_b32 s3, -1
                                        ; implicit-def: $vgpr10_vgpr11_vgpr12_vgpr13_vgpr14_vgpr15_vgpr16_vgpr17
	s_cbranch_vccnz .LBB7_39
; %bb.18:                               ;   in Loop: Header=BB7_5 Depth=1
	v_mov_b64_e32 v[16:17], v[8:9]
	v_add_nc_u64_e32 v[24:25], s[12:13], v[20:21]
	v_mov_b64_e32 v[14:15], v[6:7]
	v_mov_b64_e32 v[12:13], v[4:5]
	;; [unrolled: 1-line block ×3, first 2 shown]
	s_mov_b32 s3, 0
	s_mov_b32 s14, 0
.LBB7_19:                               ;   Parent Loop BB7_5 Depth=1
                                        ; =>  This Loop Header: Depth=2
                                        ;       Child Loop BB7_22 Depth 3
                                        ;         Child Loop BB7_23 Depth 4
                                        ;         Child Loop BB7_26 Depth 4
                                        ;           Child Loop BB7_27 Depth 5
                                        ;         Child Loop BB7_32 Depth 4
                                        ;           Child Loop BB7_34 Depth 5
	s_load_b32 s20, s[8:9], s3 offset:0x0 scale_offset
	s_wait_kmcnt 0x0
	s_add_co_i32 s43, s20, -1
	s_delay_alu instid0(SALU_CYCLE_1) | instskip(NEXT) | instid1(SALU_CYCLE_1)
	s_add_co_i32 s15, s43, s14
	s_cmp_ge_i32 s15, s33
	s_cbranch_scc1 .LBB7_36
; %bb.20:                               ;   in Loop: Header=BB7_19 Depth=2
	s_ashr_i32 s15, s14, 31
	s_ashr_i32 s21, s20, 31
	v_lshl_add_u64 v[26:27], s[14:15], 2, v[24:25]
	s_max_i32 s44, s20, 1
	s_lshl_b64 s[22:23], s[20:21], 2
	s_lshl_b32 s15, s14, 5
	s_lshl_b32 s21, s20, 5
	s_mul_i32 s45, s14, 36
	s_mul_i32 s46, s20, 36
	s_branch .LBB7_22
.LBB7_21:                               ;   in Loop: Header=BB7_22 Depth=3
	v_add_nc_u64_e32 v[26:27], s[22:23], v[26:27]
	s_add_co_i32 s14, s14, s20
	s_add_co_i32 s15, s15, s21
	;; [unrolled: 1-line block ×4, first 2 shown]
	s_cmp_ge_i32 s18, s33
	s_cbranch_scc1 .LBB7_36
.LBB7_22:                               ;   Parent Loop BB7_5 Depth=1
                                        ;     Parent Loop BB7_19 Depth=2
                                        ; =>    This Loop Header: Depth=3
                                        ;         Child Loop BB7_23 Depth 4
                                        ;         Child Loop BB7_26 Depth 4
                                        ;           Child Loop BB7_27 Depth 5
                                        ;         Child Loop BB7_32 Depth 4
                                        ;           Child Loop BB7_34 Depth 5
	s_wait_xcnt 0x0
	v_mov_b64_e32 v[28:29], v[26:27]
	s_mov_b64 s[24:25], 0
.LBB7_23:                               ;   Parent Loop BB7_5 Depth=1
                                        ;     Parent Loop BB7_19 Depth=2
                                        ;       Parent Loop BB7_22 Depth=3
                                        ; =>      This Inner Loop Header: Depth=4
	global_load_b32 v19, v[28:29], off
	s_wait_xcnt 0x0
	v_add_nc_u64_e32 v[28:29], 4, v[28:29]
	s_mov_b32 m0, s24
	s_add_nc_u64 s[24:25], s[24:25], 1
	s_delay_alu instid0(SALU_CYCLE_1) | instskip(SKIP_2) | instid1(VALU_DEP_1)
	s_cmp_eq_u32 s44, s24
	s_wait_loadcnt 0x0
	v_mul_f32_e32 v19, s31, v19
	v_movreld_b32_e32 v10, v19
	s_cbranch_scc0 .LBB7_23
; %bb.24:                               ;   in Loop: Header=BB7_22 Depth=3
	s_cmp_lt_i32 s14, 1
	s_cbranch_scc1 .LBB7_29
; %bb.25:                               ;   in Loop: Header=BB7_22 Depth=3
	s_mov_b32 s18, 0
	s_mov_b32 s26, s15
.LBB7_26:                               ;   Parent Loop BB7_5 Depth=1
                                        ;     Parent Loop BB7_19 Depth=2
                                        ;       Parent Loop BB7_22 Depth=3
                                        ; =>      This Loop Header: Depth=4
                                        ;           Child Loop BB7_27 Depth 5
	v_lshl_add_u64 v[28:29], s[18:19], 2, v[22:23]
	s_mov_b64 s[24:25], 0
	s_mov_b32 s27, s26
	global_load_b32 v19, v[28:29], off
.LBB7_27:                               ;   Parent Loop BB7_5 Depth=1
                                        ;     Parent Loop BB7_19 Depth=2
                                        ;       Parent Loop BB7_22 Depth=3
                                        ;         Parent Loop BB7_26 Depth=4
                                        ; =>        This Inner Loop Header: Depth=5
	s_wait_xcnt 0x0
	v_mov_b32_e32 v28, s27
	s_mov_b32 m0, s24
	s_add_nc_u64 s[24:25], s[24:25], 1
	v_movrels_b32_e32 v29, v10
	s_add_co_i32 s27, s27, 32
	ds_load_b32 v28, v28
	s_cmp_eq_u32 s44, s24
	s_wait_loadcnt_dscnt 0x0
	v_fma_f32 v28, -v19, v28, v29
	s_delay_alu instid0(VALU_DEP_1)
	v_movreld_b32_e32 v10, v28
	s_cbranch_scc0 .LBB7_27
; %bb.28:                               ;   in Loop: Header=BB7_26 Depth=4
	s_add_co_i32 s18, s18, 1
	s_add_co_i32 s26, s26, 4
	s_cmp_eq_u32 s18, s14
	s_cbranch_scc0 .LBB7_26
.LBB7_29:                               ;   in Loop: Header=BB7_22 Depth=3
	s_mov_b64 s[24:25], 0
	s_mov_b32 s18, s45
	s_branch .LBB7_32
.LBB7_30:                               ;   in Loop: Header=BB7_32 Depth=4
	s_mov_b32 s26, s14
	s_mov_b64 s[28:29], 0
.LBB7_31:                               ;   in Loop: Header=BB7_32 Depth=4
	s_mul_i32 s27, s26, 36
	s_mov_b32 m0, s28
	s_wait_xcnt 0x0
	v_mov_b32_e32 v19, s27
	v_movrels_b32_e32 v28, v10
	s_ashr_i32 s27, s26, 31
	s_add_nc_u64 s[24:25], s[24:25], 1
	s_add_co_i32 s18, s18, 32
	ds_load_b32 v19, v19
	s_cmp_eq_u32 s24, s44
	s_wait_dscnt 0x0
	v_mul_f32_e32 v19, v28, v19
	v_lshl_add_u64 v[28:29], s[26:27], 2, v[22:23]
	s_delay_alu instid0(VALU_DEP_2)
	v_movreld_b32_e32 v10, v19
	global_store_b32 v[28:29], v19, off
	s_cbranch_scc1 .LBB7_21
.LBB7_32:                               ;   Parent Loop BB7_5 Depth=1
                                        ;     Parent Loop BB7_19 Depth=2
                                        ;       Parent Loop BB7_22 Depth=3
                                        ; =>      This Loop Header: Depth=4
                                        ;           Child Loop BB7_34 Depth 5
	s_cmp_eq_u32 s24, 0
	s_cbranch_scc1 .LBB7_30
; %bb.33:                               ;   in Loop: Header=BB7_32 Depth=4
	s_add_co_i32 s26, s24, s14
	s_mov_b64 s[28:29], 0
	s_mov_b32 s27, s18
.LBB7_34:                               ;   Parent Loop BB7_5 Depth=1
                                        ;     Parent Loop BB7_19 Depth=2
                                        ;       Parent Loop BB7_22 Depth=3
                                        ;         Parent Loop BB7_32 Depth=4
                                        ; =>        This Inner Loop Header: Depth=5
	s_wait_xcnt 0x0
	v_mov_b32_e32 v19, s27
	s_mov_b32 m0, s28
	s_add_nc_u64 s[28:29], s[28:29], 1
	v_movrels_b32_e32 v28, v10
	s_mov_b32 m0, s24
	ds_load_b32 v19, v19
	v_movrels_b32_e32 v29, v10
	s_add_co_i32 s27, s27, 4
	s_cmp_eq_u32 s24, s28
	s_wait_dscnt 0x0
	s_delay_alu instid0(VALU_DEP_1) | instskip(NEXT) | instid1(VALU_DEP_1)
	v_fma_f32 v19, -v28, v19, v29
	v_movreld_b32_e32 v10, v19
	s_cbranch_scc0 .LBB7_34
; %bb.35:                               ;   in Loop: Header=BB7_32 Depth=4
	s_mov_b64 s[28:29], s[24:25]
	s_branch .LBB7_31
.LBB7_36:                               ;   in Loop: Header=BB7_19 Depth=2
	s_cmp_lt_i32 s14, s33
	s_cselect_b32 s18, -1, 0
	s_add_co_i32 s15, s3, 1
	s_cmp_lt_u32 s3, 2
	s_wait_xcnt 0x0
	s_cselect_b32 s3, -1, 0
	s_delay_alu instid0(SALU_CYCLE_1) | instskip(NEXT) | instid1(SALU_CYCLE_1)
	s_and_b32 s3, s18, s3
	s_and_b32 vcc_lo, exec_lo, s3
	s_cbranch_vccz .LBB7_38
; %bb.37:                               ;   in Loop: Header=BB7_19 Depth=2
	s_mov_b32 s3, s15
	s_branch .LBB7_19
.LBB7_38:                               ;   in Loop: Header=BB7_5 Depth=1
	s_mov_b32 s3, 0
.LBB7_39:                               ;   in Loop: Header=BB7_5 Depth=1
	s_delay_alu instid0(SALU_CYCLE_1)
	s_and_b32 vcc_lo, exec_lo, s3
	s_cbranch_vccz .LBB7_3
; %bb.40:                               ;   in Loop: Header=BB7_5 Depth=1
	v_add_nc_u64_e32 v[10:11], s[12:13], v[20:21]
	s_mov_b32 s3, 0
	s_mov_b32 s12, s34
	s_load_b32 s18, s[8:9], s3 offset:0x0 scale_offset
	s_wait_kmcnt 0x0
	s_add_co_i32 s26, s18, -1
	s_delay_alu instid0(SALU_CYCLE_1)
	s_cmp_lt_i32 s12, s26
	s_cbranch_scc1 .LBB7_56
.LBB7_41:                               ;   in Loop: Header=BB7_5 Depth=1
	s_lshl_b32 s13, s12, 2
	s_lshl_b32 s14, s18, 2
	s_max_i32 s27, s18, 1
	s_add_co_i32 s28, s40, s13
	s_sub_co_i32 s29, 0, s14
	s_mul_i32 s43, s12, 36
	s_mul_i32 s44, s18, 0xffffffdc
	s_branch .LBB7_43
.LBB7_42:                               ;   in Loop: Header=BB7_43 Depth=2
	s_sub_co_i32 s12, s12, s18
	s_add_co_i32 s28, s28, s29
	s_add_co_i32 s43, s43, s44
	s_cmp_lt_i32 s12, s26
	s_cbranch_scc1 .LBB7_56
.LBB7_43:                               ;   Parent Loop BB7_5 Depth=1
                                        ; =>  This Loop Header: Depth=2
                                        ;       Child Loop BB7_44 Depth 3
                                        ;       Child Loop BB7_46 Depth 3
                                        ;         Child Loop BB7_47 Depth 4
                                        ;       Child Loop BB7_52 Depth 3
                                        ;         Child Loop BB7_54 Depth 4
	s_ashr_i32 s13, s12, 31
	s_mov_b64 s[14:15], 0
	s_wait_xcnt 0x0
	v_lshl_add_u64 v[12:13], s[12:13], 2, v[10:11]
.LBB7_44:                               ;   Parent Loop BB7_5 Depth=1
                                        ;     Parent Loop BB7_43 Depth=2
                                        ; =>    This Inner Loop Header: Depth=3
	global_load_b32 v14, v[12:13], off
	s_wait_xcnt 0x0
	v_add_nc_u64_e32 v[12:13], -4, v[12:13]
	s_mov_b32 m0, s14
	s_add_nc_u64 s[14:15], s[14:15], 1
	s_delay_alu instid0(SALU_CYCLE_1) | instskip(SKIP_2) | instid1(VALU_DEP_1)
	s_cmp_eq_u32 s27, s14
	s_wait_loadcnt 0x0
	v_mul_f32_e32 v14, s31, v14
	v_movreld_b32_e32 v2, v14
	s_cbranch_scc0 .LBB7_44
; %bb.45:                               ;   in Loop: Header=BB7_43 Depth=2
	s_cmp_le_i32 s34, s12
	s_mov_b32 s22, s28
	s_mov_b32 s14, s34
	s_cbranch_scc1 .LBB7_49
.LBB7_46:                               ;   Parent Loop BB7_5 Depth=1
                                        ;     Parent Loop BB7_43 Depth=2
                                        ; =>    This Loop Header: Depth=3
                                        ;         Child Loop BB7_47 Depth 4
	s_ashr_i32 s15, s14, 31
	s_mov_b64 s[20:21], 0
	v_lshl_add_u64 v[12:13], s[14:15], 2, v[22:23]
	s_mov_b32 s15, s22
	global_load_b32 v12, v[12:13], off
.LBB7_47:                               ;   Parent Loop BB7_5 Depth=1
                                        ;     Parent Loop BB7_43 Depth=2
                                        ;       Parent Loop BB7_46 Depth=3
                                        ; =>      This Inner Loop Header: Depth=4
	s_wait_xcnt 0x0
	v_mov_b32_e32 v13, s15
	s_mov_b32 m0, s20
	s_add_nc_u64 s[20:21], s[20:21], 1
	v_movrels_b32_e32 v14, v2
	s_add_co_i32 s15, s15, -4
	ds_load_b32 v13, v13
	s_cmp_eq_u32 s27, s20
	s_wait_loadcnt_dscnt 0x0
	v_fma_f32 v13, -v12, v13, v14
	s_delay_alu instid0(VALU_DEP_1)
	v_movreld_b32_e32 v2, v13
	s_cbranch_scc0 .LBB7_47
; %bb.48:                               ;   in Loop: Header=BB7_46 Depth=3
	s_add_co_i32 s14, s14, -1
	s_sub_co_i32 s22, s22, 32
	s_cmp_le_i32 s14, s12
	s_cbranch_scc0 .LBB7_46
.LBB7_49:                               ;   in Loop: Header=BB7_43 Depth=2
	s_mov_b64 s[14:15], 0
	s_mov_b32 s45, s43
	s_branch .LBB7_52
.LBB7_50:                               ;   in Loop: Header=BB7_52 Depth=3
	s_mov_b32 s20, s12
	s_mov_b64 s[24:25], 0
	s_mov_b64 s[22:23], s[12:13]
.LBB7_51:                               ;   in Loop: Header=BB7_52 Depth=3
	s_mul_i32 s20, s20, 36
	s_mov_b32 m0, s24
	s_wait_xcnt 0x0
	v_mov_b32_e32 v12, s20
	v_movrels_b32_e32 v13, v2
	s_add_nc_u64 s[14:15], s[14:15], 1
	s_add_co_i32 s45, s45, -4
	s_cmp_eq_u32 s14, s27
	ds_load_b32 v12, v12
	s_wait_dscnt 0x0
	v_mul_f32_e32 v14, v13, v12
	v_lshl_add_u64 v[12:13], s[22:23], 2, v[22:23]
	s_delay_alu instid0(VALU_DEP_2)
	v_movreld_b32_e32 v2, v14
	global_store_b32 v[12:13], v14, off
	s_cbranch_scc1 .LBB7_42
.LBB7_52:                               ;   Parent Loop BB7_5 Depth=1
                                        ;     Parent Loop BB7_43 Depth=2
                                        ; =>    This Loop Header: Depth=3
                                        ;         Child Loop BB7_54 Depth 4
	s_cmp_eq_u32 s14, 0
	s_cbranch_scc1 .LBB7_50
; %bb.53:                               ;   in Loop: Header=BB7_52 Depth=3
	s_mov_b64 s[20:21], 0
	s_mov_b32 s22, s45
.LBB7_54:                               ;   Parent Loop BB7_5 Depth=1
                                        ;     Parent Loop BB7_43 Depth=2
                                        ;       Parent Loop BB7_52 Depth=3
                                        ; =>      This Inner Loop Header: Depth=4
	s_wait_xcnt 0x0
	v_mov_b32_e32 v12, s22
	s_mov_b32 m0, s20
	s_add_nc_u64 s[20:21], s[20:21], 1
	v_movrels_b32_e32 v13, v2
	s_mov_b32 m0, s14
	ds_load_b32 v12, v12
	v_movrels_b32_e32 v14, v2
	s_sub_co_i32 s22, s22, 32
	s_cmp_eq_u32 s14, s20
	s_wait_dscnt 0x0
	s_delay_alu instid0(VALU_DEP_1) | instskip(NEXT) | instid1(VALU_DEP_1)
	v_fma_f32 v12, -v13, v12, v14
	v_movreld_b32_e32 v2, v12
	s_cbranch_scc0 .LBB7_54
; %bb.55:                               ;   in Loop: Header=BB7_52 Depth=3
	s_sub_co_i32 s20, s12, s14
	s_mov_b64 s[24:25], s[14:15]
	s_ashr_i32 s21, s20, 31
	s_delay_alu instid0(SALU_CYCLE_1)
	s_mov_b64 s[22:23], s[20:21]
	s_branch .LBB7_51
.LBB7_56:                               ;   Parent Loop BB7_5 Depth=1
                                        ; =>  This Inner Loop Header: Depth=2
	s_cmp_gt_i32 s12, -1
	s_cselect_b32 s14, -1, 0
	s_add_co_i32 s13, s3, 1
	s_cmp_lt_u32 s3, 2
	s_cselect_b32 s3, -1, 0
	s_delay_alu instid0(SALU_CYCLE_1) | instskip(NEXT) | instid1(SALU_CYCLE_1)
	s_and_b32 s3, s14, s3
	s_and_not1_b32 vcc_lo, exec_lo, s3
	s_cbranch_vccnz .LBB7_2
; %bb.57:                               ;   in Loop: Header=BB7_56 Depth=2
	s_mov_b32 s3, s13
	s_load_b32 s18, s[8:9], s3 offset:0x0 scale_offset
	s_wait_kmcnt 0x0
	s_add_co_i32 s26, s18, -1
	s_delay_alu instid0(SALU_CYCLE_1)
	s_cmp_lt_i32 s12, s26
	s_cbranch_scc0 .LBB7_41
	s_branch .LBB7_56
.LBB7_58:
	s_endpgm
	.section	.rodata,"a",@progbits
	.p2align	6, 0x0
	.amdhsa_kernel _ZL30rocblas_trsm_small_left_deviceILi8ELi8ELb0EffPKfPfEv13rocblas_fill_18rocblas_operation_17rocblas_diagonal_iiT3_T4_lilT5_lili
		.amdhsa_group_segment_fixed_size 256
		.amdhsa_private_segment_fixed_size 0
		.amdhsa_kernarg_size 352
		.amdhsa_user_sgpr_count 2
		.amdhsa_user_sgpr_dispatch_ptr 0
		.amdhsa_user_sgpr_queue_ptr 0
		.amdhsa_user_sgpr_kernarg_segment_ptr 1
		.amdhsa_user_sgpr_dispatch_id 0
		.amdhsa_user_sgpr_kernarg_preload_length 0
		.amdhsa_user_sgpr_kernarg_preload_offset 0
		.amdhsa_user_sgpr_private_segment_size 0
		.amdhsa_wavefront_size32 1
		.amdhsa_uses_dynamic_stack 0
		.amdhsa_enable_private_segment 0
		.amdhsa_system_sgpr_workgroup_id_x 1
		.amdhsa_system_sgpr_workgroup_id_y 0
		.amdhsa_system_sgpr_workgroup_id_z 1
		.amdhsa_system_sgpr_workgroup_info 0
		.amdhsa_system_vgpr_workitem_id 0
		.amdhsa_next_free_vgpr 31
		.amdhsa_next_free_sgpr 47
		.amdhsa_named_barrier_count 0
		.amdhsa_reserve_vcc 1
		.amdhsa_float_round_mode_32 0
		.amdhsa_float_round_mode_16_64 0
		.amdhsa_float_denorm_mode_32 3
		.amdhsa_float_denorm_mode_16_64 3
		.amdhsa_fp16_overflow 0
		.amdhsa_memory_ordered 1
		.amdhsa_forward_progress 1
		.amdhsa_inst_pref_size 17
		.amdhsa_round_robin_scheduling 0
		.amdhsa_exception_fp_ieee_invalid_op 0
		.amdhsa_exception_fp_denorm_src 0
		.amdhsa_exception_fp_ieee_div_zero 0
		.amdhsa_exception_fp_ieee_overflow 0
		.amdhsa_exception_fp_ieee_underflow 0
		.amdhsa_exception_fp_ieee_inexact 0
		.amdhsa_exception_int_div_zero 0
	.end_amdhsa_kernel
	.section	.text._ZL30rocblas_trsm_small_left_deviceILi8ELi8ELb0EffPKfPfEv13rocblas_fill_18rocblas_operation_17rocblas_diagonal_iiT3_T4_lilT5_lili,"axG",@progbits,_ZL30rocblas_trsm_small_left_deviceILi8ELi8ELb0EffPKfPfEv13rocblas_fill_18rocblas_operation_17rocblas_diagonal_iiT3_T4_lilT5_lili,comdat
.Lfunc_end7:
	.size	_ZL30rocblas_trsm_small_left_deviceILi8ELi8ELb0EffPKfPfEv13rocblas_fill_18rocblas_operation_17rocblas_diagonal_iiT3_T4_lilT5_lili, .Lfunc_end7-_ZL30rocblas_trsm_small_left_deviceILi8ELi8ELb0EffPKfPfEv13rocblas_fill_18rocblas_operation_17rocblas_diagonal_iiT3_T4_lilT5_lili
                                        ; -- End function
	.set _ZL30rocblas_trsm_small_left_deviceILi8ELi8ELb0EffPKfPfEv13rocblas_fill_18rocblas_operation_17rocblas_diagonal_iiT3_T4_lilT5_lili.num_vgpr, 31
	.set _ZL30rocblas_trsm_small_left_deviceILi8ELi8ELb0EffPKfPfEv13rocblas_fill_18rocblas_operation_17rocblas_diagonal_iiT3_T4_lilT5_lili.num_agpr, 0
	.set _ZL30rocblas_trsm_small_left_deviceILi8ELi8ELb0EffPKfPfEv13rocblas_fill_18rocblas_operation_17rocblas_diagonal_iiT3_T4_lilT5_lili.numbered_sgpr, 47
	.set _ZL30rocblas_trsm_small_left_deviceILi8ELi8ELb0EffPKfPfEv13rocblas_fill_18rocblas_operation_17rocblas_diagonal_iiT3_T4_lilT5_lili.num_named_barrier, 0
	.set _ZL30rocblas_trsm_small_left_deviceILi8ELi8ELb0EffPKfPfEv13rocblas_fill_18rocblas_operation_17rocblas_diagonal_iiT3_T4_lilT5_lili.private_seg_size, 0
	.set _ZL30rocblas_trsm_small_left_deviceILi8ELi8ELb0EffPKfPfEv13rocblas_fill_18rocblas_operation_17rocblas_diagonal_iiT3_T4_lilT5_lili.uses_vcc, 1
	.set _ZL30rocblas_trsm_small_left_deviceILi8ELi8ELb0EffPKfPfEv13rocblas_fill_18rocblas_operation_17rocblas_diagonal_iiT3_T4_lilT5_lili.uses_flat_scratch, 0
	.set _ZL30rocblas_trsm_small_left_deviceILi8ELi8ELb0EffPKfPfEv13rocblas_fill_18rocblas_operation_17rocblas_diagonal_iiT3_T4_lilT5_lili.has_dyn_sized_stack, 0
	.set _ZL30rocblas_trsm_small_left_deviceILi8ELi8ELb0EffPKfPfEv13rocblas_fill_18rocblas_operation_17rocblas_diagonal_iiT3_T4_lilT5_lili.has_recursion, 0
	.set _ZL30rocblas_trsm_small_left_deviceILi8ELi8ELb0EffPKfPfEv13rocblas_fill_18rocblas_operation_17rocblas_diagonal_iiT3_T4_lilT5_lili.has_indirect_call, 0
	.section	.AMDGPU.csdata,"",@progbits
; Kernel info:
; codeLenInByte = 2092
; TotalNumSgprs: 49
; NumVgprs: 31
; ScratchSize: 0
; MemoryBound: 0
; FloatMode: 240
; IeeeMode: 1
; LDSByteSize: 256 bytes/workgroup (compile time only)
; SGPRBlocks: 0
; VGPRBlocks: 1
; NumSGPRsForWavesPerEU: 49
; NumVGPRsForWavesPerEU: 31
; NamedBarCnt: 0
; Occupancy: 16
; WaveLimiterHint : 0
; COMPUTE_PGM_RSRC2:SCRATCH_EN: 0
; COMPUTE_PGM_RSRC2:USER_SGPR: 2
; COMPUTE_PGM_RSRC2:TRAP_HANDLER: 0
; COMPUTE_PGM_RSRC2:TGID_X_EN: 1
; COMPUTE_PGM_RSRC2:TGID_Y_EN: 0
; COMPUTE_PGM_RSRC2:TGID_Z_EN: 1
; COMPUTE_PGM_RSRC2:TIDIG_COMP_CNT: 0
	.section	.text._ZL38rocblas_trsm_small_left_device_sharedBILi8ELi8ELb1EffPKfPfEv13rocblas_fill_18rocblas_operation_17rocblas_diagonal_iiT3_T4_lilT5_lili,"axG",@progbits,_ZL38rocblas_trsm_small_left_device_sharedBILi8ELi8ELb1EffPKfPfEv13rocblas_fill_18rocblas_operation_17rocblas_diagonal_iiT3_T4_lilT5_lili,comdat
	.globl	_ZL38rocblas_trsm_small_left_device_sharedBILi8ELi8ELb1EffPKfPfEv13rocblas_fill_18rocblas_operation_17rocblas_diagonal_iiT3_T4_lilT5_lili ; -- Begin function _ZL38rocblas_trsm_small_left_device_sharedBILi8ELi8ELb1EffPKfPfEv13rocblas_fill_18rocblas_operation_17rocblas_diagonal_iiT3_T4_lilT5_lili
	.p2align	8
	.type	_ZL38rocblas_trsm_small_left_device_sharedBILi8ELi8ELb1EffPKfPfEv13rocblas_fill_18rocblas_operation_17rocblas_diagonal_iiT3_T4_lilT5_lili,@function
_ZL38rocblas_trsm_small_left_device_sharedBILi8ELi8ELb1EffPKfPfEv13rocblas_fill_18rocblas_operation_17rocblas_diagonal_iiT3_T4_lilT5_lili: ; @_ZL38rocblas_trsm_small_left_device_sharedBILi8ELi8ELb1EffPKfPfEv13rocblas_fill_18rocblas_operation_17rocblas_diagonal_iiT3_T4_lilT5_lili
; %bb.0:
	s_load_b32 s18, s[0:1], 0x58
	s_bfe_u32 s2, ttmp6, 0x40014
	s_lshr_b32 s3, ttmp7, 16
	s_add_co_i32 s2, s2, 1
	s_bfe_u32 s4, ttmp6, 0x40008
	s_mul_i32 s2, s3, s2
	s_getreg_b32 s8, hwreg(HW_REG_IB_STS2, 6, 4)
	s_add_co_i32 s4, s4, s2
	s_cmp_eq_u32 s8, 0
	s_cselect_b32 s2, s3, s4
	s_mov_b32 s3, 0
	s_wait_kmcnt 0x0
	s_cmp_ge_u32 s2, s18
	s_cbranch_scc1 .LBB8_61
; %bb.1:
	s_clause 0x3
	s_load_b32 s16, s[0:1], 0x28
	s_load_b96 s[12:14], s[0:1], 0x40
	s_load_b128 s[4:7], s[0:1], 0x4
	s_load_b32 s9, s[0:1], 0x60
	v_dual_mov_b32 v19, 0 :: v_dual_lshlrev_b32 v18, 2, v0
	s_load_b32 s19, s[0:1], 0x14
	v_lshlrev_b32_e32 v10, 5, v0
	s_delay_alu instid0(VALU_DEP_2) | instskip(NEXT) | instid1(VALU_DEP_3)
	v_or_b32_e32 v24, 0x100, v18
	v_dual_mov_b32 v2, v19 :: v_dual_mov_b32 v3, v19
	v_dual_mov_b32 v4, v19 :: v_dual_mov_b32 v5, v19
	;; [unrolled: 1-line block ×3, first 2 shown]
	s_wait_kmcnt 0x0
	s_ashr_i32 s17, s16, 31
	s_delay_alu instid0(SALU_CYCLE_1)
	s_cmp_eq_u64 s[16:17], 1
	s_cselect_b32 s15, -1, 0
	s_bfe_u32 s10, ttmp6, 0x4000c
	s_min_i32 s20, s6, 8
	s_add_co_i32 s10, s10, 1
	s_and_b32 s11, ttmp6, 15
	s_mul_i32 s10, ttmp9, s10
	s_ashr_i32 s33, s14, 31
	s_add_co_i32 s9, s9, -1
	s_add_co_i32 s21, s20, -1
	s_add_co_i32 s11, s11, s10
	s_cmp_eq_u32 s8, 0
	s_cselect_b32 s8, ttmp9, s11
	s_delay_alu instid0(SALU_CYCLE_1) | instskip(NEXT) | instid1(SALU_CYCLE_1)
	s_lshl_b32 s28, s8, 3
	s_sub_co_i32 s7, s7, s28
	s_cmp_ge_u32 s8, s9
	s_load_b128 s[8:11], s[0:1], 0x30
	s_cselect_b32 s7, s7, 8
	s_ashr_i32 s29, s28, 31
	s_cmp_lg_u32 s5, 0x84
	v_cmp_gt_i32_e32 vcc_lo, s7, v0
	s_cselect_b32 s22, -1, 0
	s_cmp_gt_i32 s6, 0
	s_cselect_b32 s5, -1, 0
	s_cmp_lg_u32 s4, 0x6f
	s_cselect_b32 s23, -1, 0
	s_and_b32 s24, vcc_lo, s5
	s_cmp_gt_u32 s20, 1
	s_cselect_b32 s4, -1, 0
	s_and_b32 s25, s20, -2
	s_and_b32 s26, s4, s15
	s_cmp_lg_u32 s20, s25
	s_cselect_b32 s27, -1, 0
	s_lshl_b64 s[4:5], s[28:29], 2
	s_lshl_b64 s[6:7], s[12:13], 2
	v_or_b32_e32 v6, s4, v18
	s_wait_kmcnt 0x0
	s_add_nc_u64 s[6:7], s[10:11], s[6:7]
	s_clause 0x1
	s_load_b128 s[28:31], s[0:1], 0x18
	s_load_b64 s[10:11], s[0:1], 0x50
	s_wait_xcnt 0x0
	v_cmp_gt_i32_e64 s0, s20, v0
	v_mad_nc_u64_u32 v[20:21], v6, s14, s[6:7]
	s_lshl_b32 s1, s20, 2
	s_delay_alu instid0(SALU_CYCLE_1) | instskip(NEXT) | instid1(VALU_DEP_1)
	s_add_co_i32 s1, s1, -4
	v_mad_u32 v7, s5, s14, v21
	s_lshl_b64 s[4:5], s[8:9], 2
	s_wait_kmcnt 0x0
	s_lshl_b64 s[6:7], s[30:31], 2
	s_lshl_b64 s[10:11], s[10:11], 2
	s_add_nc_u64 s[8:9], s[28:29], s[6:7]
	s_lshl_b64 s[6:7], s[16:17], 2
	v_add_nc_u64_e32 v[0:1], s[8:9], v[18:19]
	s_delay_alu instid0(VALU_DEP_2)
	v_mad_u32 v21, v6, s33, v7
	v_dual_mov_b32 v6, v19 :: v_dual_mov_b32 v7, v19
	v_add_nc_u32_e32 v19, v18, v10
	s_get_pc_i64 s[8:9]
	s_add_nc_u64 s[8:9], s[8:9], __const._ZL38rocblas_trsm_small_left_device_sharedBILi8ELi8ELb1EffPKfPfEv13rocblas_fill_18rocblas_operation_17rocblas_diagonal_iiT3_T4_lilT5_lili.step_sizes@rel64+4
	s_branch .LBB8_3
.LBB8_2:                                ;   in Loop: Header=BB8_3 Depth=1
	s_or_b32 exec_lo, exec_lo, s12
	s_delay_alu instid0(VALU_DEP_1) | instskip(SKIP_4) | instid1(SALU_CYCLE_1)
	v_mov_b64_e32 v[2:3], v[10:11]
	v_mov_b64_e32 v[4:5], v[12:13]
	;; [unrolled: 1-line block ×4, first 2 shown]
	s_add_co_i32 s2, s2, 0x10000
	s_cmp_lt_u32 s2, s18
	s_cbranch_scc0 .LBB8_61
.LBB8_3:                                ; =>This Loop Header: Depth=1
                                        ;     Child Loop BB8_6 Depth 2
                                        ;     Child Loop BB8_10 Depth 2
	;; [unrolled: 1-line block ×4, first 2 shown]
                                        ;       Child Loop BB8_22 Depth 3
                                        ;       Child Loop BB8_24 Depth 3
                                        ;         Child Loop BB8_25 Depth 4
                                        ;       Child Loop BB8_30 Depth 3
                                        ;         Child Loop BB8_32 Depth 4
                                        ;     Child Loop BB8_34 Depth 2
                                        ;     Child Loop BB8_39 Depth 2
                                        ;       Child Loop BB8_42 Depth 3
                                        ;         Child Loop BB8_43 Depth 4
                                        ;         Child Loop BB8_46 Depth 4
                                        ;           Child Loop BB8_47 Depth 5
                                        ;         Child Loop BB8_52 Depth 4
                                        ;           Child Loop BB8_54 Depth 5
                                        ;     Child Loop BB8_60 Depth 2
	s_and_saveexec_b32 s16, s0
	s_cbranch_execz .LBB8_14
; %bb.4:                                ;   in Loop: Header=BB8_3 Depth=1
	s_and_not1_b32 vcc_lo, exec_lo, s26
	s_mul_u64 s[12:13], s[4:5], s[2:3]
	s_cbranch_vccnz .LBB8_8
; %bb.5:                                ;   in Loop: Header=BB8_3 Depth=1
	v_add_nc_u64_e32 v[10:11], s[12:13], v[0:1]
	s_mov_b32 s15, 1
	s_wait_xcnt 0x0
	s_mov_b32 s17, 0
	s_mov_b32 s28, s25
.LBB8_6:                                ;   Parent Loop BB8_3 Depth=1
                                        ; =>  This Inner Loop Header: Depth=2
	global_load_b64 v[12:13], v[10:11], off
	s_wait_xcnt 0x0
	v_add_nc_u64_e32 v[10:11], 8, v[10:11]
	v_lshl_or_b32 v14, s17, 5, v18
	v_lshl_or_b32 v15, s15, 5, v18
	s_add_co_i32 s28, s28, -2
	s_add_co_i32 s17, s17, 2
	s_add_co_i32 s15, s15, 2
	s_mov_b32 s14, s25
	s_mov_b32 s29, s27
	s_cmp_lg_u32 s28, 0
	s_wait_loadcnt 0x0
	ds_store_b32 v14, v12
	ds_store_b32 v15, v13
	s_cbranch_scc1 .LBB8_6
; %bb.7:                                ;   in Loop: Header=BB8_3 Depth=1
	s_and_b32 vcc_lo, exec_lo, s29
	s_cbranch_vccnz .LBB8_9
	s_branch .LBB8_11
.LBB8_8:                                ;   in Loop: Header=BB8_3 Depth=1
	s_mov_b32 s14, 0
	s_cbranch_execz .LBB8_11
.LBB8_9:                                ;   in Loop: Header=BB8_3 Depth=1
	s_mov_b32 s15, s3
	v_lshl_or_b32 v12, s14, 5, v18
	s_mul_u64 s[28:29], s[6:7], s[14:15]
	s_delay_alu instid0(SALU_CYCLE_1) | instskip(NEXT) | instid1(SALU_CYCLE_1)
	s_add_nc_u64 s[12:13], s[28:29], s[12:13]
	v_add_nc_u64_e32 v[10:11], s[12:13], v[0:1]
	s_sub_co_i32 s12, s20, s14
.LBB8_10:                               ;   Parent Loop BB8_3 Depth=1
                                        ; =>  This Inner Loop Header: Depth=2
	global_load_b32 v13, v[10:11], off
	s_wait_xcnt 0x0
	v_add_nc_u64_e32 v[10:11], s[6:7], v[10:11]
	s_add_co_i32 s12, s12, -1
	s_delay_alu instid0(SALU_CYCLE_1)
	s_cmp_eq_u32 s12, 0
	s_wait_loadcnt 0x0
	ds_store_b32 v12, v13
	v_add_nc_u32_e32 v12, 32, v12
	s_cbranch_scc0 .LBB8_10
.LBB8_11:                               ;   in Loop: Header=BB8_3 Depth=1
	v_mov_b32_e32 v10, 1.0
	s_and_b32 vcc_lo, exec_lo, s22
	s_cbranch_vccz .LBB8_13
; %bb.12:                               ;   in Loop: Header=BB8_3 Depth=1
	ds_load_b32 v10, v19
	s_wait_dscnt 0x0
	v_div_scale_f32 v11, null, v10, v10, 1.0
	s_delay_alu instid0(VALU_DEP_1) | instskip(SKIP_1) | instid1(TRANS32_DEP_1)
	v_rcp_f32_e32 v12, v11
	v_nop
	v_fma_f32 v13, -v11, v12, 1.0
	s_delay_alu instid0(VALU_DEP_1) | instskip(SKIP_1) | instid1(VALU_DEP_1)
	v_fmac_f32_e32 v12, v13, v12
	v_div_scale_f32 v13, vcc_lo, 1.0, v10, 1.0
	v_mul_f32_e32 v14, v13, v12
	s_delay_alu instid0(VALU_DEP_1) | instskip(NEXT) | instid1(VALU_DEP_1)
	v_fma_f32 v15, -v11, v14, v13
	v_fmac_f32_e32 v14, v15, v12
	s_delay_alu instid0(VALU_DEP_1) | instskip(NEXT) | instid1(VALU_DEP_1)
	v_fma_f32 v11, -v11, v14, v13
	v_div_fmas_f32 v11, v11, v12, v14
	s_delay_alu instid0(VALU_DEP_1)
	v_div_fixup_f32 v10, v11, v10, 1.0
.LBB8_13:                               ;   in Loop: Header=BB8_3 Depth=1
	ds_store_b32 v19, v10
.LBB8_14:                               ;   in Loop: Header=BB8_3 Depth=1
	s_or_b32 exec_lo, exec_lo, s16
	s_delay_alu instid0(VALU_DEP_3) | instskip(NEXT) | instid1(VALU_DEP_1)
	v_mad_nc_u64_u32 v[22:23], s10, s2, v[20:21]
	v_mad_u32 v23, s11, s2, v23
	s_and_saveexec_b32 s12, s24
	s_cbranch_execz .LBB8_17
; %bb.15:                               ;   in Loop: Header=BB8_3 Depth=1
	s_delay_alu instid0(VALU_DEP_1)
	v_mov_b64_e32 v[10:11], v[22:23]
	v_mov_b32_e32 v12, v24
	s_mov_b32 s13, s20
.LBB8_16:                               ;   Parent Loop BB8_3 Depth=1
                                        ; =>  This Inner Loop Header: Depth=2
	global_load_b32 v13, v[10:11], off
	s_wait_xcnt 0x0
	v_add_nc_u64_e32 v[10:11], 4, v[10:11]
	s_add_co_i32 s13, s13, -1
	s_delay_alu instid0(SALU_CYCLE_1)
	s_cmp_lg_u32 s13, 0
	s_wait_loadcnt 0x0
	v_mul_f32_e32 v13, s19, v13
	ds_store_b32 v12, v13
	v_add_nc_u32_e32 v12, 32, v12
	s_cbranch_scc1 .LBB8_16
.LBB8_17:                               ;   in Loop: Header=BB8_3 Depth=1
	s_or_b32 exec_lo, exec_lo, s12
	s_delay_alu instid0(SALU_CYCLE_1)
	s_and_not1_b32 vcc_lo, exec_lo, s23
	s_mov_b32 s12, -1
	s_wait_dscnt 0x0
	; wave barrier
                                        ; implicit-def: $vgpr10_vgpr11_vgpr12_vgpr13_vgpr14_vgpr15_vgpr16_vgpr17
	s_cbranch_vccnz .LBB8_37
; %bb.18:                               ;   in Loop: Header=BB8_3 Depth=1
	v_mov_b64_e32 v[16:17], v[8:9]
	v_mov_b64_e32 v[14:15], v[6:7]
	;; [unrolled: 1-line block ×4, first 2 shown]
	s_wait_xcnt 0x0
	s_mov_b32 s17, 0
	s_mov_b32 s16, s21
	s_load_b32 s28, s[8:9], s17 offset:0x0 scale_offset
	s_wait_kmcnt 0x0
	s_add_co_i32 s29, s28, -1
	s_delay_alu instid0(SALU_CYCLE_1)
	s_cmp_lt_i32 s16, s29
	s_cbranch_scc1 .LBB8_34
.LBB8_19:                               ;   in Loop: Header=BB8_3 Depth=1
	s_lshl_b32 s12, s16, 5
	s_lshl_b32 s13, s28, 5
	v_add_nc_u32_e32 v25, s12, v24
	s_max_i32 s30, s28, 1
	s_sub_co_i32 s31, 0, s13
	s_add_co_i32 s33, s1, s12
	s_mul_i32 s34, s16, 36
	s_mul_i32 s35, s28, 0xffffffdc
	s_branch .LBB8_21
.LBB8_20:                               ;   in Loop: Header=BB8_21 Depth=2
	v_add_nc_u32_e32 v25, s31, v25
	s_sub_co_i32 s16, s16, s28
	s_add_co_i32 s33, s33, s31
	s_add_co_i32 s34, s34, s35
	s_cmp_lt_i32 s16, s29
	s_cbranch_scc1 .LBB8_34
.LBB8_21:                               ;   Parent Loop BB8_3 Depth=1
                                        ; =>  This Loop Header: Depth=2
                                        ;       Child Loop BB8_22 Depth 3
                                        ;       Child Loop BB8_24 Depth 3
                                        ;         Child Loop BB8_25 Depth 4
                                        ;       Child Loop BB8_30 Depth 3
                                        ;         Child Loop BB8_32 Depth 4
	v_mov_b32_e32 v26, v25
	s_mov_b64 s[12:13], 0
.LBB8_22:                               ;   Parent Loop BB8_3 Depth=1
                                        ;     Parent Loop BB8_21 Depth=2
                                        ; =>    This Inner Loop Header: Depth=3
	ds_load_b32 v27, v26
	v_subrev_nc_u32_e32 v26, 32, v26
	s_mov_b32 m0, s12
	s_add_nc_u64 s[12:13], s[12:13], 1
	s_delay_alu instid0(SALU_CYCLE_1)
	s_cmp_eq_u32 s30, s12
	s_wait_dscnt 0x0
	v_movreld_b32_e32 v10, v27
	s_cbranch_scc0 .LBB8_22
; %bb.23:                               ;   in Loop: Header=BB8_21 Depth=2
	s_cmp_le_i32 s21, s16
	s_mov_b32 s14, s33
	s_mov_b32 s15, s21
	s_cbranch_scc1 .LBB8_27
.LBB8_24:                               ;   Parent Loop BB8_3 Depth=1
                                        ;     Parent Loop BB8_21 Depth=2
                                        ; =>    This Loop Header: Depth=3
                                        ;         Child Loop BB8_25 Depth 4
	v_lshl_add_u32 v26, s15, 5, v24
	s_mov_b64 s[12:13], 0
	s_mov_b32 s36, s14
	ds_load_b32 v26, v26
.LBB8_25:                               ;   Parent Loop BB8_3 Depth=1
                                        ;     Parent Loop BB8_21 Depth=2
                                        ;       Parent Loop BB8_24 Depth=3
                                        ; =>      This Inner Loop Header: Depth=4
	v_mov_b32_e32 v27, s36
	s_mov_b32 m0, s12
	s_add_nc_u64 s[12:13], s[12:13], 1
	v_movrels_b32_e32 v28, v10
	s_sub_co_i32 s36, s36, 32
	ds_load_b32 v27, v27
	s_cmp_eq_u32 s30, s12
	s_wait_dscnt 0x0
	v_fma_f32 v27, -v26, v27, v28
	s_delay_alu instid0(VALU_DEP_1)
	v_movreld_b32_e32 v10, v27
	s_cbranch_scc0 .LBB8_25
; %bb.26:                               ;   in Loop: Header=BB8_24 Depth=3
	s_add_co_i32 s15, s15, -1
	s_add_co_i32 s14, s14, -4
	s_cmp_le_i32 s15, s16
	s_cbranch_scc0 .LBB8_24
.LBB8_27:                               ;   in Loop: Header=BB8_21 Depth=2
	s_lshl_b32 s36, s16, 5
	s_mov_b64 s[12:13], 0
	s_mov_b32 s37, s34
	s_branch .LBB8_30
.LBB8_28:                               ;   in Loop: Header=BB8_30 Depth=3
	s_mov_b32 s39, s16
	s_mov_b64 s[14:15], 0
	s_mov_b32 s38, s36
.LBB8_29:                               ;   in Loop: Header=BB8_30 Depth=3
	s_mov_b32 m0, s14
	s_mul_i32 s14, s39, 36
	v_movrels_b32_e32 v27, v10
	v_mov_b32_e32 v26, s14
	s_add_nc_u64 s[12:13], s[12:13], 1
	s_sub_co_i32 s37, s37, 32
	s_cmp_eq_u32 s12, s30
	ds_load_b32 v26, v26
	s_wait_dscnt 0x0
	v_dual_mul_f32 v26, v27, v26 :: v_dual_add_nc_u32 v27, s38, v24
	s_delay_alu instid0(VALU_DEP_1)
	v_movreld_b32_e32 v10, v26
	ds_store_b32 v27, v26
	s_cbranch_scc1 .LBB8_20
.LBB8_30:                               ;   Parent Loop BB8_3 Depth=1
                                        ;     Parent Loop BB8_21 Depth=2
                                        ; =>    This Loop Header: Depth=3
                                        ;         Child Loop BB8_32 Depth 4
	s_cmp_eq_u32 s12, 0
	s_cbranch_scc1 .LBB8_28
; %bb.31:                               ;   in Loop: Header=BB8_30 Depth=3
	s_sub_co_i32 s39, s16, s12
	s_mov_b64 s[14:15], 0
	s_lshl_b32 s38, s39, 5
	s_mov_b32 s40, s37
.LBB8_32:                               ;   Parent Loop BB8_3 Depth=1
                                        ;     Parent Loop BB8_21 Depth=2
                                        ;       Parent Loop BB8_30 Depth=3
                                        ; =>      This Inner Loop Header: Depth=4
	s_delay_alu instid0(SALU_CYCLE_1)
	v_mov_b32_e32 v26, s40
	s_mov_b32 m0, s14
	s_add_nc_u64 s[14:15], s[14:15], 1
	v_movrels_b32_e32 v27, v10
	s_mov_b32 m0, s12
	ds_load_b32 v26, v26
	v_movrels_b32_e32 v28, v10
	s_add_co_i32 s40, s40, -4
	s_cmp_eq_u32 s12, s14
	s_wait_dscnt 0x0
	s_delay_alu instid0(VALU_DEP_1) | instskip(NEXT) | instid1(VALU_DEP_1)
	v_fma_f32 v26, -v27, v26, v28
	v_movreld_b32_e32 v10, v26
	s_cbranch_scc0 .LBB8_32
; %bb.33:                               ;   in Loop: Header=BB8_30 Depth=3
	s_mov_b64 s[14:15], s[12:13]
	s_branch .LBB8_29
.LBB8_34:                               ;   Parent Loop BB8_3 Depth=1
                                        ; =>  This Inner Loop Header: Depth=2
	s_cmp_gt_i32 s16, -1
	s_cselect_b32 s13, -1, 0
	s_add_co_i32 s12, s17, 1
	s_cmp_lt_u32 s17, 2
	s_cselect_b32 s14, -1, 0
	s_delay_alu instid0(SALU_CYCLE_1) | instskip(NEXT) | instid1(SALU_CYCLE_1)
	s_and_b32 s13, s13, s14
	s_and_b32 vcc_lo, exec_lo, s13
	s_cbranch_vccz .LBB8_36
; %bb.35:                               ;   in Loop: Header=BB8_34 Depth=2
	s_wait_xcnt 0x0
	s_mov_b32 s17, s12
	s_load_b32 s28, s[8:9], s17 offset:0x0 scale_offset
	s_wait_kmcnt 0x0
	s_add_co_i32 s29, s28, -1
	s_delay_alu instid0(SALU_CYCLE_1)
	s_cmp_lt_i32 s16, s29
	s_cbranch_scc0 .LBB8_19
	s_branch .LBB8_34
.LBB8_36:                               ;   in Loop: Header=BB8_3 Depth=1
	s_mov_b32 s12, 0
.LBB8_37:                               ;   in Loop: Header=BB8_3 Depth=1
	s_delay_alu instid0(SALU_CYCLE_1)
	s_and_b32 vcc_lo, exec_lo, s12
	s_cbranch_vccz .LBB8_58
; %bb.38:                               ;   in Loop: Header=BB8_3 Depth=1
	s_mov_b32 s16, 0
	s_wait_xcnt 0x0
	s_mov_b32 s17, 0
.LBB8_39:                               ;   Parent Loop BB8_3 Depth=1
                                        ; =>  This Loop Header: Depth=2
                                        ;       Child Loop BB8_42 Depth 3
                                        ;         Child Loop BB8_43 Depth 4
                                        ;         Child Loop BB8_46 Depth 4
                                        ;           Child Loop BB8_47 Depth 5
                                        ;         Child Loop BB8_52 Depth 4
                                        ;           Child Loop BB8_54 Depth 5
	s_load_b32 s28, s[8:9], s17 offset:0x0 scale_offset
	s_wait_kmcnt 0x0
	s_add_co_i32 s29, s28, -1
	s_delay_alu instid0(SALU_CYCLE_1) | instskip(NEXT) | instid1(SALU_CYCLE_1)
	s_add_co_i32 s12, s29, s16
	s_cmp_ge_i32 s12, s20
	s_cbranch_scc1 .LBB8_55
; %bb.40:                               ;   in Loop: Header=BB8_39 Depth=2
	v_lshl_add_u32 v10, s16, 5, v24
	s_max_i32 s30, s28, 1
	s_lshl_b32 s31, s28, 5
	s_lshl_b32 s33, s16, 2
	;; [unrolled: 1-line block ×3, first 2 shown]
	s_mul_i32 s35, s16, 36
	s_mul_i32 s36, s28, 36
	s_branch .LBB8_42
.LBB8_41:                               ;   in Loop: Header=BB8_42 Depth=3
	s_add_co_i32 s16, s16, s28
	v_add_nc_u32_e32 v10, s31, v10
	s_add_co_i32 s12, s29, s16
	s_add_co_i32 s33, s33, s34
	;; [unrolled: 1-line block ×3, first 2 shown]
	s_cmp_ge_i32 s12, s20
	s_cbranch_scc1 .LBB8_55
.LBB8_42:                               ;   Parent Loop BB8_3 Depth=1
                                        ;     Parent Loop BB8_39 Depth=2
                                        ; =>    This Loop Header: Depth=3
                                        ;         Child Loop BB8_43 Depth 4
                                        ;         Child Loop BB8_46 Depth 4
                                        ;           Child Loop BB8_47 Depth 5
                                        ;         Child Loop BB8_52 Depth 4
                                        ;           Child Loop BB8_54 Depth 5
	v_mov_b32_e32 v11, v10
	s_mov_b64 s[12:13], 0
.LBB8_43:                               ;   Parent Loop BB8_3 Depth=1
                                        ;     Parent Loop BB8_39 Depth=2
                                        ;       Parent Loop BB8_42 Depth=3
                                        ; =>      This Inner Loop Header: Depth=4
	ds_load_b32 v12, v11
	v_add_nc_u32_e32 v11, 32, v11
	s_mov_b32 m0, s12
	s_add_nc_u64 s[12:13], s[12:13], 1
	s_delay_alu instid0(SALU_CYCLE_1)
	s_cmp_eq_u32 s30, s12
	s_wait_dscnt 0x0
	v_movreld_b32_e32 v2, v12
	s_cbranch_scc0 .LBB8_43
; %bb.44:                               ;   in Loop: Header=BB8_42 Depth=3
	s_cmp_lt_i32 s16, 1
	s_cbranch_scc1 .LBB8_49
; %bb.45:                               ;   in Loop: Header=BB8_42 Depth=3
	s_mov_b32 s14, 0
	s_mov_b32 s15, s33
.LBB8_46:                               ;   Parent Loop BB8_3 Depth=1
                                        ;     Parent Loop BB8_39 Depth=2
                                        ;       Parent Loop BB8_42 Depth=3
                                        ; =>      This Loop Header: Depth=4
                                        ;           Child Loop BB8_47 Depth 5
	v_lshl_add_u32 v11, s14, 5, v24
	s_mov_b64 s[12:13], 0
	s_mov_b32 s37, s15
	ds_load_b32 v11, v11
.LBB8_47:                               ;   Parent Loop BB8_3 Depth=1
                                        ;     Parent Loop BB8_39 Depth=2
                                        ;       Parent Loop BB8_42 Depth=3
                                        ;         Parent Loop BB8_46 Depth=4
                                        ; =>        This Inner Loop Header: Depth=5
	v_mov_b32_e32 v12, s37
	s_mov_b32 m0, s12
	s_add_nc_u64 s[12:13], s[12:13], 1
	v_movrels_b32_e32 v13, v2
	s_add_co_i32 s37, s37, 4
	ds_load_b32 v12, v12
	s_cmp_eq_u32 s30, s12
	s_wait_dscnt 0x0
	v_fma_f32 v12, -v11, v12, v13
	s_delay_alu instid0(VALU_DEP_1)
	v_movreld_b32_e32 v2, v12
	s_cbranch_scc0 .LBB8_47
; %bb.48:                               ;   in Loop: Header=BB8_46 Depth=4
	s_add_co_i32 s14, s14, 1
	s_add_co_i32 s15, s15, 32
	s_cmp_eq_u32 s14, s16
	s_cbranch_scc0 .LBB8_46
.LBB8_49:                               ;   in Loop: Header=BB8_42 Depth=3
	s_mov_b64 s[12:13], 0
	s_mov_b32 s37, s35
	s_branch .LBB8_52
.LBB8_50:                               ;   in Loop: Header=BB8_52 Depth=4
	s_mov_b64 s[14:15], s[12:13]
.LBB8_51:                               ;   in Loop: Header=BB8_52 Depth=4
	s_delay_alu instid0(SALU_CYCLE_1)
	s_mov_b32 m0, s14
	s_add_co_i32 s14, s12, s16
	v_movrels_b32_e32 v12, v2
	s_mul_i32 s15, s14, 36
	s_add_nc_u64 s[12:13], s[12:13], 1
	v_mov_b32_e32 v11, s15
	s_add_co_i32 s37, s37, 4
	s_cmp_eq_u32 s12, s30
	ds_load_b32 v11, v11
	s_wait_dscnt 0x0
	v_mul_f32_e32 v11, v12, v11
	v_lshl_add_u32 v12, s14, 5, v24
	s_delay_alu instid0(VALU_DEP_2)
	v_movreld_b32_e32 v2, v11
	ds_store_b32 v12, v11
	s_cbranch_scc1 .LBB8_41
.LBB8_52:                               ;   Parent Loop BB8_3 Depth=1
                                        ;     Parent Loop BB8_39 Depth=2
                                        ;       Parent Loop BB8_42 Depth=3
                                        ; =>      This Loop Header: Depth=4
                                        ;           Child Loop BB8_54 Depth 5
	s_mov_b64 s[14:15], 0
	s_cmp_eq_u32 s12, 0
	s_cbranch_scc1 .LBB8_51
; %bb.53:                               ;   in Loop: Header=BB8_52 Depth=4
	s_mov_b32 s38, s37
.LBB8_54:                               ;   Parent Loop BB8_3 Depth=1
                                        ;     Parent Loop BB8_39 Depth=2
                                        ;       Parent Loop BB8_42 Depth=3
                                        ;         Parent Loop BB8_52 Depth=4
                                        ; =>        This Inner Loop Header: Depth=5
	s_delay_alu instid0(SALU_CYCLE_1)
	v_mov_b32_e32 v11, s38
	s_mov_b32 m0, s14
	s_add_nc_u64 s[14:15], s[14:15], 1
	v_movrels_b32_e32 v12, v2
	s_mov_b32 m0, s12
	ds_load_b32 v11, v11
	v_movrels_b32_e32 v13, v2
	s_add_co_i32 s38, s38, 32
	s_cmp_eq_u32 s12, s14
	s_wait_dscnt 0x0
	s_delay_alu instid0(VALU_DEP_1) | instskip(NEXT) | instid1(VALU_DEP_1)
	v_fma_f32 v11, -v12, v11, v13
	v_movreld_b32_e32 v2, v11
	s_cbranch_scc0 .LBB8_54
	s_branch .LBB8_50
.LBB8_55:                               ;   in Loop: Header=BB8_39 Depth=2
	s_cmp_lt_i32 s16, s20
	s_cselect_b32 s13, -1, 0
	s_add_co_i32 s12, s17, 1
	s_cmp_lt_u32 s17, 2
	s_cselect_b32 s14, -1, 0
	s_delay_alu instid0(SALU_CYCLE_1) | instskip(NEXT) | instid1(SALU_CYCLE_1)
	s_and_b32 s13, s13, s14
	s_and_not1_b32 vcc_lo, exec_lo, s13
	s_cbranch_vccnz .LBB8_57
; %bb.56:                               ;   in Loop: Header=BB8_39 Depth=2
	s_wait_xcnt 0x0
	s_mov_b32 s17, s12
	s_branch .LBB8_39
.LBB8_57:                               ;   in Loop: Header=BB8_3 Depth=1
	v_mov_b64_e32 v[16:17], v[8:9]
	v_mov_b64_e32 v[14:15], v[6:7]
	;; [unrolled: 1-line block ×4, first 2 shown]
.LBB8_58:                               ;   in Loop: Header=BB8_3 Depth=1
	s_wait_dscnt 0x0
	; wave barrier
	s_and_saveexec_b32 s12, s24
	s_cbranch_execz .LBB8_2
; %bb.59:                               ;   in Loop: Header=BB8_3 Depth=1
	v_mov_b32_e32 v2, v24
	s_mov_b32 s13, s20
.LBB8_60:                               ;   Parent Loop BB8_3 Depth=1
                                        ; =>  This Inner Loop Header: Depth=2
	ds_load_b32 v3, v2
	v_add_nc_u32_e32 v2, 32, v2
	s_add_co_i32 s13, s13, -1
	s_delay_alu instid0(SALU_CYCLE_1)
	s_cmp_lg_u32 s13, 0
	s_wait_dscnt 0x0
	global_store_b32 v[22:23], v3, off
	s_wait_xcnt 0x0
	v_add_nc_u64_e32 v[22:23], 4, v[22:23]
	s_cbranch_scc1 .LBB8_60
	s_branch .LBB8_2
.LBB8_61:
	s_endpgm
	.section	.rodata,"a",@progbits
	.p2align	6, 0x0
	.amdhsa_kernel _ZL38rocblas_trsm_small_left_device_sharedBILi8ELi8ELb1EffPKfPfEv13rocblas_fill_18rocblas_operation_17rocblas_diagonal_iiT3_T4_lilT5_lili
		.amdhsa_group_segment_fixed_size 512
		.amdhsa_private_segment_fixed_size 0
		.amdhsa_kernarg_size 352
		.amdhsa_user_sgpr_count 2
		.amdhsa_user_sgpr_dispatch_ptr 0
		.amdhsa_user_sgpr_queue_ptr 0
		.amdhsa_user_sgpr_kernarg_segment_ptr 1
		.amdhsa_user_sgpr_dispatch_id 0
		.amdhsa_user_sgpr_kernarg_preload_length 0
		.amdhsa_user_sgpr_kernarg_preload_offset 0
		.amdhsa_user_sgpr_private_segment_size 0
		.amdhsa_wavefront_size32 1
		.amdhsa_uses_dynamic_stack 0
		.amdhsa_enable_private_segment 0
		.amdhsa_system_sgpr_workgroup_id_x 1
		.amdhsa_system_sgpr_workgroup_id_y 0
		.amdhsa_system_sgpr_workgroup_id_z 1
		.amdhsa_system_sgpr_workgroup_info 0
		.amdhsa_system_vgpr_workitem_id 0
		.amdhsa_next_free_vgpr 29
		.amdhsa_next_free_sgpr 41
		.amdhsa_named_barrier_count 0
		.amdhsa_reserve_vcc 1
		.amdhsa_float_round_mode_32 0
		.amdhsa_float_round_mode_16_64 0
		.amdhsa_float_denorm_mode_32 3
		.amdhsa_float_denorm_mode_16_64 3
		.amdhsa_fp16_overflow 0
		.amdhsa_memory_ordered 1
		.amdhsa_forward_progress 1
		.amdhsa_inst_pref_size 17
		.amdhsa_round_robin_scheduling 0
		.amdhsa_exception_fp_ieee_invalid_op 0
		.amdhsa_exception_fp_denorm_src 0
		.amdhsa_exception_fp_ieee_div_zero 0
		.amdhsa_exception_fp_ieee_overflow 0
		.amdhsa_exception_fp_ieee_underflow 0
		.amdhsa_exception_fp_ieee_inexact 0
		.amdhsa_exception_int_div_zero 0
	.end_amdhsa_kernel
	.section	.text._ZL38rocblas_trsm_small_left_device_sharedBILi8ELi8ELb1EffPKfPfEv13rocblas_fill_18rocblas_operation_17rocblas_diagonal_iiT3_T4_lilT5_lili,"axG",@progbits,_ZL38rocblas_trsm_small_left_device_sharedBILi8ELi8ELb1EffPKfPfEv13rocblas_fill_18rocblas_operation_17rocblas_diagonal_iiT3_T4_lilT5_lili,comdat
.Lfunc_end8:
	.size	_ZL38rocblas_trsm_small_left_device_sharedBILi8ELi8ELb1EffPKfPfEv13rocblas_fill_18rocblas_operation_17rocblas_diagonal_iiT3_T4_lilT5_lili, .Lfunc_end8-_ZL38rocblas_trsm_small_left_device_sharedBILi8ELi8ELb1EffPKfPfEv13rocblas_fill_18rocblas_operation_17rocblas_diagonal_iiT3_T4_lilT5_lili
                                        ; -- End function
	.set _ZL38rocblas_trsm_small_left_device_sharedBILi8ELi8ELb1EffPKfPfEv13rocblas_fill_18rocblas_operation_17rocblas_diagonal_iiT3_T4_lilT5_lili.num_vgpr, 29
	.set _ZL38rocblas_trsm_small_left_device_sharedBILi8ELi8ELb1EffPKfPfEv13rocblas_fill_18rocblas_operation_17rocblas_diagonal_iiT3_T4_lilT5_lili.num_agpr, 0
	.set _ZL38rocblas_trsm_small_left_device_sharedBILi8ELi8ELb1EffPKfPfEv13rocblas_fill_18rocblas_operation_17rocblas_diagonal_iiT3_T4_lilT5_lili.numbered_sgpr, 41
	.set _ZL38rocblas_trsm_small_left_device_sharedBILi8ELi8ELb1EffPKfPfEv13rocblas_fill_18rocblas_operation_17rocblas_diagonal_iiT3_T4_lilT5_lili.num_named_barrier, 0
	.set _ZL38rocblas_trsm_small_left_device_sharedBILi8ELi8ELb1EffPKfPfEv13rocblas_fill_18rocblas_operation_17rocblas_diagonal_iiT3_T4_lilT5_lili.private_seg_size, 0
	.set _ZL38rocblas_trsm_small_left_device_sharedBILi8ELi8ELb1EffPKfPfEv13rocblas_fill_18rocblas_operation_17rocblas_diagonal_iiT3_T4_lilT5_lili.uses_vcc, 1
	.set _ZL38rocblas_trsm_small_left_device_sharedBILi8ELi8ELb1EffPKfPfEv13rocblas_fill_18rocblas_operation_17rocblas_diagonal_iiT3_T4_lilT5_lili.uses_flat_scratch, 0
	.set _ZL38rocblas_trsm_small_left_device_sharedBILi8ELi8ELb1EffPKfPfEv13rocblas_fill_18rocblas_operation_17rocblas_diagonal_iiT3_T4_lilT5_lili.has_dyn_sized_stack, 0
	.set _ZL38rocblas_trsm_small_left_device_sharedBILi8ELi8ELb1EffPKfPfEv13rocblas_fill_18rocblas_operation_17rocblas_diagonal_iiT3_T4_lilT5_lili.has_recursion, 0
	.set _ZL38rocblas_trsm_small_left_device_sharedBILi8ELi8ELb1EffPKfPfEv13rocblas_fill_18rocblas_operation_17rocblas_diagonal_iiT3_T4_lilT5_lili.has_indirect_call, 0
	.section	.AMDGPU.csdata,"",@progbits
; Kernel info:
; codeLenInByte = 2164
; TotalNumSgprs: 43
; NumVgprs: 29
; ScratchSize: 0
; MemoryBound: 0
; FloatMode: 240
; IeeeMode: 1
; LDSByteSize: 512 bytes/workgroup (compile time only)
; SGPRBlocks: 0
; VGPRBlocks: 1
; NumSGPRsForWavesPerEU: 43
; NumVGPRsForWavesPerEU: 29
; NamedBarCnt: 0
; Occupancy: 16
; WaveLimiterHint : 0
; COMPUTE_PGM_RSRC2:SCRATCH_EN: 0
; COMPUTE_PGM_RSRC2:USER_SGPR: 2
; COMPUTE_PGM_RSRC2:TRAP_HANDLER: 0
; COMPUTE_PGM_RSRC2:TGID_X_EN: 1
; COMPUTE_PGM_RSRC2:TGID_Y_EN: 0
; COMPUTE_PGM_RSRC2:TGID_Z_EN: 1
; COMPUTE_PGM_RSRC2:TIDIG_COMP_CNT: 0
	.section	.text._ZL30rocblas_trsm_small_left_deviceILi8ELi8ELb1EffPKfPfEv13rocblas_fill_18rocblas_operation_17rocblas_diagonal_iiT3_T4_lilT5_lili,"axG",@progbits,_ZL30rocblas_trsm_small_left_deviceILi8ELi8ELb1EffPKfPfEv13rocblas_fill_18rocblas_operation_17rocblas_diagonal_iiT3_T4_lilT5_lili,comdat
	.globl	_ZL30rocblas_trsm_small_left_deviceILi8ELi8ELb1EffPKfPfEv13rocblas_fill_18rocblas_operation_17rocblas_diagonal_iiT3_T4_lilT5_lili ; -- Begin function _ZL30rocblas_trsm_small_left_deviceILi8ELi8ELb1EffPKfPfEv13rocblas_fill_18rocblas_operation_17rocblas_diagonal_iiT3_T4_lilT5_lili
	.p2align	8
	.type	_ZL30rocblas_trsm_small_left_deviceILi8ELi8ELb1EffPKfPfEv13rocblas_fill_18rocblas_operation_17rocblas_diagonal_iiT3_T4_lilT5_lili,@function
_ZL30rocblas_trsm_small_left_deviceILi8ELi8ELb1EffPKfPfEv13rocblas_fill_18rocblas_operation_17rocblas_diagonal_iiT3_T4_lilT5_lili: ; @_ZL30rocblas_trsm_small_left_deviceILi8ELi8ELb1EffPKfPfEv13rocblas_fill_18rocblas_operation_17rocblas_diagonal_iiT3_T4_lilT5_lili
; %bb.0:
	s_load_b32 s28, s[0:1], 0x58
	s_bfe_u32 s2, ttmp6, 0x40014
	s_lshr_b32 s4, ttmp7, 16
	s_add_co_i32 s2, s2, 1
	s_bfe_u32 s5, ttmp6, 0x40008
	s_mul_i32 s2, s4, s2
	s_getreg_b32 s3, hwreg(HW_REG_IB_STS2, 6, 4)
	s_add_co_i32 s5, s5, s2
	s_cmp_eq_u32 s3, 0
	s_mov_b32 s19, 0
	s_cselect_b32 s2, s4, s5
	s_wait_kmcnt 0x0
	s_cmp_ge_u32 s2, s28
	s_cbranch_scc1 .LBB9_57
; %bb.1:
	s_clause 0x5
	s_load_b32 s20, s[0:1], 0x28
	s_load_b96 s[16:18], s[0:1], 0x40
	s_load_b128 s[4:7], s[0:1], 0x4
	s_load_b32 s8, s[0:1], 0x60
	s_load_b32 s29, s[0:1], 0x14
	s_load_b128 s[12:15], s[0:1], 0x18
	v_dual_lshlrev_b32 v18, 2, v0 :: v_dual_lshlrev_b32 v1, 5, v0
	s_mov_b32 s39, 0
	s_delay_alu instid0(VALU_DEP_1) | instskip(NEXT) | instid1(VALU_DEP_1)
	v_dual_mov_b32 v19, 0 :: v_dual_add_nc_u32 v28, v18, v1
	v_dual_mov_b32 v9, v19 :: v_dual_mov_b32 v2, v19
	v_dual_mov_b32 v3, v19 :: v_dual_mov_b32 v7, v19
	;; [unrolled: 1-line block ×3, first 2 shown]
	s_wait_kmcnt 0x0
	s_ashr_i32 s21, s20, 31
	s_mov_b32 s22, s18
	s_cmp_eq_u64 s[20:21], 1
	s_cselect_b32 s26, -1, 0
	s_min_i32 s30, s6, 8
	s_bfe_u32 s6, ttmp6, 0x4000c
	s_add_co_i32 s27, s8, -1
	s_add_co_i32 s6, s6, 1
	s_and_b32 s8, ttmp6, 15
	s_mul_i32 s6, ttmp9, s6
	s_ashr_i32 s23, s18, 31
	s_lshl_b64 s[24:25], s[16:17], 2
	s_add_co_i32 s31, s30, -1
	s_add_co_i32 s8, s8, s6
	s_cmp_eq_u32 s3, 0
	s_load_b64 s[16:17], s[0:1], 0x50
	s_cselect_b32 s3, ttmp9, s8
	s_load_b128 s[8:11], s[0:1], 0x30
	s_lshl_b32 s6, s3, 3
	s_delay_alu instid0(SALU_CYCLE_1)
	v_or_b32_e32 v4, s6, v0
	s_wait_xcnt 0x0
	s_sub_co_i32 s0, s7, s6
	s_cmp_ge_u32 s3, s27
	s_cselect_b32 s1, s0, 8
	v_ashrrev_i32_e32 v5, 31, v4
	s_cmp_lg_u32 s5, 0x84
	v_cmp_gt_i32_e64 s0, s30, v0
	s_cselect_b32 s33, -1, 0
	s_cmp_lg_u32 s4, 0x6f
	v_mul_u64_e32 v[10:11], s[22:23], v[4:5]
	s_cselect_b32 s34, -1, 0
	s_cmp_gt_u32 s30, 1
	v_cmp_gt_i32_e64 s1, s1, v0
	s_cselect_b32 s3, -1, 0
	s_and_b32 s35, s30, -2
	s_and_b32 s36, s3, s26
	s_cmp_lg_u32 s30, s35
	s_wait_kmcnt 0x0
	s_add_nc_u64 s[10:11], s[10:11], s[24:25]
	s_cselect_b32 s37, -1, 0
	s_lshl_b64 s[14:15], s[14:15], 2
	s_lshl_b64 s[4:5], s[8:9], 2
	s_add_nc_u64 s[8:9], s[12:13], s[14:15]
	v_mov_b32_e32 v4, v19
	v_add_nc_u64_e32 v[0:1], s[8:9], v[18:19]
	v_mov_b32_e32 v5, v19
	s_lshl_b32 s38, s30, 2
	s_lshl_b64 s[6:7], s[20:21], 2
	s_add_co_i32 s38, s38, -4
	s_get_pc_i64 s[8:9]
	s_add_nc_u64 s[8:9], s[8:9], __const._ZL30rocblas_trsm_small_left_deviceILi8ELi8ELb1EffPKfPfEv13rocblas_fill_18rocblas_operation_17rocblas_diagonal_iiT3_T4_lilT5_lili.step_sizes@rel64+4
	v_lshl_add_u64 v[20:21], v[10:11], 2, s[10:11]
	s_lshl_b64 s[10:11], s[16:17], 2
	s_branch .LBB9_5
.LBB9_2:                                ;   in Loop: Header=BB9_5 Depth=1
	s_wait_xcnt 0x0
	v_mov_b64_e32 v[16:17], v[8:9]
	v_mov_b64_e32 v[14:15], v[6:7]
	;; [unrolled: 1-line block ×4, first 2 shown]
.LBB9_3:                                ;   in Loop: Header=BB9_5 Depth=1
	s_add_co_i32 s2, s2, 0x10000
	s_delay_alu instid0(SALU_CYCLE_1) | instskip(SKIP_1) | instid1(SALU_CYCLE_1)
	s_cmp_ge_u32 s2, s28
	s_cselect_b32 s3, -1, 0
	s_or_not1_b32 s12, s3, exec_lo
.LBB9_4:                                ;   in Loop: Header=BB9_5 Depth=1
	s_wait_xcnt 0x0
	s_or_b32 exec_lo, exec_lo, s40
	v_mov_b64_e32 v[2:3], v[10:11]
	v_mov_b64_e32 v[4:5], v[12:13]
	;; [unrolled: 1-line block ×4, first 2 shown]
	s_and_b32 s3, exec_lo, s12
	s_delay_alu instid0(SALU_CYCLE_1) | instskip(NEXT) | instid1(SALU_CYCLE_1)
	s_or_b32 s39, s3, s39
	s_and_not1_b32 exec_lo, exec_lo, s39
	s_cbranch_execz .LBB9_57
.LBB9_5:                                ; =>This Loop Header: Depth=1
                                        ;     Child Loop BB9_8 Depth 2
                                        ;     Child Loop BB9_12 Depth 2
	;; [unrolled: 1-line block ×3, first 2 shown]
                                        ;       Child Loop BB9_22 Depth 3
                                        ;       Child Loop BB9_24 Depth 3
                                        ;         Child Loop BB9_25 Depth 4
                                        ;       Child Loop BB9_30 Depth 3
                                        ;         Child Loop BB9_32 Depth 4
                                        ;     Child Loop BB9_34 Depth 2
                                        ;     Child Loop BB9_39 Depth 2
                                        ;       Child Loop BB9_42 Depth 3
                                        ;         Child Loop BB9_43 Depth 4
                                        ;         Child Loop BB9_46 Depth 4
                                        ;           Child Loop BB9_47 Depth 5
                                        ;         Child Loop BB9_52 Depth 4
                                        ;           Child Loop BB9_54 Depth 5
	s_mov_b32 s3, s19
	s_and_saveexec_b32 s14, s0
	s_cbranch_execz .LBB9_16
; %bb.6:                                ;   in Loop: Header=BB9_5 Depth=1
	s_and_not1_b32 vcc_lo, exec_lo, s36
	s_mul_u64 s[12:13], s[4:5], s[2:3]
	s_cbranch_vccnz .LBB9_10
; %bb.7:                                ;   in Loop: Header=BB9_5 Depth=1
	v_add_nc_u64_e32 v[10:11], s[12:13], v[0:1]
	s_mov_b32 s15, 1
	s_mov_b32 s20, 0
	;; [unrolled: 1-line block ×3, first 2 shown]
.LBB9_8:                                ;   Parent Loop BB9_5 Depth=1
                                        ; =>  This Inner Loop Header: Depth=2
	global_load_b64 v[12:13], v[10:11], off
	s_wait_xcnt 0x0
	v_add_nc_u64_e32 v[10:11], 8, v[10:11]
	v_lshl_or_b32 v14, s20, 5, v18
	v_lshl_or_b32 v15, s15, 5, v18
	s_add_co_i32 s21, s21, -2
	s_add_co_i32 s20, s20, 2
	s_add_co_i32 s15, s15, 2
	s_mov_b32 s18, s35
	s_mov_b32 s22, s37
	s_cmp_lg_u32 s21, 0
	s_wait_loadcnt 0x0
	ds_store_b32 v14, v12
	ds_store_b32 v15, v13
	s_cbranch_scc1 .LBB9_8
; %bb.9:                                ;   in Loop: Header=BB9_5 Depth=1
	s_and_b32 vcc_lo, exec_lo, s22
	s_cbranch_vccnz .LBB9_11
	s_branch .LBB9_13
.LBB9_10:                               ;   in Loop: Header=BB9_5 Depth=1
	s_mov_b32 s18, 0
	s_cbranch_execz .LBB9_13
.LBB9_11:                               ;   in Loop: Header=BB9_5 Depth=1
	s_mul_u64 s[20:21], s[6:7], s[18:19]
	v_lshl_or_b32 v12, s18, 5, v18
	s_add_nc_u64 s[12:13], s[20:21], s[12:13]
	s_delay_alu instid0(SALU_CYCLE_1)
	v_add_nc_u64_e32 v[10:11], s[12:13], v[0:1]
	s_sub_co_i32 s12, s30, s18
.LBB9_12:                               ;   Parent Loop BB9_5 Depth=1
                                        ; =>  This Inner Loop Header: Depth=2
	global_load_b32 v13, v[10:11], off
	s_wait_xcnt 0x0
	v_add_nc_u64_e32 v[10:11], s[6:7], v[10:11]
	s_add_co_i32 s12, s12, -1
	s_delay_alu instid0(SALU_CYCLE_1)
	s_cmp_eq_u32 s12, 0
	s_wait_loadcnt 0x0
	ds_store_b32 v12, v13
	v_add_nc_u32_e32 v12, 32, v12
	s_cbranch_scc0 .LBB9_12
.LBB9_13:                               ;   in Loop: Header=BB9_5 Depth=1
	v_mov_b32_e32 v10, 1.0
	s_and_b32 vcc_lo, exec_lo, s33
	s_cbranch_vccz .LBB9_15
; %bb.14:                               ;   in Loop: Header=BB9_5 Depth=1
	ds_load_b32 v10, v28
	s_wait_dscnt 0x0
	v_div_scale_f32 v11, null, v10, v10, 1.0
	s_delay_alu instid0(VALU_DEP_1) | instskip(SKIP_1) | instid1(TRANS32_DEP_1)
	v_rcp_f32_e32 v12, v11
	v_nop
	v_fma_f32 v13, -v11, v12, 1.0
	s_delay_alu instid0(VALU_DEP_1) | instskip(SKIP_1) | instid1(VALU_DEP_1)
	v_fmac_f32_e32 v12, v13, v12
	v_div_scale_f32 v13, vcc_lo, 1.0, v10, 1.0
	v_mul_f32_e32 v14, v13, v12
	s_delay_alu instid0(VALU_DEP_1) | instskip(NEXT) | instid1(VALU_DEP_1)
	v_fma_f32 v15, -v11, v14, v13
	v_fmac_f32_e32 v14, v15, v12
	s_delay_alu instid0(VALU_DEP_1) | instskip(NEXT) | instid1(VALU_DEP_1)
	v_fma_f32 v11, -v11, v14, v13
	v_div_fmas_f32 v11, v11, v12, v14
	s_delay_alu instid0(VALU_DEP_1)
	v_div_fixup_f32 v10, v11, v10, 1.0
.LBB9_15:                               ;   in Loop: Header=BB9_5 Depth=1
	ds_store_b32 v28, v10
.LBB9_16:                               ;   in Loop: Header=BB9_5 Depth=1
	s_or_b32 exec_lo, exec_lo, s14
	s_mov_b32 s12, -1
	s_wait_dscnt 0x0
	; wave barrier
                                        ; implicit-def: $vgpr10_vgpr11_vgpr12_vgpr13_vgpr14_vgpr15_vgpr16_vgpr17
	s_and_saveexec_b32 s40, s1
	s_cbranch_execz .LBB9_4
; %bb.17:                               ;   in Loop: Header=BB9_5 Depth=1
	s_mul_u64 s[12:13], s[16:17], s[2:3]
	s_and_not1_b32 vcc_lo, exec_lo, s34
	v_lshl_add_u64 v[22:23], s[12:13], 2, v[20:21]
	s_mul_u64 s[12:13], s[10:11], s[2:3]
	s_mov_b32 s3, -1
                                        ; implicit-def: $vgpr10_vgpr11_vgpr12_vgpr13_vgpr14_vgpr15_vgpr16_vgpr17
	s_cbranch_vccnz .LBB9_37
; %bb.18:                               ;   in Loop: Header=BB9_5 Depth=1
	v_mov_b64_e32 v[16:17], v[8:9]
	v_add_nc_u64_e32 v[24:25], s[12:13], v[20:21]
	v_mov_b64_e32 v[14:15], v[6:7]
	v_mov_b64_e32 v[12:13], v[4:5]
	;; [unrolled: 1-line block ×3, first 2 shown]
	s_mov_b32 s3, 0
	s_mov_b32 s14, s31
	s_load_b32 s18, s[8:9], s3 offset:0x0 scale_offset
	s_wait_kmcnt 0x0
	s_add_co_i32 s41, s18, -1
	s_delay_alu instid0(SALU_CYCLE_1)
	s_cmp_lt_i32 s14, s41
	s_cbranch_scc1 .LBB9_34
.LBB9_19:                               ;   in Loop: Header=BB9_5 Depth=1
	s_lshl_b32 s15, s14, 5
	s_lshl_b32 s20, s18, 5
	s_max_i32 s42, s18, 1
	s_add_co_i32 s43, s38, s15
	s_sub_co_i32 s44, 0, s20
	s_mul_i32 s45, s14, 36
	s_mul_i32 s46, s18, 0xffffffdc
	s_branch .LBB9_21
.LBB9_20:                               ;   in Loop: Header=BB9_21 Depth=2
	s_sub_co_i32 s14, s14, s18
	s_add_co_i32 s43, s43, s44
	s_add_co_i32 s45, s45, s46
	s_cmp_lt_i32 s14, s41
	s_cbranch_scc1 .LBB9_34
.LBB9_21:                               ;   Parent Loop BB9_5 Depth=1
                                        ; =>  This Loop Header: Depth=2
                                        ;       Child Loop BB9_22 Depth 3
                                        ;       Child Loop BB9_24 Depth 3
                                        ;         Child Loop BB9_25 Depth 4
                                        ;       Child Loop BB9_30 Depth 3
                                        ;         Child Loop BB9_32 Depth 4
	s_ashr_i32 s15, s14, 31
	s_mov_b64 s[20:21], 0
	s_wait_xcnt 0x0
	v_lshl_add_u64 v[26:27], s[14:15], 2, v[24:25]
.LBB9_22:                               ;   Parent Loop BB9_5 Depth=1
                                        ;     Parent Loop BB9_21 Depth=2
                                        ; =>    This Inner Loop Header: Depth=3
	global_load_b32 v19, v[26:27], off
	s_wait_xcnt 0x0
	v_add_nc_u64_e32 v[26:27], -4, v[26:27]
	s_mov_b32 m0, s20
	s_add_nc_u64 s[20:21], s[20:21], 1
	s_delay_alu instid0(SALU_CYCLE_1) | instskip(SKIP_2) | instid1(VALU_DEP_1)
	s_cmp_eq_u32 s42, s20
	s_wait_loadcnt 0x0
	v_mul_f32_e32 v19, s29, v19
	v_movreld_b32_e32 v10, v19
	s_cbranch_scc0 .LBB9_22
; %bb.23:                               ;   in Loop: Header=BB9_21 Depth=2
	s_cmp_le_i32 s31, s14
	s_mov_b32 s24, s43
	s_mov_b32 s20, s31
	s_cbranch_scc1 .LBB9_27
.LBB9_24:                               ;   Parent Loop BB9_5 Depth=1
                                        ;     Parent Loop BB9_21 Depth=2
                                        ; =>    This Loop Header: Depth=3
                                        ;         Child Loop BB9_25 Depth 4
	s_ashr_i32 s21, s20, 31
	s_mov_b64 s[22:23], 0
	v_lshl_add_u64 v[26:27], s[20:21], 2, v[22:23]
	s_mov_b32 s21, s24
	global_load_b32 v19, v[26:27], off
.LBB9_25:                               ;   Parent Loop BB9_5 Depth=1
                                        ;     Parent Loop BB9_21 Depth=2
                                        ;       Parent Loop BB9_24 Depth=3
                                        ; =>      This Inner Loop Header: Depth=4
	s_wait_xcnt 0x0
	v_mov_b32_e32 v26, s21
	s_mov_b32 m0, s22
	s_add_nc_u64 s[22:23], s[22:23], 1
	v_movrels_b32_e32 v27, v10
	s_sub_co_i32 s21, s21, 32
	ds_load_b32 v26, v26
	s_cmp_eq_u32 s42, s22
	s_wait_loadcnt_dscnt 0x0
	v_fma_f32 v26, -v19, v26, v27
	s_delay_alu instid0(VALU_DEP_1)
	v_movreld_b32_e32 v10, v26
	s_cbranch_scc0 .LBB9_25
; %bb.26:                               ;   in Loop: Header=BB9_24 Depth=3
	s_add_co_i32 s20, s20, -1
	s_add_co_i32 s24, s24, -4
	s_cmp_le_i32 s20, s14
	s_cbranch_scc0 .LBB9_24
.LBB9_27:                               ;   in Loop: Header=BB9_21 Depth=2
	s_mov_b64 s[20:21], 0
	s_mov_b32 s47, s45
	s_branch .LBB9_30
.LBB9_28:                               ;   in Loop: Header=BB9_30 Depth=3
	s_mov_b32 s22, s14
	s_mov_b64 s[26:27], 0
	s_mov_b64 s[24:25], s[14:15]
.LBB9_29:                               ;   in Loop: Header=BB9_30 Depth=3
	s_mul_i32 s22, s22, 36
	s_mov_b32 m0, s26
	s_wait_xcnt 0x0
	v_mov_b32_e32 v19, s22
	v_movrels_b32_e32 v26, v10
	s_add_nc_u64 s[20:21], s[20:21], 1
	s_sub_co_i32 s47, s47, 32
	s_cmp_eq_u32 s20, s42
	ds_load_b32 v19, v19
	s_wait_dscnt 0x0
	v_mul_f32_e32 v19, v26, v19
	v_lshl_add_u64 v[26:27], s[24:25], 2, v[22:23]
	s_delay_alu instid0(VALU_DEP_2)
	v_movreld_b32_e32 v10, v19
	global_store_b32 v[26:27], v19, off
	s_cbranch_scc1 .LBB9_20
.LBB9_30:                               ;   Parent Loop BB9_5 Depth=1
                                        ;     Parent Loop BB9_21 Depth=2
                                        ; =>    This Loop Header: Depth=3
                                        ;         Child Loop BB9_32 Depth 4
	s_cmp_eq_u32 s20, 0
	s_cbranch_scc1 .LBB9_28
; %bb.31:                               ;   in Loop: Header=BB9_30 Depth=3
	s_mov_b64 s[22:23], 0
	s_mov_b32 s24, s47
.LBB9_32:                               ;   Parent Loop BB9_5 Depth=1
                                        ;     Parent Loop BB9_21 Depth=2
                                        ;       Parent Loop BB9_30 Depth=3
                                        ; =>      This Inner Loop Header: Depth=4
	s_wait_xcnt 0x0
	v_mov_b32_e32 v19, s24
	s_mov_b32 m0, s22
	s_add_nc_u64 s[22:23], s[22:23], 1
	v_movrels_b32_e32 v26, v10
	s_mov_b32 m0, s20
	ds_load_b32 v19, v19
	v_movrels_b32_e32 v27, v10
	s_add_co_i32 s24, s24, -4
	s_cmp_eq_u32 s20, s22
	s_wait_dscnt 0x0
	s_delay_alu instid0(VALU_DEP_1) | instskip(NEXT) | instid1(VALU_DEP_1)
	v_fma_f32 v19, -v26, v19, v27
	v_movreld_b32_e32 v10, v19
	s_cbranch_scc0 .LBB9_32
; %bb.33:                               ;   in Loop: Header=BB9_30 Depth=3
	s_sub_co_i32 s22, s14, s20
	s_mov_b64 s[26:27], s[20:21]
	s_ashr_i32 s23, s22, 31
	s_delay_alu instid0(SALU_CYCLE_1)
	s_mov_b64 s[24:25], s[22:23]
	s_branch .LBB9_29
.LBB9_34:                               ;   Parent Loop BB9_5 Depth=1
                                        ; =>  This Inner Loop Header: Depth=2
	s_cmp_gt_i32 s14, -1
	s_cselect_b32 s18, -1, 0
	s_add_co_i32 s15, s3, 1
	s_cmp_lt_u32 s3, 2
	s_wait_xcnt 0x0
	s_cselect_b32 s3, -1, 0
	s_delay_alu instid0(SALU_CYCLE_1) | instskip(NEXT) | instid1(SALU_CYCLE_1)
	s_and_b32 s3, s18, s3
	s_and_b32 vcc_lo, exec_lo, s3
	s_cbranch_vccz .LBB9_36
; %bb.35:                               ;   in Loop: Header=BB9_34 Depth=2
	s_mov_b32 s3, s15
	s_load_b32 s18, s[8:9], s3 offset:0x0 scale_offset
	s_wait_kmcnt 0x0
	s_add_co_i32 s41, s18, -1
	s_delay_alu instid0(SALU_CYCLE_1)
	s_cmp_lt_i32 s14, s41
	s_cbranch_scc0 .LBB9_19
	s_branch .LBB9_34
.LBB9_36:                               ;   in Loop: Header=BB9_5 Depth=1
	s_mov_b32 s3, 0
.LBB9_37:                               ;   in Loop: Header=BB9_5 Depth=1
	s_delay_alu instid0(SALU_CYCLE_1)
	s_and_b32 vcc_lo, exec_lo, s3
	s_cbranch_vccz .LBB9_3
; %bb.38:                               ;   in Loop: Header=BB9_5 Depth=1
	v_add_nc_u64_e32 v[10:11], s[12:13], v[20:21]
	s_mov_b32 s12, 0
	s_mov_b32 s3, 0
.LBB9_39:                               ;   Parent Loop BB9_5 Depth=1
                                        ; =>  This Loop Header: Depth=2
                                        ;       Child Loop BB9_42 Depth 3
                                        ;         Child Loop BB9_43 Depth 4
                                        ;         Child Loop BB9_46 Depth 4
                                        ;           Child Loop BB9_47 Depth 5
                                        ;         Child Loop BB9_52 Depth 4
                                        ;           Child Loop BB9_54 Depth 5
	s_load_b32 s14, s[8:9], s3 offset:0x0 scale_offset
	s_wait_kmcnt 0x0
	s_add_co_i32 s26, s14, -1
	s_delay_alu instid0(SALU_CYCLE_1) | instskip(NEXT) | instid1(SALU_CYCLE_1)
	s_add_co_i32 s13, s26, s12
	s_cmp_ge_i32 s13, s30
	s_cbranch_scc1 .LBB9_55
; %bb.40:                               ;   in Loop: Header=BB9_39 Depth=2
	s_ashr_i32 s13, s12, 31
	s_ashr_i32 s15, s14, 31
	v_lshl_add_u64 v[12:13], s[12:13], 2, v[10:11]
	s_max_i32 s27, s14, 1
	s_lshl_b64 s[20:21], s[14:15], 2
	s_lshl_b32 s13, s12, 2
	s_lshl_b32 s15, s14, 2
	s_mul_i32 s41, s12, 36
	s_mul_i32 s42, s14, 36
	s_branch .LBB9_42
.LBB9_41:                               ;   in Loop: Header=BB9_42 Depth=3
	v_add_nc_u64_e32 v[12:13], s[20:21], v[12:13]
	s_add_co_i32 s12, s12, s14
	s_add_co_i32 s13, s13, s15
	s_add_co_i32 s18, s26, s12
	s_add_co_i32 s41, s41, s42
	s_cmp_ge_i32 s18, s30
	s_cbranch_scc1 .LBB9_55
.LBB9_42:                               ;   Parent Loop BB9_5 Depth=1
                                        ;     Parent Loop BB9_39 Depth=2
                                        ; =>    This Loop Header: Depth=3
                                        ;         Child Loop BB9_43 Depth 4
                                        ;         Child Loop BB9_46 Depth 4
                                        ;           Child Loop BB9_47 Depth 5
                                        ;         Child Loop BB9_52 Depth 4
                                        ;           Child Loop BB9_54 Depth 5
	s_wait_xcnt 0x0
	v_mov_b64_e32 v[14:15], v[12:13]
	s_mov_b64 s[22:23], 0
.LBB9_43:                               ;   Parent Loop BB9_5 Depth=1
                                        ;     Parent Loop BB9_39 Depth=2
                                        ;       Parent Loop BB9_42 Depth=3
                                        ; =>      This Inner Loop Header: Depth=4
	global_load_b32 v16, v[14:15], off
	s_wait_xcnt 0x0
	v_add_nc_u64_e32 v[14:15], 4, v[14:15]
	s_mov_b32 m0, s22
	s_add_nc_u64 s[22:23], s[22:23], 1
	s_delay_alu instid0(SALU_CYCLE_1) | instskip(SKIP_2) | instid1(VALU_DEP_1)
	s_cmp_eq_u32 s27, s22
	s_wait_loadcnt 0x0
	v_mul_f32_e32 v16, s29, v16
	v_movreld_b32_e32 v2, v16
	s_cbranch_scc0 .LBB9_43
; %bb.44:                               ;   in Loop: Header=BB9_42 Depth=3
	s_cmp_lt_i32 s12, 1
	s_cbranch_scc1 .LBB9_49
; %bb.45:                               ;   in Loop: Header=BB9_42 Depth=3
	s_mov_b32 s18, 0
	s_mov_b32 s24, s13
.LBB9_46:                               ;   Parent Loop BB9_5 Depth=1
                                        ;     Parent Loop BB9_39 Depth=2
                                        ;       Parent Loop BB9_42 Depth=3
                                        ; =>      This Loop Header: Depth=4
                                        ;           Child Loop BB9_47 Depth 5
	v_lshl_add_u64 v[14:15], s[18:19], 2, v[22:23]
	s_mov_b64 s[22:23], 0
	s_mov_b32 s25, s24
	global_load_b32 v14, v[14:15], off
.LBB9_47:                               ;   Parent Loop BB9_5 Depth=1
                                        ;     Parent Loop BB9_39 Depth=2
                                        ;       Parent Loop BB9_42 Depth=3
                                        ;         Parent Loop BB9_46 Depth=4
                                        ; =>        This Inner Loop Header: Depth=5
	s_wait_xcnt 0x0
	v_mov_b32_e32 v15, s25
	s_mov_b32 m0, s22
	s_add_nc_u64 s[22:23], s[22:23], 1
	v_movrels_b32_e32 v16, v2
	s_add_co_i32 s25, s25, 4
	ds_load_b32 v15, v15
	s_cmp_eq_u32 s27, s22
	s_wait_loadcnt_dscnt 0x0
	v_fma_f32 v15, -v14, v15, v16
	s_delay_alu instid0(VALU_DEP_1)
	v_movreld_b32_e32 v2, v15
	s_cbranch_scc0 .LBB9_47
; %bb.48:                               ;   in Loop: Header=BB9_46 Depth=4
	s_add_co_i32 s18, s18, 1
	s_add_co_i32 s24, s24, 32
	s_cmp_eq_u32 s18, s12
	s_cbranch_scc0 .LBB9_46
.LBB9_49:                               ;   in Loop: Header=BB9_42 Depth=3
	s_mov_b64 s[22:23], 0
	s_mov_b32 s18, s41
	s_branch .LBB9_52
.LBB9_50:                               ;   in Loop: Header=BB9_52 Depth=4
	s_mov_b64 s[24:25], s[22:23]
.LBB9_51:                               ;   in Loop: Header=BB9_52 Depth=4
	s_delay_alu instid0(SALU_CYCLE_1)
	s_mov_b32 m0, s24
	s_add_co_i32 s24, s22, s12
	s_wait_xcnt 0x0
	v_movrels_b32_e32 v15, v2
	s_mul_i32 s25, s24, 36
	s_add_nc_u64 s[22:23], s[22:23], 1
	v_mov_b32_e32 v14, s25
	s_ashr_i32 s25, s24, 31
	s_add_co_i32 s18, s18, 4
	s_cmp_eq_u32 s22, s27
	ds_load_b32 v14, v14
	s_wait_dscnt 0x0
	v_mul_f32_e32 v16, v15, v14
	v_lshl_add_u64 v[14:15], s[24:25], 2, v[22:23]
	s_delay_alu instid0(VALU_DEP_2)
	v_movreld_b32_e32 v2, v16
	global_store_b32 v[14:15], v16, off
	s_cbranch_scc1 .LBB9_41
.LBB9_52:                               ;   Parent Loop BB9_5 Depth=1
                                        ;     Parent Loop BB9_39 Depth=2
                                        ;       Parent Loop BB9_42 Depth=3
                                        ; =>      This Loop Header: Depth=4
                                        ;           Child Loop BB9_54 Depth 5
	s_mov_b64 s[24:25], 0
	s_cmp_eq_u32 s22, 0
	s_cbranch_scc1 .LBB9_51
; %bb.53:                               ;   in Loop: Header=BB9_52 Depth=4
	s_mov_b32 s43, s18
.LBB9_54:                               ;   Parent Loop BB9_5 Depth=1
                                        ;     Parent Loop BB9_39 Depth=2
                                        ;       Parent Loop BB9_42 Depth=3
                                        ;         Parent Loop BB9_52 Depth=4
                                        ; =>        This Inner Loop Header: Depth=5
	s_wait_xcnt 0x0
	v_mov_b32_e32 v14, s43
	s_mov_b32 m0, s24
	s_add_nc_u64 s[24:25], s[24:25], 1
	v_movrels_b32_e32 v15, v2
	s_mov_b32 m0, s22
	ds_load_b32 v14, v14
	v_movrels_b32_e32 v16, v2
	s_add_co_i32 s43, s43, 32
	s_cmp_eq_u32 s22, s24
	s_wait_dscnt 0x0
	s_delay_alu instid0(VALU_DEP_1) | instskip(NEXT) | instid1(VALU_DEP_1)
	v_fma_f32 v14, -v15, v14, v16
	v_movreld_b32_e32 v2, v14
	s_cbranch_scc0 .LBB9_54
	s_branch .LBB9_50
.LBB9_55:                               ;   in Loop: Header=BB9_39 Depth=2
	s_cmp_lt_i32 s12, s30
	s_cselect_b32 s14, -1, 0
	s_add_co_i32 s13, s3, 1
	s_cmp_lt_u32 s3, 2
	s_wait_xcnt 0x0
	s_cselect_b32 s3, -1, 0
	s_delay_alu instid0(SALU_CYCLE_1) | instskip(NEXT) | instid1(SALU_CYCLE_1)
	s_and_b32 s3, s14, s3
	s_and_not1_b32 vcc_lo, exec_lo, s3
	s_cbranch_vccnz .LBB9_2
; %bb.56:                               ;   in Loop: Header=BB9_39 Depth=2
	s_mov_b32 s3, s13
	s_branch .LBB9_39
.LBB9_57:
	s_endpgm
	.section	.rodata,"a",@progbits
	.p2align	6, 0x0
	.amdhsa_kernel _ZL30rocblas_trsm_small_left_deviceILi8ELi8ELb1EffPKfPfEv13rocblas_fill_18rocblas_operation_17rocblas_diagonal_iiT3_T4_lilT5_lili
		.amdhsa_group_segment_fixed_size 256
		.amdhsa_private_segment_fixed_size 0
		.amdhsa_kernarg_size 352
		.amdhsa_user_sgpr_count 2
		.amdhsa_user_sgpr_dispatch_ptr 0
		.amdhsa_user_sgpr_queue_ptr 0
		.amdhsa_user_sgpr_kernarg_segment_ptr 1
		.amdhsa_user_sgpr_dispatch_id 0
		.amdhsa_user_sgpr_kernarg_preload_length 0
		.amdhsa_user_sgpr_kernarg_preload_offset 0
		.amdhsa_user_sgpr_private_segment_size 0
		.amdhsa_wavefront_size32 1
		.amdhsa_uses_dynamic_stack 0
		.amdhsa_enable_private_segment 0
		.amdhsa_system_sgpr_workgroup_id_x 1
		.amdhsa_system_sgpr_workgroup_id_y 0
		.amdhsa_system_sgpr_workgroup_id_z 1
		.amdhsa_system_sgpr_workgroup_info 0
		.amdhsa_system_vgpr_workitem_id 0
		.amdhsa_next_free_vgpr 29
		.amdhsa_next_free_sgpr 48
		.amdhsa_named_barrier_count 0
		.amdhsa_reserve_vcc 1
		.amdhsa_float_round_mode_32 0
		.amdhsa_float_round_mode_16_64 0
		.amdhsa_float_denorm_mode_32 3
		.amdhsa_float_denorm_mode_16_64 3
		.amdhsa_fp16_overflow 0
		.amdhsa_memory_ordered 1
		.amdhsa_forward_progress 1
		.amdhsa_inst_pref_size 17
		.amdhsa_round_robin_scheduling 0
		.amdhsa_exception_fp_ieee_invalid_op 0
		.amdhsa_exception_fp_denorm_src 0
		.amdhsa_exception_fp_ieee_div_zero 0
		.amdhsa_exception_fp_ieee_overflow 0
		.amdhsa_exception_fp_ieee_underflow 0
		.amdhsa_exception_fp_ieee_inexact 0
		.amdhsa_exception_int_div_zero 0
	.end_amdhsa_kernel
	.section	.text._ZL30rocblas_trsm_small_left_deviceILi8ELi8ELb1EffPKfPfEv13rocblas_fill_18rocblas_operation_17rocblas_diagonal_iiT3_T4_lilT5_lili,"axG",@progbits,_ZL30rocblas_trsm_small_left_deviceILi8ELi8ELb1EffPKfPfEv13rocblas_fill_18rocblas_operation_17rocblas_diagonal_iiT3_T4_lilT5_lili,comdat
.Lfunc_end9:
	.size	_ZL30rocblas_trsm_small_left_deviceILi8ELi8ELb1EffPKfPfEv13rocblas_fill_18rocblas_operation_17rocblas_diagonal_iiT3_T4_lilT5_lili, .Lfunc_end9-_ZL30rocblas_trsm_small_left_deviceILi8ELi8ELb1EffPKfPfEv13rocblas_fill_18rocblas_operation_17rocblas_diagonal_iiT3_T4_lilT5_lili
                                        ; -- End function
	.set _ZL30rocblas_trsm_small_left_deviceILi8ELi8ELb1EffPKfPfEv13rocblas_fill_18rocblas_operation_17rocblas_diagonal_iiT3_T4_lilT5_lili.num_vgpr, 29
	.set _ZL30rocblas_trsm_small_left_deviceILi8ELi8ELb1EffPKfPfEv13rocblas_fill_18rocblas_operation_17rocblas_diagonal_iiT3_T4_lilT5_lili.num_agpr, 0
	.set _ZL30rocblas_trsm_small_left_deviceILi8ELi8ELb1EffPKfPfEv13rocblas_fill_18rocblas_operation_17rocblas_diagonal_iiT3_T4_lilT5_lili.numbered_sgpr, 48
	.set _ZL30rocblas_trsm_small_left_deviceILi8ELi8ELb1EffPKfPfEv13rocblas_fill_18rocblas_operation_17rocblas_diagonal_iiT3_T4_lilT5_lili.num_named_barrier, 0
	.set _ZL30rocblas_trsm_small_left_deviceILi8ELi8ELb1EffPKfPfEv13rocblas_fill_18rocblas_operation_17rocblas_diagonal_iiT3_T4_lilT5_lili.private_seg_size, 0
	.set _ZL30rocblas_trsm_small_left_deviceILi8ELi8ELb1EffPKfPfEv13rocblas_fill_18rocblas_operation_17rocblas_diagonal_iiT3_T4_lilT5_lili.uses_vcc, 1
	.set _ZL30rocblas_trsm_small_left_deviceILi8ELi8ELb1EffPKfPfEv13rocblas_fill_18rocblas_operation_17rocblas_diagonal_iiT3_T4_lilT5_lili.uses_flat_scratch, 0
	.set _ZL30rocblas_trsm_small_left_deviceILi8ELi8ELb1EffPKfPfEv13rocblas_fill_18rocblas_operation_17rocblas_diagonal_iiT3_T4_lilT5_lili.has_dyn_sized_stack, 0
	.set _ZL30rocblas_trsm_small_left_deviceILi8ELi8ELb1EffPKfPfEv13rocblas_fill_18rocblas_operation_17rocblas_diagonal_iiT3_T4_lilT5_lili.has_recursion, 0
	.set _ZL30rocblas_trsm_small_left_deviceILi8ELi8ELb1EffPKfPfEv13rocblas_fill_18rocblas_operation_17rocblas_diagonal_iiT3_T4_lilT5_lili.has_indirect_call, 0
	.section	.AMDGPU.csdata,"",@progbits
; Kernel info:
; codeLenInByte = 2092
; TotalNumSgprs: 50
; NumVgprs: 29
; ScratchSize: 0
; MemoryBound: 0
; FloatMode: 240
; IeeeMode: 1
; LDSByteSize: 256 bytes/workgroup (compile time only)
; SGPRBlocks: 0
; VGPRBlocks: 1
; NumSGPRsForWavesPerEU: 50
; NumVGPRsForWavesPerEU: 29
; NamedBarCnt: 0
; Occupancy: 16
; WaveLimiterHint : 0
; COMPUTE_PGM_RSRC2:SCRATCH_EN: 0
; COMPUTE_PGM_RSRC2:USER_SGPR: 2
; COMPUTE_PGM_RSRC2:TRAP_HANDLER: 0
; COMPUTE_PGM_RSRC2:TGID_X_EN: 1
; COMPUTE_PGM_RSRC2:TGID_Y_EN: 0
; COMPUTE_PGM_RSRC2:TGID_Z_EN: 1
; COMPUTE_PGM_RSRC2:TIDIG_COMP_CNT: 0
	.section	.text._ZL31rocblas_trsm_small_right_deviceIffPKfPfLi8EEv13rocblas_fill_18rocblas_operation_17rocblas_diagonal_iiT0_T1_lilT2_lili,"axG",@progbits,_ZL31rocblas_trsm_small_right_deviceIffPKfPfLi8EEv13rocblas_fill_18rocblas_operation_17rocblas_diagonal_iiT0_T1_lilT2_lili,comdat
	.globl	_ZL31rocblas_trsm_small_right_deviceIffPKfPfLi8EEv13rocblas_fill_18rocblas_operation_17rocblas_diagonal_iiT0_T1_lilT2_lili ; -- Begin function _ZL31rocblas_trsm_small_right_deviceIffPKfPfLi8EEv13rocblas_fill_18rocblas_operation_17rocblas_diagonal_iiT0_T1_lilT2_lili
	.p2align	8
	.type	_ZL31rocblas_trsm_small_right_deviceIffPKfPfLi8EEv13rocblas_fill_18rocblas_operation_17rocblas_diagonal_iiT0_T1_lilT2_lili,@function
_ZL31rocblas_trsm_small_right_deviceIffPKfPfLi8EEv13rocblas_fill_18rocblas_operation_17rocblas_diagonal_iiT0_T1_lilT2_lili: ; @_ZL31rocblas_trsm_small_right_deviceIffPKfPfLi8EEv13rocblas_fill_18rocblas_operation_17rocblas_diagonal_iiT0_T1_lilT2_lili
; %bb.0:
	s_load_b32 s19, s[0:1], 0x58
	s_bfe_u32 s2, ttmp6, 0x40014
	s_lshr_b32 s3, ttmp7, 16
	s_add_co_i32 s2, s2, 1
	s_bfe_u32 s5, ttmp6, 0x40008
	s_mul_i32 s2, s3, s2
	s_getreg_b32 s4, hwreg(HW_REG_IB_STS2, 6, 4)
	s_add_co_i32 s5, s5, s2
	s_cmp_eq_u32 s4, 0
	s_cselect_b32 s2, s3, s5
	s_mov_b32 s3, 0
	s_wait_kmcnt 0x0
	s_cmp_ge_u32 s2, s19
	s_cbranch_scc1 .LBB10_98
; %bb.1:
	s_clause 0x6
	s_load_b32 s22, s[0:1], 0x28
	s_load_b96 s[16:18], s[0:1], 0x40
	s_load_b128 s[12:15], s[0:1], 0x0
	s_load_b64 s[20:21], s[0:1], 0x10
	s_load_b32 s5, s[0:1], 0x60
	s_load_b128 s[8:11], s[0:1], 0x18
	s_load_b64 s[38:39], s[0:1], 0x50
	v_dual_lshlrev_b32 v2, 2, v0 :: v_dual_lshlrev_b32 v6, 5, v0
	v_mov_b32_e32 v17, 1.0
	s_delay_alu instid0(VALU_DEP_2) | instskip(NEXT) | instid1(VALU_DEP_3)
	v_or_b32_e32 v15, 0x100, v2
	v_add_nc_u32_e32 v16, v2, v6
	s_wait_kmcnt 0x0
	s_ashr_i32 s23, s22, 31
	s_mov_b32 s24, s18
	s_cmp_eq_u64 s[22:23], 1
	s_cselect_b32 s33, -1, 0
	s_ashr_i32 s25, s18, 31
	s_delay_alu instid0(SALU_CYCLE_1)
	s_cmp_eq_u64 s[24:25], 1
	s_cselect_b32 s36, -1, 0
	s_cmp_lg_u32 s12, 0x7a
	s_cselect_b32 s27, -1, 0
	s_bfe_u32 s6, ttmp6, 0x4000c
	s_min_i32 s18, s20, 8
	s_add_co_i32 s6, s6, 1
	s_and_b32 s7, ttmp6, 15
	s_mul_i32 s6, ttmp9, s6
	s_add_co_i32 s5, s5, -1
	s_add_co_i32 s26, s18, -1
	s_add_co_i32 s7, s7, s6
	s_cmp_eq_u32 s4, 0
	s_mul_i32 s46, s18, 36
	s_cselect_b32 s28, ttmp9, s7
	s_delay_alu instid0(SALU_CYCLE_1) | instskip(NEXT) | instid1(SALU_CYCLE_1)
	s_lshl_b32 s4, s28, 3
	s_sub_co_i32 s15, s15, s4
	s_cmp_ge_u32 s28, s5
	s_load_b128 s[4:7], s[0:1], 0x30
	s_cselect_b32 s15, s15, 8
	s_ashr_i32 s29, s28, 31
	v_cmp_gt_i32_e32 vcc_lo, s15, v0
	s_lshl_b64 s[40:41], s[28:29], 5
	s_cmp_eq_u32 s14, 0x84
	s_wait_xcnt 0x0
	s_cselect_b32 s1, -1, 0
	s_cmp_gt_i32 s20, 0
	s_cselect_b32 s0, -1, 0
	s_cmp_lg_u32 s13, 0x6f
	s_cselect_b32 s13, -1, 0
	s_cmp_lg_u32 s12, 0x79
	s_cselect_b32 s12, -1, 0
	s_or_b32 s27, s27, s13
	s_or_b32 s28, s12, s13
	s_cmp_gt_i32 s20, 3
	v_cndmask_b32_e64 v14, 0, 1, s12
	s_cselect_b32 s29, -1, 0
	s_and_b32 s30, vcc_lo, s0
	s_cmp_gt_u32 s18, 1
	s_mov_b32 s12, s21
	s_cselect_b32 s0, -1, 0
	s_and_b32 s31, s18, -2
	s_and_b32 s33, s0, s33
	s_cmp_lg_u32 s18, s31
	v_cmp_gt_i32_e64 s0, s18, v0
	s_cselect_b32 s34, -1, 0
	s_cmp_gt_u32 s20, 1
	s_mov_b32 s13, s21
	s_cselect_b32 s14, -1, 0
	s_and_b32 s35, s20, 0x7ffffffe
	s_and_b32 s36, s14, s36
	s_cmp_lg_u32 s20, s35
	s_cselect_b32 s37, -1, 0
	s_lshl_b64 s[44:45], s[16:17], 2
	s_lshl_b64 s[16:17], s[24:25], 2
	s_lshl_b32 s24, s18, 5
	s_delay_alu instid0(SALU_CYCLE_1)
	v_dual_mov_b32 v3, 0 :: v_dual_bitop2_b32 v7, s24, v2 bitop3:0x54
	s_lshl_b64 s[42:43], s[10:11], 2
	s_lshl_b64 s[14:15], s[38:39], 2
	s_add_nc_u64 s[38:39], s[40:41], s[44:45]
	s_add_nc_u64 s[8:9], s[8:9], s[42:43]
	s_wait_kmcnt 0x0
	s_add_nc_u64 s[6:7], s[6:7], s[38:39]
	v_add_nc_u64_e32 v[0:1], s[8:9], v[2:3]
	v_add_nc_u64_e32 v[4:5], s[6:7], v[2:3]
	v_add_nc_u32_e32 v3, 0xe0, v7
	s_lshl_b32 s6, s18, 2
	s_lshl_b64 s[4:5], s[4:5], 2
	s_lshl_b64 s[10:11], s[22:23], 2
	s_sub_co_i32 s22, s46, 48
	s_sub_co_i32 s23, s24, 32
	;; [unrolled: 1-line block ×3, first 2 shown]
	s_add_co_i32 s25, s46, 0xffffff7c
	s_add_co_i32 s38, s6, -4
	s_sub_co_i32 s39, s6, 36
	s_branch .LBB10_3
.LBB10_2:                               ;   in Loop: Header=BB10_3 Depth=1
	s_or_b32 exec_lo, exec_lo, s40
	s_add_co_i32 s2, s2, 0x10000
	s_delay_alu instid0(SALU_CYCLE_1)
	s_cmp_lt_u32 s2, s19
	s_cbranch_scc0 .LBB10_98
.LBB10_3:                               ; =>This Loop Header: Depth=1
                                        ;     Child Loop BB10_6 Depth 2
                                        ;     Child Loop BB10_10 Depth 2
	;; [unrolled: 1-line block ×5, first 2 shown]
                                        ;       Child Loop BB10_27 Depth 3
                                        ;     Child Loop BB10_34 Depth 2
                                        ;       Child Loop BB10_35 Depth 3
                                        ;     Child Loop BB10_39 Depth 2
	;; [unrolled: 2-line block ×3, first 2 shown]
                                        ;     Child Loop BB10_52 Depth 2
                                        ;       Child Loop BB10_53 Depth 3
                                        ;       Child Loop BB10_55 Depth 3
                                        ;     Child Loop BB10_59 Depth 2
                                        ;       Child Loop BB10_60 Depth 3
                                        ;     Child Loop BB10_68 Depth 2
                                        ;     Child Loop BB10_73 Depth 2
                                        ;       Child Loop BB10_74 Depth 3
                                        ;       Child Loop BB10_76 Depth 3
                                        ;     Child Loop BB10_81 Depth 2
                                        ;       Child Loop BB10_82 Depth 3
                                        ;     Child Loop BB10_88 Depth 2
	;; [unrolled: 2-line block ×3, first 2 shown]
                                        ;     Child Loop BB10_97 Depth 2
	s_and_saveexec_b32 s40, s0
	s_cbranch_execz .LBB10_13
; %bb.4:                                ;   in Loop: Header=BB10_3 Depth=1
	s_and_not1_b32 vcc_lo, exec_lo, s33
	s_mul_u64 s[6:7], s[4:5], s[2:3]
	s_cbranch_vccnz .LBB10_8
; %bb.5:                                ;   in Loop: Header=BB10_3 Depth=1
	v_add_nc_u64_e32 v[6:7], s[6:7], v[0:1]
	s_mov_b32 s9, 1
	s_mov_b32 s41, 0
	;; [unrolled: 1-line block ×3, first 2 shown]
.LBB10_6:                               ;   Parent Loop BB10_3 Depth=1
                                        ; =>  This Inner Loop Header: Depth=2
	global_load_b64 v[8:9], v[6:7], off
	s_wait_xcnt 0x0
	v_add_nc_u64_e32 v[6:7], 8, v[6:7]
	v_lshl_or_b32 v10, s41, 5, v2
	v_lshl_or_b32 v11, s9, 5, v2
	s_add_co_i32 s42, s42, -2
	s_add_co_i32 s41, s41, 2
	s_add_co_i32 s9, s9, 2
	s_mov_b32 s8, s31
	s_mov_b32 s43, s34
	s_cmp_lg_u32 s42, 0
	s_wait_loadcnt 0x0
	ds_store_b32 v10, v8
	ds_store_b32 v11, v9
	s_cbranch_scc1 .LBB10_6
; %bb.7:                                ;   in Loop: Header=BB10_3 Depth=1
	s_and_b32 vcc_lo, exec_lo, s43
	s_cbranch_vccnz .LBB10_9
	s_branch .LBB10_11
.LBB10_8:                               ;   in Loop: Header=BB10_3 Depth=1
	s_mov_b32 s8, 0
	s_cbranch_execz .LBB10_11
.LBB10_9:                               ;   in Loop: Header=BB10_3 Depth=1
	s_mov_b32 s9, s3
	v_lshl_or_b32 v8, s8, 5, v2
	s_mul_u64 s[42:43], s[10:11], s[8:9]
	s_delay_alu instid0(SALU_CYCLE_1) | instskip(NEXT) | instid1(SALU_CYCLE_1)
	s_add_nc_u64 s[6:7], s[42:43], s[6:7]
	v_add_nc_u64_e32 v[6:7], s[6:7], v[0:1]
	s_sub_co_i32 s6, s18, s8
.LBB10_10:                              ;   Parent Loop BB10_3 Depth=1
                                        ; =>  This Inner Loop Header: Depth=2
	global_load_b32 v9, v[6:7], off
	s_wait_xcnt 0x0
	v_add_nc_u64_e32 v[6:7], s[10:11], v[6:7]
	s_add_co_i32 s6, s6, -1
	s_delay_alu instid0(SALU_CYCLE_1)
	s_cmp_eq_u32 s6, 0
	s_wait_loadcnt 0x0
	ds_store_b32 v8, v9
	v_add_nc_u32_e32 v8, 32, v8
	s_cbranch_scc0 .LBB10_10
.LBB10_11:                              ;   in Loop: Header=BB10_3 Depth=1
	s_and_b32 vcc_lo, exec_lo, s1
	s_cbranch_vccz .LBB10_13
; %bb.12:                               ;   in Loop: Header=BB10_3 Depth=1
	ds_store_b32 v16, v17
.LBB10_13:                              ;   in Loop: Header=BB10_3 Depth=1
	s_or_b32 exec_lo, exec_lo, s40
	s_mul_u64 s[6:7], s[14:15], s[2:3]
	s_delay_alu instid0(SALU_CYCLE_1)
	v_add_nc_u64_e32 v[6:7], s[6:7], v[4:5]
	s_and_saveexec_b32 s40, s30
	s_cbranch_execz .LBB10_21
; %bb.14:                               ;   in Loop: Header=BB10_3 Depth=1
	s_and_not1_b32 vcc_lo, exec_lo, s36
	s_cbranch_vccnz .LBB10_18
; %bb.15:                               ;   in Loop: Header=BB10_3 Depth=1
	s_delay_alu instid0(VALU_DEP_1)
	v_mov_b64_e32 v[8:9], v[6:7]
	s_mov_b32 s9, 1
	s_mov_b32 s41, 0
	s_mov_b32 s42, s35
.LBB10_16:                              ;   Parent Loop BB10_3 Depth=1
                                        ; =>  This Inner Loop Header: Depth=2
	global_load_b64 v[10:11], v[8:9], off
	v_mov_b64_e32 v[12:13], s[12:13]
	s_wait_xcnt 0x0
	v_add_nc_u64_e32 v[8:9], 8, v[8:9]
	v_lshl_add_u32 v18, s41, 5, v15
	v_lshl_add_u32 v19, s9, 5, v15
	s_add_co_i32 s42, s42, -2
	s_add_co_i32 s41, s41, 2
	s_add_co_i32 s9, s9, 2
	s_mov_b32 s8, s35
	s_mov_b32 s43, s37
	s_cmp_lg_u32 s42, 0
	s_wait_loadcnt 0x0
	v_pk_mul_f32 v[10:11], v[12:13], v[10:11]
	ds_store_b32 v18, v10
	ds_store_b32 v19, v11
	s_cbranch_scc1 .LBB10_16
; %bb.17:                               ;   in Loop: Header=BB10_3 Depth=1
	s_and_b32 vcc_lo, exec_lo, s43
	s_cbranch_vccnz .LBB10_19
	s_branch .LBB10_21
.LBB10_18:                              ;   in Loop: Header=BB10_3 Depth=1
	s_mov_b32 s8, 0
	s_cbranch_execz .LBB10_21
.LBB10_19:                              ;   in Loop: Header=BB10_3 Depth=1
	s_mov_b32 s9, s3
	v_lshl_add_u32 v10, s8, 5, v15
	s_mul_u64 s[42:43], s[16:17], s[8:9]
	s_sub_co_i32 s8, s20, s8
	s_add_nc_u64 s[42:43], s[42:43], s[6:7]
	s_delay_alu instid0(SALU_CYCLE_1)
	v_add_nc_u64_e32 v[8:9], s[42:43], v[4:5]
.LBB10_20:                              ;   Parent Loop BB10_3 Depth=1
                                        ; =>  This Inner Loop Header: Depth=2
	global_load_b32 v11, v[8:9], off
	s_wait_xcnt 0x0
	v_add_nc_u64_e32 v[8:9], s[16:17], v[8:9]
	s_add_co_i32 s8, s8, -1
	s_delay_alu instid0(SALU_CYCLE_1)
	s_cmp_lg_u32 s8, 0
	s_wait_loadcnt 0x0
	v_mul_f32_e32 v11, s21, v11
	ds_store_b32 v10, v11
	v_add_nc_u32_e32 v10, 32, v10
	s_cbranch_scc1 .LBB10_20
.LBB10_21:                              ;   in Loop: Header=BB10_3 Depth=1
	s_or_b32 exec_lo, exec_lo, s40
	s_delay_alu instid0(SALU_CYCLE_1)
	s_and_b32 vcc_lo, exec_lo, s28
	s_mov_b32 s8, -1
	s_wait_dscnt 0x0
	; wave barrier
	s_cbranch_vccz .LBB10_78
; %bb.22:                               ;   in Loop: Header=BB10_3 Depth=1
	s_and_b32 vcc_lo, exec_lo, s27
	s_cbranch_vccz .LBB10_57
; %bb.23:                               ;   in Loop: Header=BB10_3 Depth=1
	v_cmp_ne_u32_e32 vcc_lo, 1, v14
	s_cbranch_vccnz .LBB10_37
; %bb.24:                               ;   in Loop: Header=BB10_3 Depth=1
	s_and_not1_b32 vcc_lo, exec_lo, s29
	s_mov_b32 s40, 0
	s_cbranch_vccnz .LBB10_31
; %bb.25:                               ;   in Loop: Header=BB10_3 Depth=1
	s_mov_b32 s8, 0
	s_mov_b32 s9, 0
.LBB10_26:                              ;   Parent Loop BB10_3 Depth=1
                                        ; =>  This Loop Header: Depth=2
                                        ;       Child Loop BB10_27 Depth 3
	s_delay_alu instid0(SALU_CYCLE_1) | instskip(SKIP_2) | instid1(SALU_CYCLE_1)
	s_lshl_b32 s41, s9, 5
	s_or_b32 s40, s9, 1
	s_or_b32 s42, s41, 0x60
	v_dual_add_nc_u32 v18, s41, v15 :: v_dual_add_nc_u32 v20, s42, v15
	v_lshl_add_u32 v19, s40, 5, v15
	s_cmp_eq_u32 s9, 0
	s_mov_b32 s42, s8
	ds_load_2addr_b32 v[12:13], v18 offset1:16
	ds_load_b32 v11, v19
	ds_load_b32 v9, v20
	v_mov_b32_e32 v21, v15
	s_mov_b32 s43, s9
	s_wait_dscnt 0x2
	v_dual_mov_b32 v10, v12 :: v_dual_mov_b32 v8, v13
	s_cbranch_scc1 .LBB10_29
.LBB10_27:                              ;   Parent Loop BB10_3 Depth=1
                                        ;     Parent Loop BB10_26 Depth=2
                                        ; =>    This Inner Loop Header: Depth=3
	v_mov_b32_e32 v13, s42
	s_add_co_i32 s43, s43, -1
	s_add_co_i32 s42, s42, 32
	s_cmp_eq_u32 s43, 0
	ds_load_b32 v12, v21
	ds_load_b128 v[22:25], v13
	v_add_nc_u32_e32 v21, 32, v21
	s_wait_dscnt 0x0
	v_pk_fma_f32 v[10:11], v[12:13], v[22:23], v[10:11] op_sel_hi:[0,1,1] neg_lo:[1,0,0] neg_hi:[1,0,0]
	v_pk_fma_f32 v[8:9], v[12:13], v[24:25], v[8:9] op_sel_hi:[0,1,1] neg_lo:[1,0,0] neg_hi:[1,0,0]
	s_cbranch_scc0 .LBB10_27
; %bb.28:                               ;   in Loop: Header=BB10_26 Depth=2
	s_delay_alu instid0(VALU_DEP_1)
	v_dual_mov_b32 v13, v8 :: v_dual_mov_b32 v12, v10
.LBB10_29:                              ;   in Loop: Header=BB10_26 Depth=2
	s_lshl_b32 s42, s9, 2
	s_lshl_b32 s40, s40, 2
	s_add_co_i32 s41, s42, s41
	s_delay_alu instid0(SALU_CYCLE_1)
	v_dual_mov_b32 v21, s41 :: v_dual_add_nc_u32 v8, 64, v18
	s_add_co_i32 s41, s41, 36
	s_add_co_i32 s8, s8, 16
	s_sub_co_i32 s40, s41, s40
	ds_load_b128 v[22:25], v21
	ds_load_2addr_b32 v[26:27], v21 offset0:9 offset1:10
	s_add_co_i32 s40, s40, s42
	s_wait_dscnt 0x1
	v_div_scale_f32 v10, null, v22, v22, v12
	v_div_scale_f32 v30, vcc_lo, v12, v22, v12
	s_delay_alu instid0(VALU_DEP_2) | instskip(SKIP_1) | instid1(TRANS32_DEP_1)
	v_rcp_f32_e32 v28, v10
	v_nop
	v_fma_f32 v29, -v10, v28, 1.0
	s_delay_alu instid0(VALU_DEP_1) | instskip(NEXT) | instid1(VALU_DEP_1)
	v_fmac_f32_e32 v28, v29, v28
	v_mul_f32_e32 v29, v30, v28
	s_delay_alu instid0(VALU_DEP_1) | instskip(NEXT) | instid1(VALU_DEP_1)
	v_fma_f32 v31, -v10, v29, v30
	v_fmac_f32_e32 v29, v31, v28
	s_delay_alu instid0(VALU_DEP_1) | instskip(NEXT) | instid1(VALU_DEP_1)
	v_fma_f32 v10, -v10, v29, v30
	v_div_fmas_f32 v10, v10, v28, v29
	s_delay_alu instid0(VALU_DEP_1) | instskip(NEXT) | instid1(VALU_DEP_1)
	v_div_fixup_f32 v12, v10, v22, v12
	v_dual_fma_f32 v22, -v12, v23, v11 :: v_dual_fma_f32 v13, -v12, v24, v13
	v_fma_f32 v9, -v12, v25, v9
	s_wait_dscnt 0x0
	s_delay_alu instid0(VALU_DEP_2) | instskip(SKIP_1) | instid1(VALU_DEP_2)
	v_div_scale_f32 v23, null, v26, v26, v22
	v_div_scale_f32 v29, vcc_lo, v22, v26, v22
	v_rcp_f32_e32 v28, v23
	v_nop
	s_delay_alu instid0(TRANS32_DEP_1) | instskip(NEXT) | instid1(VALU_DEP_1)
	v_fma_f32 v10, -v23, v28, 1.0
	v_fmac_f32_e32 v28, v10, v28
	s_delay_alu instid0(VALU_DEP_1) | instskip(NEXT) | instid1(VALU_DEP_1)
	v_mul_f32_e32 v30, v29, v28
	v_fma_f32 v10, -v23, v30, v29
	s_delay_alu instid0(VALU_DEP_1) | instskip(SKIP_3) | instid1(VALU_DEP_1)
	v_fmac_f32_e32 v30, v10, v28
	ds_load_b64 v[10:11], v21 offset:72
	ds_load_b32 v21, v21 offset:108
	v_fma_f32 v23, -v23, v30, v29
	v_div_fmas_f32 v23, v23, v28, v30
	s_delay_alu instid0(VALU_DEP_1) | instskip(NEXT) | instid1(VALU_DEP_1)
	v_div_fixup_f32 v22, v23, v26, v22
	v_fma_f32 v13, -v22, v27, v13
	s_wait_dscnt 0x1
	s_delay_alu instid0(VALU_DEP_1) | instskip(SKIP_1) | instid1(VALU_DEP_2)
	v_div_scale_f32 v23, null, v10, v10, v13
	v_div_scale_f32 v27, vcc_lo, v13, v10, v13
	v_rcp_f32_e32 v24, v23
	v_nop
	s_delay_alu instid0(TRANS32_DEP_1) | instskip(NEXT) | instid1(VALU_DEP_1)
	v_fma_f32 v26, -v23, v24, 1.0
	v_dual_fmac_f32 v24, v26, v24 :: v_dual_mov_b32 v26, s40
	s_add_co_i32 s40, s9, 4
	s_add_co_i32 s9, s9, 7
	s_delay_alu instid0(VALU_DEP_1) | instskip(SKIP_3) | instid1(VALU_DEP_1)
	v_mul_f32_e32 v28, v27, v24
	ds_load_b32 v26, v26 offset:12
	s_cmp_ge_i32 s9, s18
	v_fma_f32 v29, -v23, v28, v27
	v_fmac_f32_e32 v28, v29, v24
	s_delay_alu instid0(VALU_DEP_1) | instskip(NEXT) | instid1(VALU_DEP_1)
	v_fma_f32 v23, -v23, v28, v27
	v_div_fmas_f32 v23, v23, v24, v28
	s_wait_dscnt 0x0
	v_fma_f32 v9, -v22, v26, v9
	s_delay_alu instid0(VALU_DEP_2) | instskip(NEXT) | instid1(VALU_DEP_1)
	v_div_fixup_f32 v10, v23, v10, v13
	v_fma_f32 v9, -v10, v11, v9
	s_delay_alu instid0(VALU_DEP_1) | instskip(SKIP_1) | instid1(VALU_DEP_2)
	v_div_scale_f32 v11, null, v21, v21, v9
	v_div_scale_f32 v24, vcc_lo, v9, v21, v9
	v_rcp_f32_e32 v13, v11
	v_nop
	s_delay_alu instid0(TRANS32_DEP_1) | instskip(NEXT) | instid1(VALU_DEP_1)
	v_fma_f32 v23, -v11, v13, 1.0
	v_fmac_f32_e32 v13, v23, v13
	s_delay_alu instid0(VALU_DEP_1) | instskip(NEXT) | instid1(VALU_DEP_1)
	v_mul_f32_e32 v23, v24, v13
	v_fma_f32 v25, -v11, v23, v24
	s_delay_alu instid0(VALU_DEP_1) | instskip(NEXT) | instid1(VALU_DEP_1)
	v_fmac_f32_e32 v23, v25, v13
	v_fma_f32 v11, -v11, v23, v24
	s_delay_alu instid0(VALU_DEP_1) | instskip(NEXT) | instid1(VALU_DEP_1)
	v_div_fmas_f32 v11, v11, v13, v23
	v_div_fixup_f32 v9, v11, v21, v9
	ds_store_b32 v18, v12
	ds_store_b32 v19, v22
	;; [unrolled: 1-line block ×4, first 2 shown]
	s_cbranch_scc1 .LBB10_31
; %bb.30:                               ;   in Loop: Header=BB10_26 Depth=2
	s_mov_b32 s9, s40
	s_branch .LBB10_26
.LBB10_31:                              ;   in Loop: Header=BB10_3 Depth=1
	s_cmp_ge_i32 s40, s18
	s_cbranch_scc1 .LBB10_36
; %bb.32:                               ;   in Loop: Header=BB10_3 Depth=1
	s_lshl_b32 s8, s40, 2
	s_branch .LBB10_34
.LBB10_33:                              ;   in Loop: Header=BB10_34 Depth=2
	s_lshl_b32 s41, s40, 2
	s_add_co_i32 s40, s40, 1
	s_add_co_i32 s9, s41, s9
	;; [unrolled: 1-line block ×3, first 2 shown]
	v_mov_b32_e32 v10, s9
	s_cmp_ge_i32 s40, s18
	ds_load_b32 v10, v10
	s_wait_dscnt 0x0
	v_div_scale_f32 v11, null, v10, v10, v9
	s_delay_alu instid0(VALU_DEP_1) | instskip(SKIP_1) | instid1(TRANS32_DEP_1)
	v_rcp_f32_e32 v12, v11
	v_nop
	v_fma_f32 v13, -v11, v12, 1.0
	s_delay_alu instid0(VALU_DEP_1) | instskip(SKIP_1) | instid1(VALU_DEP_1)
	v_fmac_f32_e32 v12, v13, v12
	v_div_scale_f32 v13, vcc_lo, v9, v10, v9
	v_mul_f32_e32 v18, v13, v12
	s_delay_alu instid0(VALU_DEP_1) | instskip(NEXT) | instid1(VALU_DEP_1)
	v_fma_f32 v19, -v11, v18, v13
	v_fmac_f32_e32 v18, v19, v12
	s_delay_alu instid0(VALU_DEP_1) | instskip(NEXT) | instid1(VALU_DEP_1)
	v_fma_f32 v11, -v11, v18, v13
	v_div_fmas_f32 v11, v11, v12, v18
	s_delay_alu instid0(VALU_DEP_1)
	v_div_fixup_f32 v9, v11, v10, v9
	ds_store_b32 v8, v9
	s_cbranch_scc1 .LBB10_36
.LBB10_34:                              ;   Parent Loop BB10_3 Depth=1
                                        ; =>  This Loop Header: Depth=2
                                        ;       Child Loop BB10_35 Depth 3
	s_lshl_b32 s9, s40, 5
	s_cmp_eq_u32 s40, 0
	v_dual_add_nc_u32 v8, s9, v15 :: v_dual_mov_b32 v10, v15
	s_mov_b32 s41, s8
	s_mov_b32 s42, s40
	ds_load_b32 v9, v8
	s_cbranch_scc1 .LBB10_33
.LBB10_35:                              ;   Parent Loop BB10_3 Depth=1
                                        ;     Parent Loop BB10_34 Depth=2
                                        ; =>    This Inner Loop Header: Depth=3
	v_mov_b32_e32 v11, s41
	s_add_co_i32 s42, s42, -1
	s_add_co_i32 s41, s41, 32
	s_cmp_eq_u32 s42, 0
	ds_load_b32 v12, v10
	ds_load_b32 v11, v11
	s_wait_dscnt 0x0
	v_dual_add_nc_u32 v10, 32, v10 :: v_dual_fma_f32 v9, -v12, v11, v9
	s_cbranch_scc0 .LBB10_35
	s_branch .LBB10_33
.LBB10_36:                              ;   in Loop: Header=BB10_3 Depth=1
	s_mov_b32 s8, 0
.LBB10_37:                              ;   in Loop: Header=BB10_3 Depth=1
	s_delay_alu instid0(SALU_CYCLE_1)
	s_and_b32 vcc_lo, exec_lo, s8
	s_cbranch_vccz .LBB10_56
; %bb.38:                               ;   in Loop: Header=BB10_3 Depth=1
	s_mov_b32 s40, s26
	s_and_not1_b32 vcc_lo, exec_lo, s29
	s_mov_b32 s8, s22
	s_mov_b32 s9, s26
	s_cbranch_vccnz .LBB10_43
.LBB10_39:                              ;   Parent Loop BB10_3 Depth=1
                                        ; =>  This Loop Header: Depth=2
                                        ;       Child Loop BB10_40 Depth 3
	s_add_co_i32 s42, s9, -1
	s_add_co_i32 s43, s9, -3
	v_lshl_add_u32 v12, s9, 5, v15
	s_add_co_i32 s41, s9, -2
	v_lshl_add_u32 v13, s42, 5, v15
	s_lshl_b32 s40, s43, 5
	v_lshl_add_u32 v18, s41, 5, v15
	v_dual_mov_b32 v20, v3 :: v_dual_add_nc_u32 v19, s40, v15
	ds_load_b32 v11, v12
	ds_load_b32 v10, v13
	;; [unrolled: 1-line block ×4, first 2 shown]
	s_cmp_le_i32 s26, s9
	s_mov_b32 s44, s8
	s_mov_b32 s45, s26
	s_cbranch_scc1 .LBB10_41
.LBB10_40:                              ;   Parent Loop BB10_3 Depth=1
                                        ;     Parent Loop BB10_39 Depth=2
                                        ; =>    This Inner Loop Header: Depth=3
	v_mov_b32_e32 v21, s44
	s_add_co_i32 s45, s45, -1
	s_sub_co_i32 s44, s44, 32
	s_cmp_le_i32 s45, s9
	ds_load_b32 v22, v20
	ds_load_2addr_b32 v[24:25], v21 offset0:2 offset1:3
	ds_load_2addr_b32 v[26:27], v21 offset1:1
	v_subrev_nc_u32_e32 v20, 32, v20
	s_wait_dscnt 0x1
	v_pk_fma_f32 v[10:11], v[22:23], v[24:25], v[10:11] op_sel_hi:[0,1,1] neg_lo:[1,0,0] neg_hi:[1,0,0]
	s_wait_dscnt 0x0
	v_pk_fma_f32 v[8:9], v[22:23], v[26:27], v[8:9] op_sel_hi:[0,1,1] neg_lo:[1,0,0] neg_hi:[1,0,0]
	s_cbranch_scc0 .LBB10_40
.LBB10_41:                              ;   in Loop: Header=BB10_39 Depth=2
	s_mul_i32 s44, s9, 36
	s_lshl_b32 s41, s41, 2
	s_add_co_i32 s45, s44, -4
	s_lshl_b32 s43, s43, 2
	v_mov_b32_e32 v20, s45
	s_lshl_b32 s45, s42, 2
	s_lshl_b32 s42, s42, 5
	s_add_co_i32 s44, s44, -12
	s_add_co_i32 s45, s45, s42
	s_add_co_i32 s42, s43, s42
	v_mov_b32_e32 v22, s45
	ds_load_2addr_b32 v[20:21], v20 offset1:1
	s_sub_co_i32 s41, s45, s41
	v_dual_mov_b32 v23, s44 :: v_dual_mov_b32 v24, s42
	s_add_co_i32 s41, s41, s43
	ds_load_b32 v26, v22
	ds_load_2addr_b32 v[22:23], v23 offset1:1
	ds_load_2addr_b32 v[24:25], v24 offset1:1
	s_sub_co_i32 s41, s41, 36
	s_add_co_i32 s40, s43, s40
	s_add_co_i32 s8, s8, -16
	s_wait_dscnt 0x3
	v_div_scale_f32 v27, null, v21, v21, v11
	v_div_scale_f32 v30, vcc_lo, v11, v21, v11
	s_delay_alu instid0(VALU_DEP_2) | instskip(SKIP_1) | instid1(TRANS32_DEP_1)
	v_rcp_f32_e32 v28, v27
	v_nop
	v_fma_f32 v29, -v27, v28, 1.0
	s_delay_alu instid0(VALU_DEP_1) | instskip(NEXT) | instid1(VALU_DEP_1)
	v_fmac_f32_e32 v28, v29, v28
	v_mul_f32_e32 v29, v30, v28
	s_delay_alu instid0(VALU_DEP_1) | instskip(NEXT) | instid1(VALU_DEP_1)
	v_fma_f32 v31, -v27, v29, v30
	v_fmac_f32_e32 v29, v31, v28
	s_delay_alu instid0(VALU_DEP_1) | instskip(NEXT) | instid1(VALU_DEP_1)
	v_fma_f32 v27, -v27, v29, v30
	v_div_fmas_f32 v27, v27, v28, v29
	s_delay_alu instid0(VALU_DEP_1) | instskip(NEXT) | instid1(VALU_DEP_1)
	v_div_fixup_f32 v21, v27, v21, v11
	v_dual_mov_b32 v11, s41 :: v_dual_fma_f32 v20, -v21, v20, v10
	s_wait_dscnt 0x1
	v_dual_fma_f32 v8, -v21, v22, v8 :: v_dual_fma_f32 v9, -v21, v23, v9
	v_mov_b32_e32 v23, s40
	s_add_co_i32 s40, s9, -4
	v_div_scale_f32 v27, null, v26, v26, v20
	v_div_scale_f32 v29, vcc_lo, v20, v26, v20
	s_cmp_lt_i32 s9, 7
	v_rcp_f32_e32 v28, v27
	ds_load_b32 v23, v23
	v_nop
	v_fma_f32 v10, -v27, v28, 1.0
	s_delay_alu instid0(VALU_DEP_1) | instskip(NEXT) | instid1(VALU_DEP_1)
	v_fmac_f32_e32 v28, v10, v28
	v_mul_f32_e32 v30, v29, v28
	s_delay_alu instid0(VALU_DEP_1) | instskip(NEXT) | instid1(VALU_DEP_1)
	v_fma_f32 v10, -v27, v30, v29
	v_fmac_f32_e32 v30, v10, v28
	ds_load_2addr_b32 v[10:11], v11 offset1:1
	v_fma_f32 v27, -v27, v30, v29
	s_delay_alu instid0(VALU_DEP_1) | instskip(NEXT) | instid1(VALU_DEP_1)
	v_div_fmas_f32 v27, v27, v28, v30
	v_div_fixup_f32 v20, v27, v26, v20
	s_wait_dscnt 0x2
	s_delay_alu instid0(VALU_DEP_1) | instskip(SKIP_1) | instid1(VALU_DEP_1)
	v_dual_fma_f32 v9, -v20, v25, v9 :: v_dual_fma_f32 v8, -v20, v24, v8
	s_wait_dscnt 0x0
	v_div_scale_f32 v25, null, v11, v11, v9
	s_delay_alu instid0(VALU_DEP_1) | instskip(SKIP_1) | instid1(TRANS32_DEP_1)
	v_rcp_f32_e32 v26, v25
	v_nop
	v_fma_f32 v27, -v25, v26, 1.0
	s_delay_alu instid0(VALU_DEP_1) | instskip(SKIP_1) | instid1(VALU_DEP_1)
	v_fmac_f32_e32 v26, v27, v26
	v_div_scale_f32 v28, vcc_lo, v9, v11, v9
	v_mul_f32_e32 v27, v28, v26
	s_delay_alu instid0(VALU_DEP_1) | instskip(NEXT) | instid1(VALU_DEP_1)
	v_fma_f32 v29, -v25, v27, v28
	v_fmac_f32_e32 v27, v29, v26
	s_delay_alu instid0(VALU_DEP_1) | instskip(NEXT) | instid1(VALU_DEP_1)
	v_fma_f32 v25, -v25, v27, v28
	v_div_fmas_f32 v22, v25, v26, v27
	s_delay_alu instid0(VALU_DEP_1) | instskip(NEXT) | instid1(VALU_DEP_1)
	v_div_fixup_f32 v9, v22, v11, v9
	v_fma_f32 v8, -v9, v10, v8
	s_delay_alu instid0(VALU_DEP_1) | instskip(SKIP_1) | instid1(VALU_DEP_2)
	v_div_scale_f32 v10, null, v23, v23, v8
	v_div_scale_f32 v24, vcc_lo, v8, v23, v8
	v_rcp_f32_e32 v11, v10
	v_nop
	s_delay_alu instid0(TRANS32_DEP_1) | instskip(NEXT) | instid1(VALU_DEP_1)
	v_fma_f32 v22, -v10, v11, 1.0
	v_fmac_f32_e32 v11, v22, v11
	s_delay_alu instid0(VALU_DEP_1) | instskip(NEXT) | instid1(VALU_DEP_1)
	v_mul_f32_e32 v22, v24, v11
	v_fma_f32 v25, -v10, v22, v24
	s_delay_alu instid0(VALU_DEP_1) | instskip(NEXT) | instid1(VALU_DEP_1)
	v_fmac_f32_e32 v22, v25, v11
	v_fma_f32 v10, -v10, v22, v24
	s_delay_alu instid0(VALU_DEP_1) | instskip(NEXT) | instid1(VALU_DEP_1)
	v_div_fmas_f32 v10, v10, v11, v22
	v_div_fixup_f32 v8, v10, v23, v8
	ds_store_b32 v12, v21
	ds_store_b32 v13, v20
	;; [unrolled: 1-line block ×4, first 2 shown]
	s_cbranch_scc1 .LBB10_43
; %bb.42:                               ;   in Loop: Header=BB10_39 Depth=2
	s_mov_b32 s9, s40
	s_branch .LBB10_39
.LBB10_43:                              ;   in Loop: Header=BB10_3 Depth=1
	s_cmp_lt_i32 s40, 0
	s_cbranch_scc1 .LBB10_56
; %bb.44:                               ;   in Loop: Header=BB10_3 Depth=1
	s_bitcmp1_b32 s40, 0
	s_cselect_b32 s8, -1, 0
	s_delay_alu instid0(SALU_CYCLE_1)
	s_and_b32 vcc_lo, exec_lo, s8
	s_mov_b32 s8, s40
	s_cbranch_vccnz .LBB10_49
; %bb.45:                               ;   in Loop: Header=BB10_3 Depth=1
	s_lshl_b32 s8, s40, 5
	s_cmp_le_i32 s26, s40
	v_add_nc_u32_e32 v8, s8, v15
	ds_load_b32 v9, v8
	s_cbranch_scc1 .LBB10_48
; %bb.46:                               ;   in Loop: Header=BB10_3 Depth=1
	v_mov_b32_e32 v10, v3
	s_lshl_b32 s9, s40, 2
	s_mov_b32 s41, s26
	s_add_co_i32 s9, s23, s9
.LBB10_47:                              ;   Parent Loop BB10_3 Depth=1
                                        ; =>  This Inner Loop Header: Depth=2
	s_delay_alu instid0(SALU_CYCLE_1)
	v_mov_b32_e32 v11, s9
	s_add_co_i32 s41, s41, -1
	s_sub_co_i32 s9, s9, 32
	s_cmp_gt_i32 s41, s40
	ds_load_b32 v12, v10
	ds_load_b32 v11, v11
	v_subrev_nc_u32_e32 v10, 32, v10
	s_wait_dscnt 0x0
	v_fma_f32 v9, -v12, v11, v9
	s_cbranch_scc1 .LBB10_47
.LBB10_48:                              ;   in Loop: Header=BB10_3 Depth=1
	s_lshl_b32 s9, s40, 2
	s_delay_alu instid0(SALU_CYCLE_1) | instskip(NEXT) | instid1(SALU_CYCLE_1)
	s_add_co_i32 s8, s9, s8
	v_mov_b32_e32 v10, s8
	s_add_co_i32 s8, s40, -1
	ds_load_b32 v10, v10
	s_wait_dscnt 0x0
	v_div_scale_f32 v11, null, v10, v10, v9
	s_delay_alu instid0(VALU_DEP_1) | instskip(SKIP_1) | instid1(TRANS32_DEP_1)
	v_rcp_f32_e32 v12, v11
	v_nop
	v_fma_f32 v13, -v11, v12, 1.0
	s_delay_alu instid0(VALU_DEP_1) | instskip(SKIP_1) | instid1(VALU_DEP_1)
	v_fmac_f32_e32 v12, v13, v12
	v_div_scale_f32 v13, vcc_lo, v9, v10, v9
	v_mul_f32_e32 v18, v13, v12
	s_delay_alu instid0(VALU_DEP_1) | instskip(NEXT) | instid1(VALU_DEP_1)
	v_fma_f32 v19, -v11, v18, v13
	v_fmac_f32_e32 v18, v19, v12
	s_delay_alu instid0(VALU_DEP_1) | instskip(NEXT) | instid1(VALU_DEP_1)
	v_fma_f32 v11, -v11, v18, v13
	v_div_fmas_f32 v11, v11, v12, v18
	s_delay_alu instid0(VALU_DEP_1)
	v_div_fixup_f32 v9, v11, v10, v9
	ds_store_b32 v8, v9
.LBB10_49:                              ;   in Loop: Header=BB10_3 Depth=1
	s_cmp_eq_u32 s40, 0
	s_cbranch_scc1 .LBB10_56
; %bb.50:                               ;   in Loop: Header=BB10_3 Depth=1
	s_lshl_b32 s40, s8, 2
	s_delay_alu instid0(SALU_CYCLE_1)
	s_add_co_i32 s9, s23, s40
	s_add_co_i32 s40, s24, s40
	s_branch .LBB10_52
.LBB10_51:                              ;   in Loop: Header=BB10_52 Depth=2
	s_add_co_i32 s41, s41, s42
	s_add_co_i32 s9, s9, -8
	s_add_co_i32 s41, s41, -4
	;; [unrolled: 1-line block ×3, first 2 shown]
	v_mov_b32_e32 v8, s41
	s_add_co_i32 s41, s8, -2
	s_cmp_lt_i32 s8, 2
	s_mov_b32 s8, s41
	ds_load_b32 v8, v8
	s_wait_dscnt 0x0
	v_div_scale_f32 v10, null, v8, v8, v11
	v_div_scale_f32 v18, vcc_lo, v11, v8, v11
	s_delay_alu instid0(VALU_DEP_2) | instskip(SKIP_1) | instid1(TRANS32_DEP_1)
	v_rcp_f32_e32 v12, v10
	v_nop
	v_fma_f32 v13, -v10, v12, 1.0
	s_delay_alu instid0(VALU_DEP_1) | instskip(NEXT) | instid1(VALU_DEP_1)
	v_fmac_f32_e32 v12, v13, v12
	v_mul_f32_e32 v13, v18, v12
	s_delay_alu instid0(VALU_DEP_1) | instskip(NEXT) | instid1(VALU_DEP_1)
	v_fma_f32 v19, -v10, v13, v18
	v_fmac_f32_e32 v13, v19, v12
	s_delay_alu instid0(VALU_DEP_1) | instskip(NEXT) | instid1(VALU_DEP_1)
	v_fma_f32 v10, -v10, v13, v18
	v_div_fmas_f32 v10, v10, v12, v13
	s_delay_alu instid0(VALU_DEP_1)
	v_div_fixup_f32 v8, v10, v8, v11
	ds_store_b32 v9, v8
	s_cbranch_scc1 .LBB10_56
.LBB10_52:                              ;   Parent Loop BB10_3 Depth=1
                                        ; =>  This Loop Header: Depth=2
                                        ;       Child Loop BB10_53 Depth 3
                                        ;       Child Loop BB10_55 Depth 3
	s_lshl_b32 s42, s8, 5
	s_cmp_le_i32 s26, s8
	v_dual_mov_b32 v9, v3 :: v_dual_add_nc_u32 v8, s42, v15
	s_mov_b32 s41, s9
	s_mov_b32 s43, s26
	ds_load_b32 v10, v8
	s_cbranch_scc1 .LBB10_54
.LBB10_53:                              ;   Parent Loop BB10_3 Depth=1
                                        ;     Parent Loop BB10_52 Depth=2
                                        ; =>    This Inner Loop Header: Depth=3
	v_mov_b32_e32 v11, s41
	s_add_co_i32 s43, s43, -1
	s_sub_co_i32 s41, s41, 32
	s_cmp_le_i32 s43, s8
	ds_load_b32 v12, v9
	ds_load_b32 v11, v11
	v_subrev_nc_u32_e32 v9, 32, v9
	s_wait_dscnt 0x0
	v_fma_f32 v10, -v12, v11, v10
	s_cbranch_scc0 .LBB10_53
.LBB10_54:                              ;   in Loop: Header=BB10_52 Depth=2
	s_lshl_b32 s41, s8, 2
	s_mov_b32 s44, s18
	s_add_co_i32 s43, s41, s42
	s_sub_co_i32 s42, s42, 32
	v_mov_b32_e32 v9, s43
	s_cmp_le_i32 s18, s8
	s_mov_b32 s43, s40
	ds_load_b32 v12, v9
	s_wait_dscnt 0x0
	v_div_scale_f32 v13, null, v12, v12, v10
	s_delay_alu instid0(VALU_DEP_1) | instskip(SKIP_1) | instid1(TRANS32_DEP_1)
	v_rcp_f32_e32 v18, v13
	v_nop
	v_fma_f32 v19, -v13, v18, 1.0
	s_delay_alu instid0(VALU_DEP_1) | instskip(SKIP_1) | instid1(VALU_DEP_1)
	v_fmac_f32_e32 v18, v19, v18
	v_div_scale_f32 v19, vcc_lo, v10, v12, v10
	v_dual_mul_f32 v20, v19, v18 :: v_dual_add_nc_u32 v9, s42, v15
	ds_load_b32 v11, v9
	v_fma_f32 v21, -v13, v20, v19
	s_delay_alu instid0(VALU_DEP_1) | instskip(NEXT) | instid1(VALU_DEP_1)
	v_fmac_f32_e32 v20, v21, v18
	v_fma_f32 v13, -v13, v20, v19
	s_delay_alu instid0(VALU_DEP_1) | instskip(NEXT) | instid1(VALU_DEP_1)
	v_div_fmas_f32 v13, v13, v18, v20
	v_div_fixup_f32 v12, v13, v12, v10
	v_mov_b32_e32 v10, v3
	ds_store_b32 v8, v12
	s_cbranch_scc1 .LBB10_51
.LBB10_55:                              ;   Parent Loop BB10_3 Depth=1
                                        ;     Parent Loop BB10_52 Depth=2
                                        ; =>    This Inner Loop Header: Depth=3
	v_mov_b32_e32 v8, s43
	s_add_co_i32 s44, s44, -1
	s_sub_co_i32 s43, s43, 32
	s_cmp_gt_i32 s44, s8
	ds_load_b32 v12, v10
	ds_load_b32 v8, v8
	v_subrev_nc_u32_e32 v10, 32, v10
	s_wait_dscnt 0x0
	v_fma_f32 v11, -v12, v8, v11
	s_cbranch_scc1 .LBB10_55
	s_branch .LBB10_51
.LBB10_56:                              ;   in Loop: Header=BB10_3 Depth=1
	s_mov_b32 s8, 0
.LBB10_57:                              ;   in Loop: Header=BB10_3 Depth=1
	s_delay_alu instid0(SALU_CYCLE_1)
	s_and_not1_b32 vcc_lo, exec_lo, s8
	s_cbranch_vccnz .LBB10_77
; %bb.58:                               ;   in Loop: Header=BB10_3 Depth=1
	s_mov_b32 s40, s26
	s_and_not1_b32 vcc_lo, exec_lo, s29
	s_mov_b32 s8, s25
	s_mov_b32 s9, s26
	s_cbranch_vccnz .LBB10_64
.LBB10_59:                              ;   Parent Loop BB10_3 Depth=1
                                        ; =>  This Loop Header: Depth=2
                                        ;       Child Loop BB10_60 Depth 3
	s_add_co_i32 s42, s9, -1
	v_lshl_add_u32 v12, s9, 5, v15
	s_add_co_i32 s41, s9, -2
	v_lshl_add_u32 v13, s42, 5, v15
	s_add_co_i32 s40, s9, -3
	v_lshl_add_u32 v18, s41, 5, v15
	v_lshl_add_u32 v19, s40, 5, v15
	ds_load_b32 v10, v12
	ds_load_b32 v11, v13
	;; [unrolled: 1-line block ×4, first 2 shown]
	v_mov_b32_e32 v20, v3
	s_cmp_le_i32 s26, s9
	s_mov_b32 s43, s8
	s_mov_b32 s44, s26
	s_cbranch_scc1 .LBB10_61
.LBB10_60:                              ;   Parent Loop BB10_3 Depth=1
                                        ;     Parent Loop BB10_59 Depth=2
                                        ; =>    This Inner Loop Header: Depth=3
	v_mov_b32_e32 v21, s43
	s_add_co_i32 s44, s44, -1
	s_add_co_i32 s43, s43, -4
	s_cmp_le_i32 s44, s9
	ds_load_2addr_b32 v[22:23], v21 offset0:16 offset1:24
	ds_load_2addr_b32 v[24:25], v21 offset1:8
	ds_load_b32 v26, v20
	v_subrev_nc_u32_e32 v20, 32, v20
	s_wait_dscnt 0x2
	v_dual_mov_b32 v28, v23 :: v_dual_mov_b32 v29, v22
	s_wait_dscnt 0x1
	v_dual_mov_b32 v22, v25 :: v_dual_mov_b32 v23, v24
	s_wait_dscnt 0x0
	s_delay_alu instid0(VALU_DEP_2) | instskip(NEXT) | instid1(VALU_DEP_2)
	v_pk_fma_f32 v[10:11], v[26:27], v[28:29], v[10:11] op_sel_hi:[0,1,1] neg_lo:[1,0,0] neg_hi:[1,0,0]
	v_pk_fma_f32 v[8:9], v[26:27], v[22:23], v[8:9] op_sel_hi:[0,1,1] neg_lo:[1,0,0] neg_hi:[1,0,0]
	s_cbranch_scc0 .LBB10_60
.LBB10_61:                              ;   in Loop: Header=BB10_59 Depth=2
	s_lshl_b32 s45, s42, 3
	s_lshl_b32 s44, s41, 3
	;; [unrolled: 1-line block ×3, first 2 shown]
; %bb.62:                               ;   in Loop: Header=BB10_59 Depth=2
	s_mul_i32 s46, s9, 36
	s_lshl_b32 s45, s45, 2
	v_mov_b32_e32 v20, s46
	s_lshl_b32 s42, s42, 2
	s_lshl_b32 s44, s44, 2
	;; [unrolled: 1-line block ×3, first 2 shown]
	s_add_co_i32 s42, s45, s42
	s_add_co_i32 s45, s44, s46
	s_lshl_b32 s41, s41, 2
	v_mov_b32_e32 v22, s45
	ds_load_b32 v24, v20
	s_add_co_i32 s41, s44, s41
	s_delay_alu instid0(SALU_CYCLE_1)
	v_dual_mov_b32 v20, s42 :: v_dual_mov_b32 v23, s41
	ds_load_2addr_b32 v[20:21], v20 offset1:1
	ds_load_b32 v25, v22
	ds_load_2addr_b32 v[22:23], v23 offset1:1
	s_lshl_b32 s41, s43, 2
	s_lshl_b32 s40, s40, 2
	s_add_co_i32 s42, s41, s46
	s_add_co_i32 s40, s41, s40
	s_add_co_i32 s42, s42, -4
	s_addk_co_i32 s8, 0xff80
	s_wait_dscnt 0x3
	v_div_scale_f32 v26, null, v24, v24, v10
	v_div_scale_f32 v29, vcc_lo, v10, v24, v10
	s_delay_alu instid0(VALU_DEP_2) | instskip(SKIP_1) | instid1(TRANS32_DEP_1)
	v_rcp_f32_e32 v27, v26
	v_nop
	v_fma_f32 v28, -v26, v27, 1.0
	s_delay_alu instid0(VALU_DEP_1) | instskip(NEXT) | instid1(VALU_DEP_1)
	v_fmac_f32_e32 v27, v28, v27
	v_mul_f32_e32 v28, v29, v27
	s_delay_alu instid0(VALU_DEP_1) | instskip(NEXT) | instid1(VALU_DEP_1)
	v_fma_f32 v30, -v26, v28, v29
	v_fmac_f32_e32 v28, v30, v27
	s_delay_alu instid0(VALU_DEP_1) | instskip(NEXT) | instid1(VALU_DEP_1)
	v_fma_f32 v26, -v26, v28, v29
	v_div_fmas_f32 v26, v26, v27, v28
	s_delay_alu instid0(VALU_DEP_1) | instskip(SKIP_1) | instid1(VALU_DEP_1)
	v_div_fixup_f32 v24, v26, v24, v10
	s_wait_dscnt 0x2
	v_fma_f32 v10, -v24, v21, v11
	s_wait_dscnt 0x1
	v_fma_f32 v8, -v24, v25, v8
	s_delay_alu instid0(VALU_DEP_2) | instskip(SKIP_1) | instid1(VALU_DEP_2)
	v_div_scale_f32 v11, null, v20, v20, v10
	v_div_scale_f32 v27, vcc_lo, v10, v20, v10
	v_rcp_f32_e32 v21, v11
	v_nop
	s_delay_alu instid0(TRANS32_DEP_1) | instskip(NEXT) | instid1(VALU_DEP_1)
	v_fma_f32 v26, -v11, v21, 1.0
	v_fmac_f32_e32 v21, v26, v21
	s_delay_alu instid0(VALU_DEP_1) | instskip(NEXT) | instid1(VALU_DEP_1)
	v_mul_f32_e32 v26, v27, v21
	v_fma_f32 v28, -v11, v26, v27
	s_delay_alu instid0(VALU_DEP_1) | instskip(NEXT) | instid1(VALU_DEP_1)
	v_fmac_f32_e32 v26, v28, v21
	v_fma_f32 v11, -v11, v26, v27
	s_delay_alu instid0(VALU_DEP_1) | instskip(NEXT) | instid1(VALU_DEP_1)
	v_div_fmas_f32 v11, v11, v21, v26
	v_div_fixup_f32 v25, v11, v20, v10
	s_wait_dscnt 0x0
	s_delay_alu instid0(VALU_DEP_1) | instskip(NEXT) | instid1(VALU_DEP_1)
	v_fma_f32 v8, -v25, v23, v8
	v_div_scale_f32 v23, null, v22, v22, v8
	v_div_scale_f32 v27, vcc_lo, v8, v22, v8
	s_delay_alu instid0(VALU_DEP_2) | instskip(SKIP_1) | instid1(TRANS32_DEP_1)
	v_rcp_f32_e32 v26, v23
	v_nop
	v_fma_f32 v10, -v23, v26, 1.0
	s_delay_alu instid0(VALU_DEP_1) | instskip(NEXT) | instid1(VALU_DEP_1)
	v_dual_fmac_f32 v26, v10, v26 :: v_dual_mov_b32 v11, s42
	v_mul_f32_e32 v28, v27, v26
	ds_load_2addr_b32 v[10:11], v11 offset1:1
	v_mov_b32_e32 v20, s40
	s_add_co_i32 s40, s9, -4
	s_cmp_lt_i32 s9, 7
	v_fma_f32 v29, -v23, v28, v27
	ds_load_2addr_b32 v[20:21], v20 offset1:1
	s_wait_dscnt 0x1
	v_dual_fmac_f32 v28, v29, v26 :: v_dual_fma_f32 v9, -v24, v11, v9
	s_delay_alu instid0(VALU_DEP_1) | instskip(NEXT) | instid1(VALU_DEP_1)
	v_dual_fma_f32 v23, -v23, v28, v27 :: v_dual_fma_f32 v9, -v25, v10, v9
	v_div_fmas_f32 v11, v23, v26, v28
	s_delay_alu instid0(VALU_DEP_1) | instskip(SKIP_1) | instid1(VALU_DEP_1)
	v_div_fixup_f32 v8, v11, v22, v8
	s_wait_dscnt 0x0
	v_fma_f32 v9, -v8, v21, v9
	s_delay_alu instid0(VALU_DEP_1) | instskip(NEXT) | instid1(VALU_DEP_1)
	v_div_scale_f32 v10, null, v20, v20, v9
	v_rcp_f32_e32 v11, v10
	v_nop
	s_delay_alu instid0(TRANS32_DEP_1) | instskip(NEXT) | instid1(VALU_DEP_1)
	v_fma_f32 v21, -v10, v11, 1.0
	v_fmac_f32_e32 v11, v21, v11
	v_div_scale_f32 v22, vcc_lo, v9, v20, v9
	s_delay_alu instid0(VALU_DEP_1) | instskip(NEXT) | instid1(VALU_DEP_1)
	v_mul_f32_e32 v21, v22, v11
	v_fma_f32 v23, -v10, v21, v22
	s_delay_alu instid0(VALU_DEP_1) | instskip(NEXT) | instid1(VALU_DEP_1)
	v_fmac_f32_e32 v21, v23, v11
	v_fma_f32 v10, -v10, v21, v22
	s_delay_alu instid0(VALU_DEP_1) | instskip(NEXT) | instid1(VALU_DEP_1)
	v_div_fmas_f32 v10, v10, v11, v21
	v_div_fixup_f32 v9, v10, v20, v9
	ds_store_b32 v12, v24
	ds_store_b32 v13, v25
	;; [unrolled: 1-line block ×4, first 2 shown]
	s_cbranch_scc1 .LBB10_64
; %bb.63:                               ;   in Loop: Header=BB10_59 Depth=2
	s_mov_b32 s9, s40
	s_branch .LBB10_59
.LBB10_64:                              ;   in Loop: Header=BB10_3 Depth=1
	s_cmp_lt_i32 s40, 0
	s_cbranch_scc1 .LBB10_77
; %bb.65:                               ;   in Loop: Header=BB10_3 Depth=1
	s_bitcmp1_b32 s40, 0
	s_cselect_b32 s8, -1, 0
	s_delay_alu instid0(SALU_CYCLE_1)
	s_and_b32 vcc_lo, exec_lo, s8
	s_mov_b32 s8, s40
	s_cbranch_vccnz .LBB10_70
; %bb.66:                               ;   in Loop: Header=BB10_3 Depth=1
	v_lshl_add_u32 v8, s40, 5, v15
	s_cmp_le_i32 s26, s40
	ds_load_b32 v9, v8
	s_cbranch_scc1 .LBB10_69
; %bb.67:                               ;   in Loop: Header=BB10_3 Depth=1
	v_mov_b32_e32 v10, v3
	s_lshl_b32 s8, s40, 5
	s_mov_b32 s9, s26
	s_add_co_i32 s8, s38, s8
.LBB10_68:                              ;   Parent Loop BB10_3 Depth=1
                                        ; =>  This Inner Loop Header: Depth=2
	s_delay_alu instid0(SALU_CYCLE_1)
	v_mov_b32_e32 v11, s8
	s_add_co_i32 s9, s9, -1
	s_add_co_i32 s8, s8, -4
	s_cmp_gt_u32 s9, s40
	ds_load_b32 v12, v10
	ds_load_b32 v11, v11
	v_subrev_nc_u32_e32 v10, 32, v10
	s_wait_dscnt 0x0
	v_fma_f32 v9, -v12, v11, v9
	s_cbranch_scc1 .LBB10_68
.LBB10_69:                              ;   in Loop: Header=BB10_3 Depth=1
	s_mul_i32 s8, s40, 36
	s_delay_alu instid0(SALU_CYCLE_1) | instskip(SKIP_4) | instid1(VALU_DEP_1)
	v_mov_b32_e32 v10, s8
	s_add_co_i32 s8, s40, -1
	ds_load_b32 v10, v10
	s_wait_dscnt 0x0
	v_div_scale_f32 v11, null, v10, v10, v9
	v_rcp_f32_e32 v12, v11
	v_nop
	s_delay_alu instid0(TRANS32_DEP_1) | instskip(NEXT) | instid1(VALU_DEP_1)
	v_fma_f32 v13, -v11, v12, 1.0
	v_fmac_f32_e32 v12, v13, v12
	v_div_scale_f32 v13, vcc_lo, v9, v10, v9
	s_delay_alu instid0(VALU_DEP_1) | instskip(NEXT) | instid1(VALU_DEP_1)
	v_mul_f32_e32 v18, v13, v12
	v_fma_f32 v19, -v11, v18, v13
	s_delay_alu instid0(VALU_DEP_1) | instskip(NEXT) | instid1(VALU_DEP_1)
	v_fmac_f32_e32 v18, v19, v12
	v_fma_f32 v11, -v11, v18, v13
	s_delay_alu instid0(VALU_DEP_1) | instskip(NEXT) | instid1(VALU_DEP_1)
	v_div_fmas_f32 v11, v11, v12, v18
	v_div_fixup_f32 v9, v11, v10, v9
	ds_store_b32 v8, v9
.LBB10_70:                              ;   in Loop: Header=BB10_3 Depth=1
	s_cmp_eq_u32 s40, 0
	s_cbranch_scc1 .LBB10_77
; %bb.71:                               ;   in Loop: Header=BB10_3 Depth=1
	s_lshl_b32 s40, s8, 5
	s_delay_alu instid0(SALU_CYCLE_1)
	s_add_co_i32 s9, s38, s40
	s_add_co_i32 s40, s39, s40
	s_branch .LBB10_73
.LBB10_72:                              ;   in Loop: Header=BB10_73 Depth=2
	s_sub_co_i32 s42, s42, 36
	s_add_co_i32 s8, s8, -2
	v_mov_b32_e32 v8, s42
	s_sub_co_i32 s9, s9, 64
	s_sub_co_i32 s40, s40, 64
	s_cmp_eq_u32 s41, 0
	ds_load_b32 v8, v8
	s_wait_dscnt 0x0
	v_div_scale_f32 v10, null, v8, v8, v11
	v_div_scale_f32 v18, vcc_lo, v11, v8, v11
	s_delay_alu instid0(VALU_DEP_2) | instskip(SKIP_1) | instid1(TRANS32_DEP_1)
	v_rcp_f32_e32 v12, v10
	v_nop
	v_fma_f32 v13, -v10, v12, 1.0
	s_delay_alu instid0(VALU_DEP_1) | instskip(NEXT) | instid1(VALU_DEP_1)
	v_fmac_f32_e32 v12, v13, v12
	v_mul_f32_e32 v13, v18, v12
	s_delay_alu instid0(VALU_DEP_1) | instskip(NEXT) | instid1(VALU_DEP_1)
	v_fma_f32 v19, -v10, v13, v18
	v_fmac_f32_e32 v13, v19, v12
	s_delay_alu instid0(VALU_DEP_1) | instskip(NEXT) | instid1(VALU_DEP_1)
	v_fma_f32 v10, -v10, v13, v18
	v_div_fmas_f32 v10, v10, v12, v13
	s_delay_alu instid0(VALU_DEP_1)
	v_div_fixup_f32 v8, v10, v8, v11
	ds_store_b32 v9, v8
	s_cbranch_scc1 .LBB10_77
.LBB10_73:                              ;   Parent Loop BB10_3 Depth=1
                                        ; =>  This Loop Header: Depth=2
                                        ;       Child Loop BB10_74 Depth 3
                                        ;       Child Loop BB10_76 Depth 3
	v_lshl_add_u32 v8, s8, 5, v15
	v_mov_b32_e32 v9, v3
	s_cmp_le_i32 s26, s8
	s_mov_b32 s41, s9
	s_mov_b32 s42, s26
	ds_load_b32 v10, v8
	s_cbranch_scc1 .LBB10_75
.LBB10_74:                              ;   Parent Loop BB10_3 Depth=1
                                        ;     Parent Loop BB10_73 Depth=2
                                        ; =>    This Inner Loop Header: Depth=3
	v_mov_b32_e32 v11, s41
	s_add_co_i32 s42, s42, -1
	s_add_co_i32 s41, s41, -4
	s_cmp_le_u32 s42, s8
	ds_load_b32 v12, v9
	ds_load_b32 v11, v11
	v_subrev_nc_u32_e32 v9, 32, v9
	s_wait_dscnt 0x0
	v_fma_f32 v10, -v12, v11, v10
	s_cbranch_scc0 .LBB10_74
.LBB10_75:                              ;   in Loop: Header=BB10_73 Depth=2
	s_mul_i32 s42, s8, 36
	s_add_co_i32 s41, s8, -1
	v_mov_b32_e32 v9, s42
	s_cmp_le_i32 s18, s8
	s_mov_b32 s43, s40
	s_mov_b32 s44, s26
	ds_load_b32 v12, v9
	v_lshl_add_u32 v9, s41, 5, v15
	ds_load_b32 v11, v9
	s_wait_dscnt 0x1
	v_div_scale_f32 v13, null, v12, v12, v10
	s_delay_alu instid0(VALU_DEP_1) | instskip(SKIP_1) | instid1(TRANS32_DEP_1)
	v_rcp_f32_e32 v18, v13
	v_nop
	v_fma_f32 v19, -v13, v18, 1.0
	s_delay_alu instid0(VALU_DEP_1) | instskip(SKIP_1) | instid1(VALU_DEP_1)
	v_fmac_f32_e32 v18, v19, v18
	v_div_scale_f32 v19, vcc_lo, v10, v12, v10
	v_mul_f32_e32 v20, v19, v18
	s_delay_alu instid0(VALU_DEP_1) | instskip(NEXT) | instid1(VALU_DEP_1)
	v_fma_f32 v21, -v13, v20, v19
	v_fmac_f32_e32 v20, v21, v18
	s_delay_alu instid0(VALU_DEP_1) | instskip(NEXT) | instid1(VALU_DEP_1)
	v_fma_f32 v13, -v13, v20, v19
	v_div_fmas_f32 v13, v13, v18, v20
	s_delay_alu instid0(VALU_DEP_1)
	v_div_fixup_f32 v12, v13, v12, v10
	v_mov_b32_e32 v10, v3
	ds_store_b32 v8, v12
	s_cbranch_scc1 .LBB10_72
.LBB10_76:                              ;   Parent Loop BB10_3 Depth=1
                                        ;     Parent Loop BB10_73 Depth=2
                                        ; =>    This Inner Loop Header: Depth=3
	v_mov_b32_e32 v8, s43
	s_add_co_i32 s44, s44, -1
	s_add_co_i32 s43, s43, -4
	s_cmp_gt_u32 s44, s41
	ds_load_b32 v12, v10
	ds_load_b32 v8, v8
	v_subrev_nc_u32_e32 v10, 32, v10
	s_wait_dscnt 0x0
	v_fma_f32 v11, -v12, v8, v11
	s_cbranch_scc1 .LBB10_76
	s_branch .LBB10_72
.LBB10_77:                              ;   in Loop: Header=BB10_3 Depth=1
	s_mov_b32 s8, 0
.LBB10_78:                              ;   in Loop: Header=BB10_3 Depth=1
	s_delay_alu instid0(SALU_CYCLE_1)
	s_and_not1_b32 vcc_lo, exec_lo, s8
	s_cbranch_vccnz .LBB10_90
; %bb.79:                               ;   in Loop: Header=BB10_3 Depth=1
	s_and_not1_b32 vcc_lo, exec_lo, s29
	s_mov_b32 s40, 0
	s_cbranch_vccnz .LBB10_85
; %bb.80:                               ;   in Loop: Header=BB10_3 Depth=1
	s_mov_b32 s8, 0
	s_mov_b32 s9, 0
.LBB10_81:                              ;   Parent Loop BB10_3 Depth=1
                                        ; =>  This Loop Header: Depth=2
                                        ;       Child Loop BB10_82 Depth 3
	s_delay_alu instid0(SALU_CYCLE_1)
	s_or_b32 s41, s9, 1
	v_lshl_add_u32 v12, s9, 5, v15
	s_or_b32 s42, s9, 2
	s_or_b32 s40, s9, 3
	v_lshl_add_u32 v13, s41, 5, v15
	v_lshl_add_u32 v18, s42, 5, v15
	;; [unrolled: 1-line block ×3, first 2 shown]
	ds_load_b32 v10, v12
	ds_load_b32 v11, v13
	;; [unrolled: 1-line block ×4, first 2 shown]
	v_mov_b32_e32 v20, v15
	s_cmp_eq_u32 s9, 0
	s_mov_b32 s43, s8
	s_mov_b32 s44, s9
	s_cbranch_scc1 .LBB10_83
.LBB10_82:                              ;   Parent Loop BB10_3 Depth=1
                                        ;     Parent Loop BB10_81 Depth=2
                                        ; =>    This Inner Loop Header: Depth=3
	v_mov_b32_e32 v21, s43
	s_add_co_i32 s44, s44, -1
	s_add_co_i32 s43, s43, 4
	s_cmp_eq_u32 s44, 0
	ds_load_b32 v22, v20
	ds_load_2addr_b32 v[24:25], v21 offset1:8
	ds_load_2addr_b32 v[26:27], v21 offset0:16 offset1:24
	v_add_nc_u32_e32 v20, 32, v20
	s_wait_dscnt 0x1
	v_pk_fma_f32 v[10:11], v[22:23], v[24:25], v[10:11] op_sel_hi:[0,1,1] neg_lo:[1,0,0] neg_hi:[1,0,0]
	s_wait_dscnt 0x0
	v_pk_fma_f32 v[8:9], v[22:23], v[26:27], v[8:9] op_sel_hi:[0,1,1] neg_lo:[1,0,0] neg_hi:[1,0,0]
	s_cbranch_scc0 .LBB10_82
.LBB10_83:                              ;   in Loop: Header=BB10_81 Depth=2
	s_lshl_b32 s43, s41, 3
	s_lshl_b32 s41, s42, 3
	s_mul_i32 s42, s9, 36
	s_lshl_b32 s41, s41, 2
	v_mov_b32_e32 v20, s42
	s_lshl_b32 s42, s43, 2
	s_lshl_b32 s43, s9, 2
	;; [unrolled: 1-line block ×3, first 2 shown]
	s_add_co_i32 s41, s41, s43
	s_add_co_i32 s42, s42, s43
	v_mov_b32_e32 v22, s41
	ds_load_b32 v25, v20
	s_lshl_b32 s40, s40, 2
	s_addk_co_i32 s8, 0x80
	s_add_co_i32 s40, s40, s43
	s_wait_dscnt 0x0
	v_div_scale_f32 v26, null, v25, v25, v10
	v_div_scale_f32 v29, vcc_lo, v10, v25, v10
	s_delay_alu instid0(VALU_DEP_2) | instskip(SKIP_1) | instid1(TRANS32_DEP_1)
	v_rcp_f32_e32 v27, v26
	v_nop
	v_fma_f32 v28, -v26, v27, 1.0
	s_delay_alu instid0(VALU_DEP_1) | instskip(SKIP_3) | instid1(VALU_DEP_1)
	v_dual_mov_b32 v20, s42 :: v_dual_fmac_f32 v27, v28, v27
	ds_load_b64 v[20:21], v20
	ds_load_b96 v[22:24], v22
	v_mul_f32_e32 v28, v29, v27
	v_fma_f32 v30, -v26, v28, v29
	s_delay_alu instid0(VALU_DEP_1) | instskip(NEXT) | instid1(VALU_DEP_1)
	v_fmac_f32_e32 v28, v30, v27
	v_fma_f32 v26, -v26, v28, v29
	s_delay_alu instid0(VALU_DEP_1) | instskip(NEXT) | instid1(VALU_DEP_1)
	v_div_fmas_f32 v26, v26, v27, v28
	v_div_fixup_f32 v10, v26, v25, v10
	s_wait_dscnt 0x0
	s_delay_alu instid0(VALU_DEP_1) | instskip(NEXT) | instid1(VALU_DEP_1)
	v_dual_fma_f32 v11, -v10, v20, v11 :: v_dual_fma_f32 v8, -v10, v22, v8
	v_div_scale_f32 v20, null, v21, v21, v11
	v_div_scale_f32 v27, vcc_lo, v11, v21, v11
	s_delay_alu instid0(VALU_DEP_2) | instskip(SKIP_1) | instid1(TRANS32_DEP_1)
	v_rcp_f32_e32 v25, v20
	v_nop
	v_fma_f32 v26, -v20, v25, 1.0
	s_delay_alu instid0(VALU_DEP_1) | instskip(NEXT) | instid1(VALU_DEP_1)
	v_fmac_f32_e32 v25, v26, v25
	v_mul_f32_e32 v26, v27, v25
	s_delay_alu instid0(VALU_DEP_1) | instskip(NEXT) | instid1(VALU_DEP_1)
	v_fma_f32 v28, -v20, v26, v27
	v_fmac_f32_e32 v26, v28, v25
	s_delay_alu instid0(VALU_DEP_1) | instskip(NEXT) | instid1(VALU_DEP_1)
	v_fma_f32 v20, -v20, v26, v27
	v_div_fmas_f32 v20, v20, v25, v26
	s_delay_alu instid0(VALU_DEP_1) | instskip(NEXT) | instid1(VALU_DEP_1)
	v_div_fixup_f32 v11, v20, v21, v11
	v_fma_f32 v8, -v11, v23, v8
	s_delay_alu instid0(VALU_DEP_1) | instskip(SKIP_1) | instid1(VALU_DEP_2)
	v_div_scale_f32 v25, null, v24, v24, v8
	v_div_scale_f32 v27, vcc_lo, v8, v24, v8
	v_rcp_f32_e32 v26, v25
	v_nop
	s_delay_alu instid0(TRANS32_DEP_1) | instskip(SKIP_3) | instid1(VALU_DEP_2)
	v_fma_f32 v20, -v25, v26, 1.0
	v_mov_b32_e32 v21, s40
	s_add_co_i32 s40, s9, 4
	s_add_co_i32 s9, s9, 7
	v_fmac_f32_e32 v26, v20, v26
	ds_load_b128 v[20:23], v21
	s_cmp_ge_i32 s9, s18
	s_wait_dscnt 0x0
	v_dual_mul_f32 v28, v27, v26 :: v_dual_fma_f32 v9, -v10, v20, v9
	s_delay_alu instid0(VALU_DEP_1) | instskip(NEXT) | instid1(VALU_DEP_1)
	v_dual_fma_f32 v29, -v25, v28, v27 :: v_dual_fma_f32 v9, -v11, v21, v9
	v_fmac_f32_e32 v28, v29, v26
	s_delay_alu instid0(VALU_DEP_1) | instskip(NEXT) | instid1(VALU_DEP_1)
	v_fma_f32 v25, -v25, v28, v27
	v_div_fmas_f32 v20, v25, v26, v28
	s_delay_alu instid0(VALU_DEP_1) | instskip(NEXT) | instid1(VALU_DEP_1)
	v_div_fixup_f32 v8, v20, v24, v8
	v_fma_f32 v9, -v8, v22, v9
	s_delay_alu instid0(VALU_DEP_1) | instskip(SKIP_1) | instid1(VALU_DEP_2)
	v_div_scale_f32 v20, null, v23, v23, v9
	v_div_scale_f32 v24, vcc_lo, v9, v23, v9
	v_rcp_f32_e32 v21, v20
	v_nop
	s_delay_alu instid0(TRANS32_DEP_1) | instskip(NEXT) | instid1(VALU_DEP_1)
	v_fma_f32 v22, -v20, v21, 1.0
	v_fmac_f32_e32 v21, v22, v21
	s_delay_alu instid0(VALU_DEP_1) | instskip(NEXT) | instid1(VALU_DEP_1)
	v_mul_f32_e32 v22, v24, v21
	v_fma_f32 v25, -v20, v22, v24
	s_delay_alu instid0(VALU_DEP_1) | instskip(NEXT) | instid1(VALU_DEP_1)
	v_fmac_f32_e32 v22, v25, v21
	v_fma_f32 v20, -v20, v22, v24
	s_delay_alu instid0(VALU_DEP_1) | instskip(NEXT) | instid1(VALU_DEP_1)
	v_div_fmas_f32 v20, v20, v21, v22
	v_div_fixup_f32 v9, v20, v23, v9
	ds_store_b32 v12, v10
	ds_store_b32 v13, v11
	ds_store_b32 v18, v8
	ds_store_b32 v19, v9
	s_cbranch_scc1 .LBB10_85
; %bb.84:                               ;   in Loop: Header=BB10_81 Depth=2
	s_mov_b32 s9, s40
	s_branch .LBB10_81
.LBB10_85:                              ;   in Loop: Header=BB10_3 Depth=1
	s_cmp_ge_i32 s40, s18
	s_cbranch_scc1 .LBB10_90
; %bb.86:                               ;   in Loop: Header=BB10_3 Depth=1
	s_lshl_b32 s8, s40, 5
	s_branch .LBB10_88
.LBB10_87:                              ;   in Loop: Header=BB10_88 Depth=2
	s_mul_i32 s9, s40, 36
	s_add_co_i32 s40, s40, 1
	v_mov_b32_e32 v10, s9
	s_add_co_i32 s8, s8, 32
	s_cmp_ge_i32 s40, s18
	ds_load_b32 v10, v10
	s_wait_dscnt 0x0
	v_div_scale_f32 v11, null, v10, v10, v9
	s_delay_alu instid0(VALU_DEP_1) | instskip(SKIP_1) | instid1(TRANS32_DEP_1)
	v_rcp_f32_e32 v12, v11
	v_nop
	v_fma_f32 v13, -v11, v12, 1.0
	s_delay_alu instid0(VALU_DEP_1) | instskip(SKIP_1) | instid1(VALU_DEP_1)
	v_fmac_f32_e32 v12, v13, v12
	v_div_scale_f32 v13, vcc_lo, v9, v10, v9
	v_mul_f32_e32 v18, v13, v12
	s_delay_alu instid0(VALU_DEP_1) | instskip(NEXT) | instid1(VALU_DEP_1)
	v_fma_f32 v19, -v11, v18, v13
	v_fmac_f32_e32 v18, v19, v12
	s_delay_alu instid0(VALU_DEP_1) | instskip(NEXT) | instid1(VALU_DEP_1)
	v_fma_f32 v11, -v11, v18, v13
	v_div_fmas_f32 v11, v11, v12, v18
	s_delay_alu instid0(VALU_DEP_1)
	v_div_fixup_f32 v9, v11, v10, v9
	ds_store_b32 v8, v9
	s_cbranch_scc1 .LBB10_90
.LBB10_88:                              ;   Parent Loop BB10_3 Depth=1
                                        ; =>  This Loop Header: Depth=2
                                        ;       Child Loop BB10_89 Depth 3
	v_lshl_add_u32 v8, s40, 5, v15
	v_mov_b32_e32 v10, v15
	s_cmp_eq_u32 s40, 0
	s_mov_b32 s9, s8
	s_mov_b32 s41, s40
	ds_load_b32 v9, v8
	s_cbranch_scc1 .LBB10_87
.LBB10_89:                              ;   Parent Loop BB10_3 Depth=1
                                        ;     Parent Loop BB10_88 Depth=2
                                        ; =>    This Inner Loop Header: Depth=3
	v_mov_b32_e32 v11, s9
	s_add_co_i32 s41, s41, -1
	s_add_co_i32 s9, s9, 4
	s_cmp_eq_u32 s41, 0
	ds_load_b32 v12, v10
	ds_load_b32 v11, v11
	s_wait_dscnt 0x0
	v_dual_add_nc_u32 v10, 32, v10 :: v_dual_fma_f32 v9, -v12, v11, v9
	s_cbranch_scc0 .LBB10_89
	s_branch .LBB10_87
.LBB10_90:                              ;   in Loop: Header=BB10_3 Depth=1
	s_and_saveexec_b32 s40, s30
	s_cbranch_execz .LBB10_2
; %bb.91:                               ;   in Loop: Header=BB10_3 Depth=1
	s_and_not1_b32 vcc_lo, exec_lo, s36
	s_cbranch_vccnz .LBB10_95
; %bb.92:                               ;   in Loop: Header=BB10_3 Depth=1
	s_mov_b32 s9, 1
	s_mov_b32 s41, 0
	;; [unrolled: 1-line block ×3, first 2 shown]
.LBB10_93:                              ;   Parent Loop BB10_3 Depth=1
                                        ; =>  This Inner Loop Header: Depth=2
	v_lshl_add_u32 v8, s41, 5, v15
	v_lshl_add_u32 v9, s9, 5, v15
	s_add_co_i32 s42, s42, -2
	s_add_co_i32 s41, s41, 2
	s_add_co_i32 s9, s9, 2
	ds_load_b32 v8, v8
	ds_load_b32 v9, v9
	s_mov_b32 s8, s35
	s_cmp_lg_u32 s42, 0
	s_mov_b32 s43, s37
	s_wait_dscnt 0x0
	global_store_b64 v[6:7], v[8:9], off
	s_wait_xcnt 0x0
	v_add_nc_u64_e32 v[6:7], 8, v[6:7]
	s_cbranch_scc1 .LBB10_93
; %bb.94:                               ;   in Loop: Header=BB10_3 Depth=1
	s_and_b32 vcc_lo, exec_lo, s43
	s_cbranch_vccz .LBB10_2
	s_branch .LBB10_96
.LBB10_95:                              ;   in Loop: Header=BB10_3 Depth=1
	s_mov_b32 s8, 0
	s_cbranch_execz .LBB10_2
.LBB10_96:                              ;   in Loop: Header=BB10_3 Depth=1
	s_mov_b32 s9, s3
	v_lshl_add_u32 v8, s8, 5, v15
	s_mul_u64 s[42:43], s[16:17], s[8:9]
	s_delay_alu instid0(SALU_CYCLE_1) | instskip(NEXT) | instid1(SALU_CYCLE_1)
	s_add_nc_u64 s[6:7], s[42:43], s[6:7]
	v_add_nc_u64_e32 v[6:7], s[6:7], v[4:5]
	s_sub_co_i32 s6, s20, s8
.LBB10_97:                              ;   Parent Loop BB10_3 Depth=1
                                        ; =>  This Inner Loop Header: Depth=2
	ds_load_b32 v9, v8
	v_add_nc_u32_e32 v8, 32, v8
	s_add_co_i32 s6, s6, -1
	s_delay_alu instid0(SALU_CYCLE_1)
	s_cmp_lg_u32 s6, 0
	s_wait_dscnt 0x0
	global_store_b32 v[6:7], v9, off
	s_wait_xcnt 0x0
	v_add_nc_u64_e32 v[6:7], s[16:17], v[6:7]
	s_cbranch_scc1 .LBB10_97
	s_branch .LBB10_2
.LBB10_98:
	s_endpgm
	.section	.rodata,"a",@progbits
	.p2align	6, 0x0
	.amdhsa_kernel _ZL31rocblas_trsm_small_right_deviceIffPKfPfLi8EEv13rocblas_fill_18rocblas_operation_17rocblas_diagonal_iiT0_T1_lilT2_lili
		.amdhsa_group_segment_fixed_size 512
		.amdhsa_private_segment_fixed_size 0
		.amdhsa_kernarg_size 352
		.amdhsa_user_sgpr_count 2
		.amdhsa_user_sgpr_dispatch_ptr 0
		.amdhsa_user_sgpr_queue_ptr 0
		.amdhsa_user_sgpr_kernarg_segment_ptr 1
		.amdhsa_user_sgpr_dispatch_id 0
		.amdhsa_user_sgpr_kernarg_preload_length 0
		.amdhsa_user_sgpr_kernarg_preload_offset 0
		.amdhsa_user_sgpr_private_segment_size 0
		.amdhsa_wavefront_size32 1
		.amdhsa_uses_dynamic_stack 0
		.amdhsa_enable_private_segment 0
		.amdhsa_system_sgpr_workgroup_id_x 1
		.amdhsa_system_sgpr_workgroup_id_y 0
		.amdhsa_system_sgpr_workgroup_id_z 1
		.amdhsa_system_sgpr_workgroup_info 0
		.amdhsa_system_vgpr_workitem_id 0
		.amdhsa_next_free_vgpr 32
		.amdhsa_next_free_sgpr 47
		.amdhsa_named_barrier_count 0
		.amdhsa_reserve_vcc 1
		.amdhsa_float_round_mode_32 0
		.amdhsa_float_round_mode_16_64 0
		.amdhsa_float_denorm_mode_32 3
		.amdhsa_float_denorm_mode_16_64 3
		.amdhsa_fp16_overflow 0
		.amdhsa_memory_ordered 1
		.amdhsa_forward_progress 1
		.amdhsa_inst_pref_size 52
		.amdhsa_round_robin_scheduling 0
		.amdhsa_exception_fp_ieee_invalid_op 0
		.amdhsa_exception_fp_denorm_src 0
		.amdhsa_exception_fp_ieee_div_zero 0
		.amdhsa_exception_fp_ieee_overflow 0
		.amdhsa_exception_fp_ieee_underflow 0
		.amdhsa_exception_fp_ieee_inexact 0
		.amdhsa_exception_int_div_zero 0
	.end_amdhsa_kernel
	.section	.text._ZL31rocblas_trsm_small_right_deviceIffPKfPfLi8EEv13rocblas_fill_18rocblas_operation_17rocblas_diagonal_iiT0_T1_lilT2_lili,"axG",@progbits,_ZL31rocblas_trsm_small_right_deviceIffPKfPfLi8EEv13rocblas_fill_18rocblas_operation_17rocblas_diagonal_iiT0_T1_lilT2_lili,comdat
.Lfunc_end10:
	.size	_ZL31rocblas_trsm_small_right_deviceIffPKfPfLi8EEv13rocblas_fill_18rocblas_operation_17rocblas_diagonal_iiT0_T1_lilT2_lili, .Lfunc_end10-_ZL31rocblas_trsm_small_right_deviceIffPKfPfLi8EEv13rocblas_fill_18rocblas_operation_17rocblas_diagonal_iiT0_T1_lilT2_lili
                                        ; -- End function
	.set _ZL31rocblas_trsm_small_right_deviceIffPKfPfLi8EEv13rocblas_fill_18rocblas_operation_17rocblas_diagonal_iiT0_T1_lilT2_lili.num_vgpr, 32
	.set _ZL31rocblas_trsm_small_right_deviceIffPKfPfLi8EEv13rocblas_fill_18rocblas_operation_17rocblas_diagonal_iiT0_T1_lilT2_lili.num_agpr, 0
	.set _ZL31rocblas_trsm_small_right_deviceIffPKfPfLi8EEv13rocblas_fill_18rocblas_operation_17rocblas_diagonal_iiT0_T1_lilT2_lili.numbered_sgpr, 47
	.set _ZL31rocblas_trsm_small_right_deviceIffPKfPfLi8EEv13rocblas_fill_18rocblas_operation_17rocblas_diagonal_iiT0_T1_lilT2_lili.num_named_barrier, 0
	.set _ZL31rocblas_trsm_small_right_deviceIffPKfPfLi8EEv13rocblas_fill_18rocblas_operation_17rocblas_diagonal_iiT0_T1_lilT2_lili.private_seg_size, 0
	.set _ZL31rocblas_trsm_small_right_deviceIffPKfPfLi8EEv13rocblas_fill_18rocblas_operation_17rocblas_diagonal_iiT0_T1_lilT2_lili.uses_vcc, 1
	.set _ZL31rocblas_trsm_small_right_deviceIffPKfPfLi8EEv13rocblas_fill_18rocblas_operation_17rocblas_diagonal_iiT0_T1_lilT2_lili.uses_flat_scratch, 0
	.set _ZL31rocblas_trsm_small_right_deviceIffPKfPfLi8EEv13rocblas_fill_18rocblas_operation_17rocblas_diagonal_iiT0_T1_lilT2_lili.has_dyn_sized_stack, 0
	.set _ZL31rocblas_trsm_small_right_deviceIffPKfPfLi8EEv13rocblas_fill_18rocblas_operation_17rocblas_diagonal_iiT0_T1_lilT2_lili.has_recursion, 0
	.set _ZL31rocblas_trsm_small_right_deviceIffPKfPfLi8EEv13rocblas_fill_18rocblas_operation_17rocblas_diagonal_iiT0_T1_lilT2_lili.has_indirect_call, 0
	.section	.AMDGPU.csdata,"",@progbits
; Kernel info:
; codeLenInByte = 6600
; TotalNumSgprs: 49
; NumVgprs: 32
; ScratchSize: 0
; MemoryBound: 0
; FloatMode: 240
; IeeeMode: 1
; LDSByteSize: 512 bytes/workgroup (compile time only)
; SGPRBlocks: 0
; VGPRBlocks: 1
; NumSGPRsForWavesPerEU: 49
; NumVGPRsForWavesPerEU: 32
; NamedBarCnt: 0
; Occupancy: 16
; WaveLimiterHint : 0
; COMPUTE_PGM_RSRC2:SCRATCH_EN: 0
; COMPUTE_PGM_RSRC2:USER_SGPR: 2
; COMPUTE_PGM_RSRC2:TRAP_HANDLER: 0
; COMPUTE_PGM_RSRC2:TGID_X_EN: 1
; COMPUTE_PGM_RSRC2:TGID_Y_EN: 0
; COMPUTE_PGM_RSRC2:TGID_Z_EN: 1
; COMPUTE_PGM_RSRC2:TIDIG_COMP_CNT: 0
	.section	.text._ZL38rocblas_trsm_small_left_device_sharedBILi12ELi12ELb0EffPKfPfEv13rocblas_fill_18rocblas_operation_17rocblas_diagonal_iiT3_T4_lilT5_lili,"axG",@progbits,_ZL38rocblas_trsm_small_left_device_sharedBILi12ELi12ELb0EffPKfPfEv13rocblas_fill_18rocblas_operation_17rocblas_diagonal_iiT3_T4_lilT5_lili,comdat
	.globl	_ZL38rocblas_trsm_small_left_device_sharedBILi12ELi12ELb0EffPKfPfEv13rocblas_fill_18rocblas_operation_17rocblas_diagonal_iiT3_T4_lilT5_lili ; -- Begin function _ZL38rocblas_trsm_small_left_device_sharedBILi12ELi12ELb0EffPKfPfEv13rocblas_fill_18rocblas_operation_17rocblas_diagonal_iiT3_T4_lilT5_lili
	.p2align	8
	.type	_ZL38rocblas_trsm_small_left_device_sharedBILi12ELi12ELb0EffPKfPfEv13rocblas_fill_18rocblas_operation_17rocblas_diagonal_iiT3_T4_lilT5_lili,@function
_ZL38rocblas_trsm_small_left_device_sharedBILi12ELi12ELb0EffPKfPfEv13rocblas_fill_18rocblas_operation_17rocblas_diagonal_iiT3_T4_lilT5_lili: ; @_ZL38rocblas_trsm_small_left_device_sharedBILi12ELi12ELb0EffPKfPfEv13rocblas_fill_18rocblas_operation_17rocblas_diagonal_iiT3_T4_lilT5_lili
; %bb.0:
	s_load_b32 s18, s[0:1], 0x58
	s_bfe_u32 s2, ttmp6, 0x40014
	s_lshr_b32 s3, ttmp7, 16
	s_add_co_i32 s2, s2, 1
	s_bfe_u32 s5, ttmp6, 0x40008
	s_mul_i32 s2, s3, s2
	s_getreg_b32 s4, hwreg(HW_REG_IB_STS2, 6, 4)
	s_add_co_i32 s5, s5, s2
	s_cmp_eq_u32 s4, 0
	s_cselect_b32 s2, s3, s5
	s_mov_b32 s3, 0
	s_wait_kmcnt 0x0
	s_cmp_ge_u32 s2, s18
	s_cbranch_scc1 .LBB11_62
; %bb.1:
	s_clause 0x3
	s_load_b32 s16, s[0:1], 0x28
	s_load_b96 s[12:14], s[0:1], 0x40
	s_load_b128 s[8:11], s[0:1], 0x4
	s_load_b32 s5, s[0:1], 0x60
	v_dual_mov_b32 v27, 0 :: v_dual_lshlrev_b32 v26, 2, v0
	s_load_b32 s19, s[0:1], 0x14
	v_mul_u32_u24_e32 v14, 48, v0
	s_delay_alu instid0(VALU_DEP_2) | instskip(NEXT) | instid1(VALU_DEP_3)
	v_or_b32_e32 v32, 0x240, v26
	v_dual_mov_b32 v2, v27 :: v_dual_mov_b32 v3, v27
	v_dual_mov_b32 v4, v27 :: v_dual_mov_b32 v5, v27
	;; [unrolled: 1-line block ×5, first 2 shown]
	s_wait_kmcnt 0x0
	s_ashr_i32 s17, s16, 31
	s_delay_alu instid0(SALU_CYCLE_1)
	s_cmp_eq_u64 s[16:17], 1
	s_cselect_b32 s15, -1, 0
	s_bfe_u32 s6, ttmp6, 0x4000c
	s_min_i32 s20, s10, 12
	s_add_co_i32 s6, s6, 1
	s_add_co_i32 s22, s5, -1
	s_and_b32 s5, ttmp6, 15
	s_mul_i32 s6, ttmp9, s6
	s_ashr_i32 s30, s14, 31
	s_add_co_i32 s21, s20, -1
	s_add_co_i32 s5, s5, s6
	s_cmp_eq_u32 s4, 0
	s_cselect_b32 s23, ttmp9, s5
	s_load_b128 s[4:7], s[0:1], 0x30
	s_mul_i32 s24, s23, -12
	s_mul_i32 s28, s23, 12
	s_add_co_i32 s11, s11, s24
	s_cmp_ge_u32 s23, s22
	s_cselect_b32 s11, s11, 12
	s_ashr_i32 s29, s28, 31
	s_cmp_lg_u32 s9, 0x84
	v_cmp_gt_i32_e32 vcc_lo, s11, v0
	s_cselect_b32 s22, -1, 0
	s_cmp_gt_i32 s10, 0
	v_lshl_add_u64 v[10:11], s[28:29], 2, v[26:27]
	s_cselect_b32 s9, -1, 0
	s_cmp_lg_u32 s8, 0x6f
	s_cselect_b32 s23, -1, 0
	s_and_b32 s24, vcc_lo, s9
	s_cmp_gt_u32 s20, 1
	s_cselect_b32 s8, -1, 0
	s_and_b32 s25, s20, -2
	s_and_b32 s26, s8, s15
	s_cmp_lg_u32 s20, s25
	s_load_b128 s[8:11], s[0:1], 0x18
	s_cselect_b32 s27, -1, 0
	s_lshl_b64 s[12:13], s[12:13], 2
	s_wait_kmcnt 0x0
	s_lshl_b64 s[4:5], s[4:5], 2
	s_add_nc_u64 s[6:7], s[6:7], s[12:13]
	s_load_b64 s[12:13], s[0:1], 0x50
	v_mad_nc_u64_u32 v[28:29], v10, s14, s[6:7]
	s_wait_xcnt 0x0
	v_cmp_gt_i32_e64 s0, s20, v0
	s_mul_i32 s1, s20, 48
	s_delay_alu instid0(SALU_CYCLE_1) | instskip(SKIP_2) | instid1(SALU_CYCLE_1)
	s_sub_co_i32 s1, s1, 48
	v_mad_u32 v11, v11, s14, v29
	s_lshl_b64 s[6:7], s[10:11], 2
	s_add_nc_u64 s[8:9], s[8:9], s[6:7]
	s_lshl_b64 s[6:7], s[16:17], 2
	v_add_nc_u64_e32 v[0:1], s[8:9], v[26:27]
	s_wait_kmcnt 0x0
	s_lshl_b64 s[10:11], s[12:13], 2
	s_get_pc_i64 s[8:9]
	s_add_nc_u64 s[8:9], s[8:9], __const._ZL38rocblas_trsm_small_left_device_sharedBILi12ELi12ELb0EffPKfPfEv13rocblas_fill_18rocblas_operation_17rocblas_diagonal_iiT3_T4_lilT5_lili.step_sizes@rel64+4
	s_delay_alu instid0(VALU_DEP_2)
	v_mad_u32 v29, v10, s30, v11
	v_dual_mov_b32 v10, v27 :: v_dual_mov_b32 v11, v27
	v_add_nc_u32_e32 v27, v26, v14
	s_branch .LBB11_3
.LBB11_2:                               ;   in Loop: Header=BB11_3 Depth=1
	s_or_b32 exec_lo, exec_lo, s12
	s_delay_alu instid0(VALU_DEP_1)
	v_mov_b64_e32 v[2:3], v[14:15]
	v_mov_b64_e32 v[4:5], v[16:17]
	v_mov_b64_e32 v[6:7], v[18:19]
	v_mov_b64_e32 v[8:9], v[20:21]
	v_mov_b64_e32 v[10:11], v[22:23]
	v_mov_b64_e32 v[12:13], v[24:25]
	s_add_co_i32 s2, s2, 0x10000
	s_delay_alu instid0(SALU_CYCLE_1)
	s_cmp_lt_u32 s2, s18
	s_cbranch_scc0 .LBB11_62
.LBB11_3:                               ; =>This Loop Header: Depth=1
                                        ;     Child Loop BB11_6 Depth 2
                                        ;     Child Loop BB11_10 Depth 2
	;; [unrolled: 1-line block ×4, first 2 shown]
                                        ;       Child Loop BB11_22 Depth 3
                                        ;         Child Loop BB11_23 Depth 4
                                        ;         Child Loop BB11_26 Depth 4
                                        ;           Child Loop BB11_27 Depth 5
                                        ;         Child Loop BB11_32 Depth 4
                                        ;           Child Loop BB11_34 Depth 5
                                        ;     Child Loop BB11_43 Depth 2
                                        ;       Child Loop BB11_44 Depth 3
                                        ;       Child Loop BB11_46 Depth 3
                                        ;         Child Loop BB11_47 Depth 4
                                        ;       Child Loop BB11_52 Depth 3
                                        ;         Child Loop BB11_54 Depth 4
                                        ;     Child Loop BB11_56 Depth 2
                                        ;     Child Loop BB11_61 Depth 2
	s_and_saveexec_b32 s16, s0
	s_cbranch_execz .LBB11_14
; %bb.4:                                ;   in Loop: Header=BB11_3 Depth=1
	s_and_not1_b32 vcc_lo, exec_lo, s26
	s_mul_u64 s[12:13], s[4:5], s[2:3]
	s_cbranch_vccnz .LBB11_8
; %bb.5:                                ;   in Loop: Header=BB11_3 Depth=1
	v_add_nc_u64_e32 v[14:15], s[12:13], v[0:1]
	s_mov_b32 s15, 1
	s_wait_xcnt 0x0
	s_mov_b32 s17, 0
	s_mov_b32 s28, s25
.LBB11_6:                               ;   Parent Loop BB11_3 Depth=1
                                        ; =>  This Inner Loop Header: Depth=2
	global_load_b64 v[16:17], v[14:15], off
	v_mad_u32 v18, s17, 48, v26
	v_mad_u32 v19, s15, 48, v26
	s_wait_xcnt 0x0
	v_add_nc_u64_e32 v[14:15], 8, v[14:15]
	s_add_co_i32 s28, s28, -2
	s_add_co_i32 s17, s17, 2
	s_add_co_i32 s15, s15, 2
	s_mov_b32 s14, s25
	s_mov_b32 s29, s27
	s_cmp_lg_u32 s28, 0
	s_wait_loadcnt 0x0
	ds_store_b32 v18, v16
	ds_store_b32 v19, v17
	s_cbranch_scc1 .LBB11_6
; %bb.7:                                ;   in Loop: Header=BB11_3 Depth=1
	s_and_b32 vcc_lo, exec_lo, s29
	s_cbranch_vccnz .LBB11_9
	s_branch .LBB11_11
.LBB11_8:                               ;   in Loop: Header=BB11_3 Depth=1
	s_mov_b32 s14, 0
	s_cbranch_execz .LBB11_11
.LBB11_9:                               ;   in Loop: Header=BB11_3 Depth=1
	s_mov_b32 s15, s3
	v_mad_u32 v16, s14, 48, v26
	s_mul_u64 s[28:29], s[6:7], s[14:15]
	s_delay_alu instid0(SALU_CYCLE_1) | instskip(NEXT) | instid1(SALU_CYCLE_1)
	s_add_nc_u64 s[12:13], s[28:29], s[12:13]
	v_add_nc_u64_e32 v[14:15], s[12:13], v[0:1]
	s_sub_co_i32 s12, s20, s14
.LBB11_10:                              ;   Parent Loop BB11_3 Depth=1
                                        ; =>  This Inner Loop Header: Depth=2
	global_load_b32 v17, v[14:15], off
	s_wait_xcnt 0x0
	v_add_nc_u64_e32 v[14:15], s[6:7], v[14:15]
	s_add_co_i32 s12, s12, -1
	s_delay_alu instid0(SALU_CYCLE_1)
	s_cmp_eq_u32 s12, 0
	s_wait_loadcnt 0x0
	ds_store_b32 v16, v17
	v_add_nc_u32_e32 v16, 48, v16
	s_cbranch_scc0 .LBB11_10
.LBB11_11:                              ;   in Loop: Header=BB11_3 Depth=1
	v_mov_b32_e32 v14, 1.0
	s_and_b32 vcc_lo, exec_lo, s22
	s_cbranch_vccz .LBB11_13
; %bb.12:                               ;   in Loop: Header=BB11_3 Depth=1
	ds_load_b32 v14, v27
	s_wait_dscnt 0x0
	v_div_scale_f32 v15, null, v14, v14, 1.0
	s_delay_alu instid0(VALU_DEP_1) | instskip(SKIP_1) | instid1(TRANS32_DEP_1)
	v_rcp_f32_e32 v16, v15
	v_nop
	v_fma_f32 v17, -v15, v16, 1.0
	s_delay_alu instid0(VALU_DEP_1) | instskip(SKIP_1) | instid1(VALU_DEP_1)
	v_fmac_f32_e32 v16, v17, v16
	v_div_scale_f32 v17, vcc_lo, 1.0, v14, 1.0
	v_mul_f32_e32 v18, v17, v16
	s_delay_alu instid0(VALU_DEP_1) | instskip(NEXT) | instid1(VALU_DEP_1)
	v_fma_f32 v19, -v15, v18, v17
	v_fmac_f32_e32 v18, v19, v16
	s_delay_alu instid0(VALU_DEP_1) | instskip(NEXT) | instid1(VALU_DEP_1)
	v_fma_f32 v15, -v15, v18, v17
	v_div_fmas_f32 v15, v15, v16, v18
	s_delay_alu instid0(VALU_DEP_1)
	v_div_fixup_f32 v14, v15, v14, 1.0
.LBB11_13:                              ;   in Loop: Header=BB11_3 Depth=1
	ds_store_b32 v27, v14
.LBB11_14:                              ;   in Loop: Header=BB11_3 Depth=1
	s_or_b32 exec_lo, exec_lo, s16
	s_delay_alu instid0(VALU_DEP_3) | instskip(NEXT) | instid1(VALU_DEP_1)
	v_mad_nc_u64_u32 v[30:31], s10, s2, v[28:29]
	v_mad_u32 v31, s11, s2, v31
	s_and_saveexec_b32 s12, s24
	s_cbranch_execz .LBB11_17
; %bb.15:                               ;   in Loop: Header=BB11_3 Depth=1
	s_delay_alu instid0(VALU_DEP_1)
	v_mov_b64_e32 v[14:15], v[30:31]
	v_mov_b32_e32 v16, v32
	s_mov_b32 s13, s20
.LBB11_16:                              ;   Parent Loop BB11_3 Depth=1
                                        ; =>  This Inner Loop Header: Depth=2
	global_load_b32 v17, v[14:15], off
	s_wait_xcnt 0x0
	v_add_nc_u64_e32 v[14:15], 4, v[14:15]
	s_add_co_i32 s13, s13, -1
	s_delay_alu instid0(SALU_CYCLE_1)
	s_cmp_lg_u32 s13, 0
	s_wait_loadcnt 0x0
	v_mul_f32_e32 v17, s19, v17
	ds_store_b32 v16, v17
	v_add_nc_u32_e32 v16, 48, v16
	s_cbranch_scc1 .LBB11_16
.LBB11_17:                              ;   in Loop: Header=BB11_3 Depth=1
	s_or_b32 exec_lo, exec_lo, s12
	s_delay_alu instid0(SALU_CYCLE_1)
	s_and_not1_b32 vcc_lo, exec_lo, s23
	s_mov_b32 s12, -1
	s_wait_dscnt 0x0
	; wave barrier
                                        ; implicit-def: $vgpr14_vgpr15_vgpr16_vgpr17_vgpr18_vgpr19_vgpr20_vgpr21_vgpr22_vgpr23_vgpr24_vgpr25
	s_cbranch_vccnz .LBB11_39
; %bb.18:                               ;   in Loop: Header=BB11_3 Depth=1
	v_mov_b64_e32 v[24:25], v[12:13]
	v_mov_b64_e32 v[22:23], v[10:11]
	;; [unrolled: 1-line block ×6, first 2 shown]
	s_wait_xcnt 0x0
	s_mov_b32 s17, 0
	s_mov_b32 s16, 0
.LBB11_19:                              ;   Parent Loop BB11_3 Depth=1
                                        ; =>  This Loop Header: Depth=2
                                        ;       Child Loop BB11_22 Depth 3
                                        ;         Child Loop BB11_23 Depth 4
                                        ;         Child Loop BB11_26 Depth 4
                                        ;           Child Loop BB11_27 Depth 5
                                        ;         Child Loop BB11_32 Depth 4
                                        ;           Child Loop BB11_34 Depth 5
	s_load_b32 s28, s[8:9], s17 offset:0x0 scale_offset
	s_wait_kmcnt 0x0
	s_add_co_i32 s29, s28, -1
	s_delay_alu instid0(SALU_CYCLE_1) | instskip(NEXT) | instid1(SALU_CYCLE_1)
	s_add_co_i32 s12, s29, s16
	s_cmp_ge_i32 s12, s20
	s_cbranch_scc1 .LBB11_36
; %bb.20:                               ;   in Loop: Header=BB11_19 Depth=2
	s_mul_i32 s30, s16, 48
	s_max_i32 s31, s28, 1
	v_add_nc_u32_e32 v33, s30, v32
	s_mul_i32 s33, s28, 48
	s_mul_i32 s34, s16, 52
	s_mul_i32 s35, s28, 52
	s_branch .LBB11_22
.LBB11_21:                              ;   in Loop: Header=BB11_22 Depth=3
	s_add_co_i32 s16, s16, s28
	v_add_nc_u32_e32 v33, s33, v33
	s_add_co_i32 s12, s29, s16
	s_add_co_i32 s30, s30, s33
	;; [unrolled: 1-line block ×3, first 2 shown]
	s_cmp_ge_i32 s12, s20
	s_cbranch_scc1 .LBB11_36
.LBB11_22:                              ;   Parent Loop BB11_3 Depth=1
                                        ;     Parent Loop BB11_19 Depth=2
                                        ; =>    This Loop Header: Depth=3
                                        ;         Child Loop BB11_23 Depth 4
                                        ;         Child Loop BB11_26 Depth 4
                                        ;           Child Loop BB11_27 Depth 5
                                        ;         Child Loop BB11_32 Depth 4
                                        ;           Child Loop BB11_34 Depth 5
	v_mov_b32_e32 v34, v33
	s_mov_b64 s[12:13], 0
.LBB11_23:                              ;   Parent Loop BB11_3 Depth=1
                                        ;     Parent Loop BB11_19 Depth=2
                                        ;       Parent Loop BB11_22 Depth=3
                                        ; =>      This Inner Loop Header: Depth=4
	ds_load_b32 v35, v34
	v_add_nc_u32_e32 v34, 48, v34
	s_mov_b32 m0, s12
	s_add_nc_u64 s[12:13], s[12:13], 1
	s_delay_alu instid0(SALU_CYCLE_1)
	s_cmp_eq_u32 s31, s12
	s_wait_dscnt 0x0
	v_movreld_b32_e32 v14, v35
	s_cbranch_scc0 .LBB11_23
; %bb.24:                               ;   in Loop: Header=BB11_22 Depth=3
	s_cmp_lt_i32 s16, 1
	s_cbranch_scc1 .LBB11_29
; %bb.25:                               ;   in Loop: Header=BB11_22 Depth=3
	s_mov_b32 s14, 0
	s_mov_b32 s15, s30
.LBB11_26:                              ;   Parent Loop BB11_3 Depth=1
                                        ;     Parent Loop BB11_19 Depth=2
                                        ;       Parent Loop BB11_22 Depth=3
                                        ; =>      This Loop Header: Depth=4
                                        ;           Child Loop BB11_27 Depth 5
	v_mad_u32 v34, s14, 48, v32
	s_mov_b64 s[12:13], 0
	s_mov_b32 s36, s15
	ds_load_b32 v34, v34
.LBB11_27:                              ;   Parent Loop BB11_3 Depth=1
                                        ;     Parent Loop BB11_19 Depth=2
                                        ;       Parent Loop BB11_22 Depth=3
                                        ;         Parent Loop BB11_26 Depth=4
                                        ; =>        This Inner Loop Header: Depth=5
	v_mov_b32_e32 v35, s36
	s_mov_b32 m0, s12
	s_add_nc_u64 s[12:13], s[12:13], 1
	v_movrels_b32_e32 v36, v14
	s_add_co_i32 s36, s36, 48
	ds_load_b32 v35, v35
	s_cmp_eq_u32 s31, s12
	s_wait_dscnt 0x0
	v_fma_f32 v35, -v34, v35, v36
	s_delay_alu instid0(VALU_DEP_1)
	v_movreld_b32_e32 v14, v35
	s_cbranch_scc0 .LBB11_27
; %bb.28:                               ;   in Loop: Header=BB11_26 Depth=4
	s_add_co_i32 s14, s14, 1
	s_add_co_i32 s15, s15, 4
	s_cmp_eq_u32 s14, s16
	s_cbranch_scc0 .LBB11_26
.LBB11_29:                              ;   in Loop: Header=BB11_22 Depth=3
	s_mul_i32 s36, s16, 48
	s_mov_b64 s[12:13], 0
	s_mov_b32 s37, s34
	s_branch .LBB11_32
.LBB11_30:                              ;   in Loop: Header=BB11_32 Depth=4
	s_mov_b32 s39, s16
	s_mov_b64 s[14:15], 0
	s_mov_b32 s38, s36
.LBB11_31:                              ;   in Loop: Header=BB11_32 Depth=4
	s_mov_b32 m0, s14
	s_mul_i32 s14, s39, 52
	v_movrels_b32_e32 v35, v14
	v_mov_b32_e32 v34, s14
	s_add_nc_u64 s[12:13], s[12:13], 1
	s_add_co_i32 s37, s37, 48
	s_cmp_eq_u32 s12, s31
	ds_load_b32 v34, v34
	s_wait_dscnt 0x0
	v_dual_mul_f32 v34, v35, v34 :: v_dual_add_nc_u32 v35, s38, v32
	s_delay_alu instid0(VALU_DEP_1)
	v_movreld_b32_e32 v14, v34
	ds_store_b32 v35, v34
	s_cbranch_scc1 .LBB11_21
.LBB11_32:                              ;   Parent Loop BB11_3 Depth=1
                                        ;     Parent Loop BB11_19 Depth=2
                                        ;       Parent Loop BB11_22 Depth=3
                                        ; =>      This Loop Header: Depth=4
                                        ;           Child Loop BB11_34 Depth 5
	s_cmp_eq_u32 s12, 0
	s_cbranch_scc1 .LBB11_30
; %bb.33:                               ;   in Loop: Header=BB11_32 Depth=4
	s_add_co_i32 s39, s12, s16
	s_mov_b64 s[14:15], 0
	s_mul_i32 s38, s39, 48
	s_mov_b32 s40, s37
.LBB11_34:                              ;   Parent Loop BB11_3 Depth=1
                                        ;     Parent Loop BB11_19 Depth=2
                                        ;       Parent Loop BB11_22 Depth=3
                                        ;         Parent Loop BB11_32 Depth=4
                                        ; =>        This Inner Loop Header: Depth=5
	s_delay_alu instid0(SALU_CYCLE_1)
	v_mov_b32_e32 v34, s40
	s_mov_b32 m0, s14
	s_add_nc_u64 s[14:15], s[14:15], 1
	v_movrels_b32_e32 v35, v14
	s_mov_b32 m0, s12
	ds_load_b32 v34, v34
	v_movrels_b32_e32 v36, v14
	s_add_co_i32 s40, s40, 4
	s_cmp_eq_u32 s12, s14
	s_wait_dscnt 0x0
	s_delay_alu instid0(VALU_DEP_1) | instskip(NEXT) | instid1(VALU_DEP_1)
	v_fma_f32 v34, -v35, v34, v36
	v_movreld_b32_e32 v14, v34
	s_cbranch_scc0 .LBB11_34
; %bb.35:                               ;   in Loop: Header=BB11_32 Depth=4
	s_mov_b64 s[14:15], s[12:13]
	s_branch .LBB11_31
.LBB11_36:                              ;   in Loop: Header=BB11_19 Depth=2
	s_cmp_lt_i32 s16, s20
	s_cselect_b32 s13, -1, 0
	s_add_co_i32 s12, s17, 1
	s_cmp_lt_u32 s17, 2
	s_cselect_b32 s14, -1, 0
	s_delay_alu instid0(SALU_CYCLE_1) | instskip(NEXT) | instid1(SALU_CYCLE_1)
	s_and_b32 s13, s13, s14
	s_and_b32 vcc_lo, exec_lo, s13
	s_cbranch_vccz .LBB11_38
; %bb.37:                               ;   in Loop: Header=BB11_19 Depth=2
	s_wait_xcnt 0x0
	s_mov_b32 s17, s12
	s_branch .LBB11_19
.LBB11_38:                              ;   in Loop: Header=BB11_3 Depth=1
	s_mov_b32 s12, 0
.LBB11_39:                              ;   in Loop: Header=BB11_3 Depth=1
	s_delay_alu instid0(SALU_CYCLE_1)
	s_and_b32 vcc_lo, exec_lo, s12
	s_cbranch_vccz .LBB11_59
; %bb.40:                               ;   in Loop: Header=BB11_3 Depth=1
	s_wait_xcnt 0x0
	s_mov_b32 s17, 0
	s_mov_b32 s16, s21
	s_load_b32 s28, s[8:9], s17 offset:0x0 scale_offset
	s_wait_kmcnt 0x0
	s_add_co_i32 s29, s28, -1
	s_delay_alu instid0(SALU_CYCLE_1)
	s_cmp_lt_i32 s16, s29
	s_cbranch_scc1 .LBB11_56
.LBB11_41:                              ;   in Loop: Header=BB11_3 Depth=1
	v_mad_u32 v14, s16, 48, v32
	s_lshl_b32 s12, s16, 2
	s_lshl_b32 s13, s28, 2
	s_max_i32 s30, s28, 1
	s_mul_i32 s31, s28, 0xffffffd0
	s_add_co_i32 s33, s1, s12
	s_sub_co_i32 s34, 0, s13
	s_mul_i32 s35, s16, 52
	s_mul_i32 s36, s28, 0xffffffcc
	s_branch .LBB11_43
.LBB11_42:                              ;   in Loop: Header=BB11_43 Depth=2
	v_add_nc_u32_e32 v14, s31, v14
	s_sub_co_i32 s16, s16, s28
	s_add_co_i32 s33, s33, s34
	s_add_co_i32 s35, s35, s36
	s_cmp_lt_i32 s16, s29
	s_cbranch_scc1 .LBB11_56
.LBB11_43:                              ;   Parent Loop BB11_3 Depth=1
                                        ; =>  This Loop Header: Depth=2
                                        ;       Child Loop BB11_44 Depth 3
                                        ;       Child Loop BB11_46 Depth 3
                                        ;         Child Loop BB11_47 Depth 4
                                        ;       Child Loop BB11_52 Depth 3
                                        ;         Child Loop BB11_54 Depth 4
	s_delay_alu instid0(VALU_DEP_1)
	v_mov_b32_e32 v15, v14
	s_mov_b64 s[12:13], 0
.LBB11_44:                              ;   Parent Loop BB11_3 Depth=1
                                        ;     Parent Loop BB11_43 Depth=2
                                        ; =>    This Inner Loop Header: Depth=3
	ds_load_b32 v16, v15
	v_subrev_nc_u32_e32 v15, 48, v15
	s_mov_b32 m0, s12
	s_add_nc_u64 s[12:13], s[12:13], 1
	s_delay_alu instid0(SALU_CYCLE_1)
	s_cmp_eq_u32 s30, s12
	s_wait_dscnt 0x0
	v_movreld_b32_e32 v2, v16
	s_cbranch_scc0 .LBB11_44
; %bb.45:                               ;   in Loop: Header=BB11_43 Depth=2
	s_cmp_le_i32 s21, s16
	s_mov_b32 s14, s33
	s_mov_b32 s15, s21
	s_cbranch_scc1 .LBB11_49
.LBB11_46:                              ;   Parent Loop BB11_3 Depth=1
                                        ;     Parent Loop BB11_43 Depth=2
                                        ; =>    This Loop Header: Depth=3
                                        ;         Child Loop BB11_47 Depth 4
	v_mad_u32 v15, s15, 48, v32
	s_mov_b64 s[12:13], 0
	s_mov_b32 s37, s14
	ds_load_b32 v15, v15
.LBB11_47:                              ;   Parent Loop BB11_3 Depth=1
                                        ;     Parent Loop BB11_43 Depth=2
                                        ;       Parent Loop BB11_46 Depth=3
                                        ; =>      This Inner Loop Header: Depth=4
	v_mov_b32_e32 v16, s37
	s_mov_b32 m0, s12
	s_add_nc_u64 s[12:13], s[12:13], 1
	v_movrels_b32_e32 v17, v2
	s_add_co_i32 s37, s37, -4
	ds_load_b32 v16, v16
	s_cmp_eq_u32 s30, s12
	s_wait_dscnt 0x0
	v_fma_f32 v16, -v15, v16, v17
	s_delay_alu instid0(VALU_DEP_1)
	v_movreld_b32_e32 v2, v16
	s_cbranch_scc0 .LBB11_47
; %bb.48:                               ;   in Loop: Header=BB11_46 Depth=3
	s_add_co_i32 s15, s15, -1
	s_sub_co_i32 s14, s14, 48
	s_cmp_le_i32 s15, s16
	s_cbranch_scc0 .LBB11_46
.LBB11_49:                              ;   in Loop: Header=BB11_43 Depth=2
	s_mov_b64 s[12:13], 0
	s_mov_b32 s37, s35
	s_branch .LBB11_52
.LBB11_50:                              ;   in Loop: Header=BB11_52 Depth=3
	s_mov_b32 s38, s16
	s_mov_b64 s[14:15], 0
.LBB11_51:                              ;   in Loop: Header=BB11_52 Depth=3
	s_delay_alu instid0(SALU_CYCLE_1)
	s_mov_b32 m0, s14
	s_mul_i32 s14, s38, 52
	v_mad_u32 v17, s38, 48, v32
	v_mov_b32_e32 v15, s14
	v_movrels_b32_e32 v16, v2
	s_add_nc_u64 s[12:13], s[12:13], 1
	s_add_co_i32 s37, s37, -4
	s_cmp_eq_u32 s12, s30
	ds_load_b32 v15, v15
	s_wait_dscnt 0x0
	v_mul_f32_e32 v15, v16, v15
	s_delay_alu instid0(VALU_DEP_1)
	v_movreld_b32_e32 v2, v15
	ds_store_b32 v17, v15
	s_cbranch_scc1 .LBB11_42
.LBB11_52:                              ;   Parent Loop BB11_3 Depth=1
                                        ;     Parent Loop BB11_43 Depth=2
                                        ; =>    This Loop Header: Depth=3
                                        ;         Child Loop BB11_54 Depth 4
	s_cmp_eq_u32 s12, 0
	s_cbranch_scc1 .LBB11_50
; %bb.53:                               ;   in Loop: Header=BB11_52 Depth=3
	s_sub_co_i32 s38, s16, s12
	s_mov_b64 s[14:15], 0
	s_mov_b32 s39, s37
.LBB11_54:                              ;   Parent Loop BB11_3 Depth=1
                                        ;     Parent Loop BB11_43 Depth=2
                                        ;       Parent Loop BB11_52 Depth=3
                                        ; =>      This Inner Loop Header: Depth=4
	s_delay_alu instid0(SALU_CYCLE_1)
	v_mov_b32_e32 v15, s39
	s_mov_b32 m0, s14
	s_add_nc_u64 s[14:15], s[14:15], 1
	v_movrels_b32_e32 v16, v2
	s_mov_b32 m0, s12
	ds_load_b32 v15, v15
	v_movrels_b32_e32 v17, v2
	s_sub_co_i32 s39, s39, 48
	s_cmp_eq_u32 s12, s14
	s_wait_dscnt 0x0
	s_delay_alu instid0(VALU_DEP_1) | instskip(NEXT) | instid1(VALU_DEP_1)
	v_fma_f32 v15, -v16, v15, v17
	v_movreld_b32_e32 v2, v15
	s_cbranch_scc0 .LBB11_54
; %bb.55:                               ;   in Loop: Header=BB11_52 Depth=3
	s_mov_b64 s[14:15], s[12:13]
	s_branch .LBB11_51
.LBB11_56:                              ;   Parent Loop BB11_3 Depth=1
                                        ; =>  This Inner Loop Header: Depth=2
	s_cmp_gt_i32 s16, -1
	s_cselect_b32 s13, -1, 0
	s_add_co_i32 s12, s17, 1
	s_cmp_lt_u32 s17, 2
	s_cselect_b32 s14, -1, 0
	s_delay_alu instid0(SALU_CYCLE_1) | instskip(NEXT) | instid1(SALU_CYCLE_1)
	s_and_b32 s13, s13, s14
	s_and_not1_b32 vcc_lo, exec_lo, s13
	s_cbranch_vccnz .LBB11_58
; %bb.57:                               ;   in Loop: Header=BB11_56 Depth=2
	s_wait_xcnt 0x0
	s_mov_b32 s17, s12
	s_load_b32 s28, s[8:9], s17 offset:0x0 scale_offset
	s_wait_kmcnt 0x0
	s_add_co_i32 s29, s28, -1
	s_delay_alu instid0(SALU_CYCLE_1)
	s_cmp_lt_i32 s16, s29
	s_cbranch_scc0 .LBB11_41
	s_branch .LBB11_56
.LBB11_58:                              ;   in Loop: Header=BB11_3 Depth=1
	v_mov_b64_e32 v[24:25], v[12:13]
	v_mov_b64_e32 v[22:23], v[10:11]
	;; [unrolled: 1-line block ×6, first 2 shown]
.LBB11_59:                              ;   in Loop: Header=BB11_3 Depth=1
	s_wait_dscnt 0x0
	; wave barrier
	s_and_saveexec_b32 s12, s24
	s_cbranch_execz .LBB11_2
; %bb.60:                               ;   in Loop: Header=BB11_3 Depth=1
	v_mov_b32_e32 v2, v32
	s_mov_b32 s13, s20
.LBB11_61:                              ;   Parent Loop BB11_3 Depth=1
                                        ; =>  This Inner Loop Header: Depth=2
	ds_load_b32 v3, v2
	v_add_nc_u32_e32 v2, 48, v2
	s_add_co_i32 s13, s13, -1
	s_delay_alu instid0(SALU_CYCLE_1)
	s_cmp_lg_u32 s13, 0
	s_wait_dscnt 0x0
	global_store_b32 v[30:31], v3, off
	s_wait_xcnt 0x0
	v_add_nc_u64_e32 v[30:31], 4, v[30:31]
	s_cbranch_scc1 .LBB11_61
	s_branch .LBB11_2
.LBB11_62:
	s_endpgm
	.section	.rodata,"a",@progbits
	.p2align	6, 0x0
	.amdhsa_kernel _ZL38rocblas_trsm_small_left_device_sharedBILi12ELi12ELb0EffPKfPfEv13rocblas_fill_18rocblas_operation_17rocblas_diagonal_iiT3_T4_lilT5_lili
		.amdhsa_group_segment_fixed_size 1152
		.amdhsa_private_segment_fixed_size 0
		.amdhsa_kernarg_size 352
		.amdhsa_user_sgpr_count 2
		.amdhsa_user_sgpr_dispatch_ptr 0
		.amdhsa_user_sgpr_queue_ptr 0
		.amdhsa_user_sgpr_kernarg_segment_ptr 1
		.amdhsa_user_sgpr_dispatch_id 0
		.amdhsa_user_sgpr_kernarg_preload_length 0
		.amdhsa_user_sgpr_kernarg_preload_offset 0
		.amdhsa_user_sgpr_private_segment_size 0
		.amdhsa_wavefront_size32 1
		.amdhsa_uses_dynamic_stack 0
		.amdhsa_enable_private_segment 0
		.amdhsa_system_sgpr_workgroup_id_x 1
		.amdhsa_system_sgpr_workgroup_id_y 0
		.amdhsa_system_sgpr_workgroup_id_z 1
		.amdhsa_system_sgpr_workgroup_info 0
		.amdhsa_system_vgpr_workitem_id 0
		.amdhsa_next_free_vgpr 37
		.amdhsa_next_free_sgpr 41
		.amdhsa_named_barrier_count 0
		.amdhsa_reserve_vcc 1
		.amdhsa_float_round_mode_32 0
		.amdhsa_float_round_mode_16_64 0
		.amdhsa_float_denorm_mode_32 3
		.amdhsa_float_denorm_mode_16_64 3
		.amdhsa_fp16_overflow 0
		.amdhsa_memory_ordered 1
		.amdhsa_forward_progress 1
		.amdhsa_inst_pref_size 18
		.amdhsa_round_robin_scheduling 0
		.amdhsa_exception_fp_ieee_invalid_op 0
		.amdhsa_exception_fp_denorm_src 0
		.amdhsa_exception_fp_ieee_div_zero 0
		.amdhsa_exception_fp_ieee_overflow 0
		.amdhsa_exception_fp_ieee_underflow 0
		.amdhsa_exception_fp_ieee_inexact 0
		.amdhsa_exception_int_div_zero 0
	.end_amdhsa_kernel
	.section	.text._ZL38rocblas_trsm_small_left_device_sharedBILi12ELi12ELb0EffPKfPfEv13rocblas_fill_18rocblas_operation_17rocblas_diagonal_iiT3_T4_lilT5_lili,"axG",@progbits,_ZL38rocblas_trsm_small_left_device_sharedBILi12ELi12ELb0EffPKfPfEv13rocblas_fill_18rocblas_operation_17rocblas_diagonal_iiT3_T4_lilT5_lili,comdat
.Lfunc_end11:
	.size	_ZL38rocblas_trsm_small_left_device_sharedBILi12ELi12ELb0EffPKfPfEv13rocblas_fill_18rocblas_operation_17rocblas_diagonal_iiT3_T4_lilT5_lili, .Lfunc_end11-_ZL38rocblas_trsm_small_left_device_sharedBILi12ELi12ELb0EffPKfPfEv13rocblas_fill_18rocblas_operation_17rocblas_diagonal_iiT3_T4_lilT5_lili
                                        ; -- End function
	.set _ZL38rocblas_trsm_small_left_device_sharedBILi12ELi12ELb0EffPKfPfEv13rocblas_fill_18rocblas_operation_17rocblas_diagonal_iiT3_T4_lilT5_lili.num_vgpr, 37
	.set _ZL38rocblas_trsm_small_left_device_sharedBILi12ELi12ELb0EffPKfPfEv13rocblas_fill_18rocblas_operation_17rocblas_diagonal_iiT3_T4_lilT5_lili.num_agpr, 0
	.set _ZL38rocblas_trsm_small_left_device_sharedBILi12ELi12ELb0EffPKfPfEv13rocblas_fill_18rocblas_operation_17rocblas_diagonal_iiT3_T4_lilT5_lili.numbered_sgpr, 41
	.set _ZL38rocblas_trsm_small_left_device_sharedBILi12ELi12ELb0EffPKfPfEv13rocblas_fill_18rocblas_operation_17rocblas_diagonal_iiT3_T4_lilT5_lili.num_named_barrier, 0
	.set _ZL38rocblas_trsm_small_left_device_sharedBILi12ELi12ELb0EffPKfPfEv13rocblas_fill_18rocblas_operation_17rocblas_diagonal_iiT3_T4_lilT5_lili.private_seg_size, 0
	.set _ZL38rocblas_trsm_small_left_device_sharedBILi12ELi12ELb0EffPKfPfEv13rocblas_fill_18rocblas_operation_17rocblas_diagonal_iiT3_T4_lilT5_lili.uses_vcc, 1
	.set _ZL38rocblas_trsm_small_left_device_sharedBILi12ELi12ELb0EffPKfPfEv13rocblas_fill_18rocblas_operation_17rocblas_diagonal_iiT3_T4_lilT5_lili.uses_flat_scratch, 0
	.set _ZL38rocblas_trsm_small_left_device_sharedBILi12ELi12ELb0EffPKfPfEv13rocblas_fill_18rocblas_operation_17rocblas_diagonal_iiT3_T4_lilT5_lili.has_dyn_sized_stack, 0
	.set _ZL38rocblas_trsm_small_left_device_sharedBILi12ELi12ELb0EffPKfPfEv13rocblas_fill_18rocblas_operation_17rocblas_diagonal_iiT3_T4_lilT5_lili.has_recursion, 0
	.set _ZL38rocblas_trsm_small_left_device_sharedBILi12ELi12ELb0EffPKfPfEv13rocblas_fill_18rocblas_operation_17rocblas_diagonal_iiT3_T4_lilT5_lili.has_indirect_call, 0
	.section	.AMDGPU.csdata,"",@progbits
; Kernel info:
; codeLenInByte = 2220
; TotalNumSgprs: 43
; NumVgprs: 37
; ScratchSize: 0
; MemoryBound: 0
; FloatMode: 240
; IeeeMode: 1
; LDSByteSize: 1152 bytes/workgroup (compile time only)
; SGPRBlocks: 0
; VGPRBlocks: 2
; NumSGPRsForWavesPerEU: 43
; NumVGPRsForWavesPerEU: 37
; NamedBarCnt: 0
; Occupancy: 16
; WaveLimiterHint : 0
; COMPUTE_PGM_RSRC2:SCRATCH_EN: 0
; COMPUTE_PGM_RSRC2:USER_SGPR: 2
; COMPUTE_PGM_RSRC2:TRAP_HANDLER: 0
; COMPUTE_PGM_RSRC2:TGID_X_EN: 1
; COMPUTE_PGM_RSRC2:TGID_Y_EN: 0
; COMPUTE_PGM_RSRC2:TGID_Z_EN: 1
; COMPUTE_PGM_RSRC2:TIDIG_COMP_CNT: 0
	.section	.text._ZL30rocblas_trsm_small_left_deviceILi12ELi12ELb0EffPKfPfEv13rocblas_fill_18rocblas_operation_17rocblas_diagonal_iiT3_T4_lilT5_lili,"axG",@progbits,_ZL30rocblas_trsm_small_left_deviceILi12ELi12ELb0EffPKfPfEv13rocblas_fill_18rocblas_operation_17rocblas_diagonal_iiT3_T4_lilT5_lili,comdat
	.globl	_ZL30rocblas_trsm_small_left_deviceILi12ELi12ELb0EffPKfPfEv13rocblas_fill_18rocblas_operation_17rocblas_diagonal_iiT3_T4_lilT5_lili ; -- Begin function _ZL30rocblas_trsm_small_left_deviceILi12ELi12ELb0EffPKfPfEv13rocblas_fill_18rocblas_operation_17rocblas_diagonal_iiT3_T4_lilT5_lili
	.p2align	8
	.type	_ZL30rocblas_trsm_small_left_deviceILi12ELi12ELb0EffPKfPfEv13rocblas_fill_18rocblas_operation_17rocblas_diagonal_iiT3_T4_lilT5_lili,@function
_ZL30rocblas_trsm_small_left_deviceILi12ELi12ELb0EffPKfPfEv13rocblas_fill_18rocblas_operation_17rocblas_diagonal_iiT3_T4_lilT5_lili: ; @_ZL30rocblas_trsm_small_left_deviceILi12ELi12ELb0EffPKfPfEv13rocblas_fill_18rocblas_operation_17rocblas_diagonal_iiT3_T4_lilT5_lili
; %bb.0:
	s_load_b32 s30, s[0:1], 0x58
	s_bfe_u32 s2, ttmp6, 0x40014
	s_lshr_b32 s4, ttmp7, 16
	s_add_co_i32 s2, s2, 1
	s_bfe_u32 s5, ttmp6, 0x40008
	s_mul_i32 s2, s4, s2
	s_getreg_b32 s3, hwreg(HW_REG_IB_STS2, 6, 4)
	s_add_co_i32 s5, s5, s2
	s_cmp_eq_u32 s3, 0
	s_mov_b32 s19, 0
	s_cselect_b32 s2, s4, s5
	s_wait_kmcnt 0x0
	s_cmp_ge_u32 s2, s30
	s_cbranch_scc1 .LBB12_58
; %bb.1:
	s_clause 0x3
	s_load_b32 s22, s[0:1], 0x28
	s_load_b96 s[16:18], s[0:1], 0x40
	s_load_b128 s[4:7], s[0:1], 0x4
	s_load_b32 s8, s[0:1], 0x60
	v_dual_mov_b32 v27, 0 :: v_dual_lshlrev_b32 v26, 2, v0
	s_load_b32 s31, s[0:1], 0x14
	v_mul_u32_u24_e32 v16, 48, v0
	s_mov_b32 s41, 0
	s_delay_alu instid0(VALU_DEP_2)
	v_dual_mov_b32 v2, v27 :: v_dual_mov_b32 v3, v27
	v_dual_mov_b32 v5, v27 :: v_dual_mov_b32 v6, v27
	;; [unrolled: 1-line block ×4, first 2 shown]
	s_get_pc_i64 s[20:21]
	s_add_nc_u64 s[20:21], s[20:21], __const._ZL30rocblas_trsm_small_left_deviceILi12ELi12ELb0EffPKfPfEv13rocblas_fill_18rocblas_operation_17rocblas_diagonal_iiT3_T4_lilT5_lili.step_sizes@rel64+4
	v_dual_mov_b32 v4, v27 :: v_dual_mov_b32 v10, v27
	s_wait_kmcnt 0x0
	s_ashr_i32 s23, s22, 31
	s_mov_b32 s24, s18
	s_cmp_eq_u64 s[22:23], 1
	s_cselect_b32 s28, -1, 0
	s_min_i32 s33, s6, 12
	s_bfe_u32 s6, ttmp6, 0x4000c
	s_add_co_i32 s29, s8, -1
	s_add_co_i32 s6, s6, 1
	s_and_b32 s8, ttmp6, 15
	s_mul_i32 s6, ttmp9, s6
	s_ashr_i32 s25, s18, 31
	s_lshl_b64 s[26:27], s[16:17], 2
	s_add_co_i32 s34, s33, -1
	s_add_co_i32 s8, s8, s6
	s_cmp_eq_u32 s3, 0
	s_load_b64 s[16:17], s[0:1], 0x50
	s_cselect_b32 s3, ttmp9, s8
	s_clause 0x1
	s_load_b128 s[8:11], s[0:1], 0x18
	s_load_b128 s[12:15], s[0:1], 0x30
	v_mad_u32 v8, s3, 12, v0
	s_wait_xcnt 0x0
	s_mul_i32 s0, s3, -12
	s_delay_alu instid0(SALU_CYCLE_1)
	s_add_co_i32 s0, s7, s0
	s_cmp_ge_u32 s3, s29
	s_mul_i32 s3, s33, 48
	s_cselect_b32 s1, s0, 12
	s_cmp_lg_u32 s5, 0x84
	v_cmp_gt_i32_e64 s0, s33, v0
	s_cselect_b32 s35, -1, 0
	s_cmp_lg_u32 s4, 0x6f
	v_ashrrev_i32_e32 v9, 31, v8
	s_cselect_b32 s36, -1, 0
	s_cmp_gt_u32 s33, 1
	v_cmp_gt_i32_e64 s1, s1, v0
	s_cselect_b32 s4, -1, 0
	v_mul_u64_e32 v[14:15], s[24:25], v[8:9]
	s_and_b32 s37, s33, -2
	s_and_b32 s38, s4, s28
	s_cmp_lg_u32 s33, s37
	s_wait_kmcnt 0x0
	s_add_nc_u64 s[14:15], s[14:15], s[26:27]
	s_cselect_b32 s39, -1, 0
	s_lshl_b64 s[6:7], s[10:11], 2
	v_mov_b32_e32 v8, v27
	s_add_nc_u64 s[8:9], s[8:9], s[6:7]
	v_mov_b32_e32 v9, v27
	v_add_nc_u64_e32 v[0:1], s[8:9], v[26:27]
	v_add_nc_u32_e32 v27, v26, v16
	s_lshl_b64 s[4:5], s[12:13], 2
	s_lshl_b64 s[6:7], s[22:23], 2
	;; [unrolled: 1-line block ×3, first 2 shown]
	s_sub_co_i32 s40, s3, 48
	v_lshl_add_u64 v[28:29], v[14:15], 2, s[14:15]
	s_branch .LBB12_5
.LBB12_2:                               ;   in Loop: Header=BB12_5 Depth=1
	s_wait_xcnt 0x0
	v_mov_b64_e32 v[24:25], v[12:13]
	v_mov_b64_e32 v[22:23], v[10:11]
	;; [unrolled: 1-line block ×6, first 2 shown]
.LBB12_3:                               ;   in Loop: Header=BB12_5 Depth=1
	s_add_co_i32 s2, s2, 0x10000
	s_delay_alu instid0(SALU_CYCLE_1) | instskip(SKIP_1) | instid1(SALU_CYCLE_1)
	s_cmp_ge_u32 s2, s30
	s_cselect_b32 s3, -1, 0
	s_or_not1_b32 s10, s3, exec_lo
.LBB12_4:                               ;   in Loop: Header=BB12_5 Depth=1
	s_wait_xcnt 0x0
	s_or_b32 exec_lo, exec_lo, s42
	v_mov_b64_e32 v[2:3], v[14:15]
	v_mov_b64_e32 v[4:5], v[16:17]
	;; [unrolled: 1-line block ×6, first 2 shown]
	s_and_b32 s3, exec_lo, s10
	s_delay_alu instid0(SALU_CYCLE_1) | instskip(NEXT) | instid1(SALU_CYCLE_1)
	s_or_b32 s41, s3, s41
	s_and_not1_b32 exec_lo, exec_lo, s41
	s_cbranch_execz .LBB12_58
.LBB12_5:                               ; =>This Loop Header: Depth=1
                                        ;     Child Loop BB12_8 Depth 2
                                        ;     Child Loop BB12_12 Depth 2
                                        ;     Child Loop BB12_19 Depth 2
                                        ;       Child Loop BB12_22 Depth 3
                                        ;         Child Loop BB12_23 Depth 4
                                        ;         Child Loop BB12_26 Depth 4
                                        ;           Child Loop BB12_27 Depth 5
                                        ;         Child Loop BB12_32 Depth 4
                                        ;           Child Loop BB12_34 Depth 5
                                        ;     Child Loop BB12_43 Depth 2
                                        ;       Child Loop BB12_44 Depth 3
                                        ;       Child Loop BB12_46 Depth 3
                                        ;         Child Loop BB12_47 Depth 4
                                        ;       Child Loop BB12_52 Depth 3
                                        ;         Child Loop BB12_54 Depth 4
                                        ;     Child Loop BB12_56 Depth 2
	s_mov_b32 s3, s19
	s_and_saveexec_b32 s12, s0
	s_cbranch_execz .LBB12_16
; %bb.6:                                ;   in Loop: Header=BB12_5 Depth=1
	s_and_not1_b32 vcc_lo, exec_lo, s38
	s_mul_u64 s[10:11], s[4:5], s[2:3]
	s_cbranch_vccnz .LBB12_10
; %bb.7:                                ;   in Loop: Header=BB12_5 Depth=1
	v_add_nc_u64_e32 v[14:15], s[10:11], v[0:1]
	s_mov_b32 s13, 1
	s_mov_b32 s14, 0
	;; [unrolled: 1-line block ×3, first 2 shown]
.LBB12_8:                               ;   Parent Loop BB12_5 Depth=1
                                        ; =>  This Inner Loop Header: Depth=2
	global_load_b64 v[16:17], v[14:15], off
	v_mad_u32 v18, s14, 48, v26
	v_mad_u32 v19, s13, 48, v26
	s_wait_xcnt 0x0
	v_add_nc_u64_e32 v[14:15], 8, v[14:15]
	s_add_co_i32 s15, s15, -2
	s_add_co_i32 s14, s14, 2
	s_add_co_i32 s13, s13, 2
	s_mov_b32 s18, s37
	s_mov_b32 s22, s39
	s_cmp_lg_u32 s15, 0
	s_wait_loadcnt 0x0
	ds_store_b32 v18, v16
	ds_store_b32 v19, v17
	s_cbranch_scc1 .LBB12_8
; %bb.9:                                ;   in Loop: Header=BB12_5 Depth=1
	s_and_b32 vcc_lo, exec_lo, s22
	s_cbranch_vccnz .LBB12_11
	s_branch .LBB12_13
.LBB12_10:                              ;   in Loop: Header=BB12_5 Depth=1
	s_mov_b32 s18, 0
	s_cbranch_execz .LBB12_13
.LBB12_11:                              ;   in Loop: Header=BB12_5 Depth=1
	s_mul_u64 s[14:15], s[6:7], s[18:19]
	v_mad_u32 v16, s18, 48, v26
	s_add_nc_u64 s[10:11], s[14:15], s[10:11]
	s_delay_alu instid0(SALU_CYCLE_1)
	v_add_nc_u64_e32 v[14:15], s[10:11], v[0:1]
	s_sub_co_i32 s10, s33, s18
.LBB12_12:                              ;   Parent Loop BB12_5 Depth=1
                                        ; =>  This Inner Loop Header: Depth=2
	global_load_b32 v17, v[14:15], off
	s_wait_xcnt 0x0
	v_add_nc_u64_e32 v[14:15], s[6:7], v[14:15]
	s_add_co_i32 s10, s10, -1
	s_delay_alu instid0(SALU_CYCLE_1)
	s_cmp_eq_u32 s10, 0
	s_wait_loadcnt 0x0
	ds_store_b32 v16, v17
	v_add_nc_u32_e32 v16, 48, v16
	s_cbranch_scc0 .LBB12_12
.LBB12_13:                              ;   in Loop: Header=BB12_5 Depth=1
	v_mov_b32_e32 v14, 1.0
	s_and_b32 vcc_lo, exec_lo, s35
	s_cbranch_vccz .LBB12_15
; %bb.14:                               ;   in Loop: Header=BB12_5 Depth=1
	ds_load_b32 v14, v27
	s_wait_dscnt 0x0
	v_div_scale_f32 v15, null, v14, v14, 1.0
	s_delay_alu instid0(VALU_DEP_1) | instskip(SKIP_1) | instid1(TRANS32_DEP_1)
	v_rcp_f32_e32 v16, v15
	v_nop
	v_fma_f32 v17, -v15, v16, 1.0
	s_delay_alu instid0(VALU_DEP_1) | instskip(SKIP_1) | instid1(VALU_DEP_1)
	v_fmac_f32_e32 v16, v17, v16
	v_div_scale_f32 v17, vcc_lo, 1.0, v14, 1.0
	v_mul_f32_e32 v18, v17, v16
	s_delay_alu instid0(VALU_DEP_1) | instskip(NEXT) | instid1(VALU_DEP_1)
	v_fma_f32 v19, -v15, v18, v17
	v_fmac_f32_e32 v18, v19, v16
	s_delay_alu instid0(VALU_DEP_1) | instskip(NEXT) | instid1(VALU_DEP_1)
	v_fma_f32 v15, -v15, v18, v17
	v_div_fmas_f32 v15, v15, v16, v18
	s_delay_alu instid0(VALU_DEP_1)
	v_div_fixup_f32 v14, v15, v14, 1.0
.LBB12_15:                              ;   in Loop: Header=BB12_5 Depth=1
	ds_store_b32 v27, v14
.LBB12_16:                              ;   in Loop: Header=BB12_5 Depth=1
	s_or_b32 exec_lo, exec_lo, s12
	s_mov_b32 s10, -1
	s_wait_dscnt 0x0
	; wave barrier
                                        ; implicit-def: $vgpr14_vgpr15_vgpr16_vgpr17_vgpr18_vgpr19_vgpr20_vgpr21_vgpr22_vgpr23_vgpr24_vgpr25
	s_and_saveexec_b32 s42, s1
	s_cbranch_execz .LBB12_4
; %bb.17:                               ;   in Loop: Header=BB12_5 Depth=1
	s_mul_u64 s[10:11], s[16:17], s[2:3]
	s_and_not1_b32 vcc_lo, exec_lo, s36
	v_lshl_add_u64 v[30:31], s[10:11], 2, v[28:29]
	s_mul_u64 s[10:11], s[8:9], s[2:3]
	s_mov_b32 s3, -1
                                        ; implicit-def: $vgpr14_vgpr15_vgpr16_vgpr17_vgpr18_vgpr19_vgpr20_vgpr21_vgpr22_vgpr23_vgpr24_vgpr25
	s_cbranch_vccnz .LBB12_39
; %bb.18:                               ;   in Loop: Header=BB12_5 Depth=1
	v_mov_b64_e32 v[24:25], v[12:13]
	v_add_nc_u64_e32 v[32:33], s[10:11], v[28:29]
	v_mov_b64_e32 v[22:23], v[10:11]
	v_mov_b64_e32 v[20:21], v[8:9]
	;; [unrolled: 1-line block ×5, first 2 shown]
	s_mov_b32 s3, 0
	s_mov_b32 s12, 0
.LBB12_19:                              ;   Parent Loop BB12_5 Depth=1
                                        ; =>  This Loop Header: Depth=2
                                        ;       Child Loop BB12_22 Depth 3
                                        ;         Child Loop BB12_23 Depth 4
                                        ;         Child Loop BB12_26 Depth 4
                                        ;           Child Loop BB12_27 Depth 5
                                        ;         Child Loop BB12_32 Depth 4
                                        ;           Child Loop BB12_34 Depth 5
	s_load_b32 s14, s[20:21], s3 offset:0x0 scale_offset
	s_wait_kmcnt 0x0
	s_add_co_i32 s43, s14, -1
	s_delay_alu instid0(SALU_CYCLE_1) | instskip(NEXT) | instid1(SALU_CYCLE_1)
	s_add_co_i32 s13, s43, s12
	s_cmp_ge_i32 s13, s33
	s_cbranch_scc1 .LBB12_36
; %bb.20:                               ;   in Loop: Header=BB12_19 Depth=2
	s_ashr_i32 s13, s12, 31
	s_ashr_i32 s15, s14, 31
	v_lshl_add_u64 v[34:35], s[12:13], 2, v[32:33]
	s_max_i32 s44, s14, 1
	s_lshl_b64 s[22:23], s[14:15], 2
	s_mul_i32 s13, s12, 48
	s_mul_i32 s15, s14, 48
	;; [unrolled: 1-line block ×4, first 2 shown]
	s_branch .LBB12_22
.LBB12_21:                              ;   in Loop: Header=BB12_22 Depth=3
	v_add_nc_u64_e32 v[34:35], s[22:23], v[34:35]
	s_add_co_i32 s12, s12, s14
	s_add_co_i32 s13, s13, s15
	;; [unrolled: 1-line block ×4, first 2 shown]
	s_cmp_ge_i32 s18, s33
	s_cbranch_scc1 .LBB12_36
.LBB12_22:                              ;   Parent Loop BB12_5 Depth=1
                                        ;     Parent Loop BB12_19 Depth=2
                                        ; =>    This Loop Header: Depth=3
                                        ;         Child Loop BB12_23 Depth 4
                                        ;         Child Loop BB12_26 Depth 4
                                        ;           Child Loop BB12_27 Depth 5
                                        ;         Child Loop BB12_32 Depth 4
                                        ;           Child Loop BB12_34 Depth 5
	s_wait_xcnt 0x0
	v_mov_b64_e32 v[36:37], v[34:35]
	s_mov_b64 s[24:25], 0
.LBB12_23:                              ;   Parent Loop BB12_5 Depth=1
                                        ;     Parent Loop BB12_19 Depth=2
                                        ;       Parent Loop BB12_22 Depth=3
                                        ; =>      This Inner Loop Header: Depth=4
	global_load_b32 v38, v[36:37], off
	s_wait_xcnt 0x0
	v_add_nc_u64_e32 v[36:37], 4, v[36:37]
	s_mov_b32 m0, s24
	s_add_nc_u64 s[24:25], s[24:25], 1
	s_delay_alu instid0(SALU_CYCLE_1) | instskip(SKIP_2) | instid1(VALU_DEP_1)
	s_cmp_eq_u32 s44, s24
	s_wait_loadcnt 0x0
	v_mul_f32_e32 v38, s31, v38
	v_movreld_b32_e32 v14, v38
	s_cbranch_scc0 .LBB12_23
; %bb.24:                               ;   in Loop: Header=BB12_22 Depth=3
	s_cmp_lt_i32 s12, 1
	s_cbranch_scc1 .LBB12_29
; %bb.25:                               ;   in Loop: Header=BB12_22 Depth=3
	s_mov_b32 s18, 0
	s_mov_b32 s26, s13
.LBB12_26:                              ;   Parent Loop BB12_5 Depth=1
                                        ;     Parent Loop BB12_19 Depth=2
                                        ;       Parent Loop BB12_22 Depth=3
                                        ; =>      This Loop Header: Depth=4
                                        ;           Child Loop BB12_27 Depth 5
	v_lshl_add_u64 v[36:37], s[18:19], 2, v[30:31]
	s_mov_b64 s[24:25], 0
	s_mov_b32 s27, s26
	global_load_b32 v36, v[36:37], off
.LBB12_27:                              ;   Parent Loop BB12_5 Depth=1
                                        ;     Parent Loop BB12_19 Depth=2
                                        ;       Parent Loop BB12_22 Depth=3
                                        ;         Parent Loop BB12_26 Depth=4
                                        ; =>        This Inner Loop Header: Depth=5
	s_wait_xcnt 0x0
	v_mov_b32_e32 v37, s27
	s_mov_b32 m0, s24
	s_add_nc_u64 s[24:25], s[24:25], 1
	v_movrels_b32_e32 v38, v14
	s_add_co_i32 s27, s27, 48
	ds_load_b32 v37, v37
	s_cmp_eq_u32 s44, s24
	s_wait_loadcnt_dscnt 0x0
	v_fma_f32 v37, -v36, v37, v38
	s_delay_alu instid0(VALU_DEP_1)
	v_movreld_b32_e32 v14, v37
	s_cbranch_scc0 .LBB12_27
; %bb.28:                               ;   in Loop: Header=BB12_26 Depth=4
	s_add_co_i32 s18, s18, 1
	s_add_co_i32 s26, s26, 4
	s_cmp_eq_u32 s18, s12
	s_cbranch_scc0 .LBB12_26
.LBB12_29:                              ;   in Loop: Header=BB12_22 Depth=3
	s_mov_b64 s[24:25], 0
	s_mov_b32 s18, s45
	s_branch .LBB12_32
.LBB12_30:                              ;   in Loop: Header=BB12_32 Depth=4
	s_mov_b32 s26, s12
	s_mov_b64 s[28:29], 0
.LBB12_31:                              ;   in Loop: Header=BB12_32 Depth=4
	s_mul_i32 s27, s26, 52
	s_mov_b32 m0, s28
	s_wait_xcnt 0x0
	v_mov_b32_e32 v36, s27
	v_movrels_b32_e32 v37, v14
	s_ashr_i32 s27, s26, 31
	s_add_nc_u64 s[24:25], s[24:25], 1
	s_add_co_i32 s18, s18, 48
	ds_load_b32 v36, v36
	s_cmp_eq_u32 s24, s44
	s_wait_dscnt 0x0
	v_mul_f32_e32 v38, v37, v36
	v_lshl_add_u64 v[36:37], s[26:27], 2, v[30:31]
	s_delay_alu instid0(VALU_DEP_2)
	v_movreld_b32_e32 v14, v38
	global_store_b32 v[36:37], v38, off
	s_cbranch_scc1 .LBB12_21
.LBB12_32:                              ;   Parent Loop BB12_5 Depth=1
                                        ;     Parent Loop BB12_19 Depth=2
                                        ;       Parent Loop BB12_22 Depth=3
                                        ; =>      This Loop Header: Depth=4
                                        ;           Child Loop BB12_34 Depth 5
	s_cmp_eq_u32 s24, 0
	s_cbranch_scc1 .LBB12_30
; %bb.33:                               ;   in Loop: Header=BB12_32 Depth=4
	s_add_co_i32 s26, s24, s12
	s_mov_b64 s[28:29], 0
	s_mov_b32 s27, s18
.LBB12_34:                              ;   Parent Loop BB12_5 Depth=1
                                        ;     Parent Loop BB12_19 Depth=2
                                        ;       Parent Loop BB12_22 Depth=3
                                        ;         Parent Loop BB12_32 Depth=4
                                        ; =>        This Inner Loop Header: Depth=5
	s_wait_xcnt 0x0
	v_mov_b32_e32 v36, s27
	s_mov_b32 m0, s28
	s_add_nc_u64 s[28:29], s[28:29], 1
	v_movrels_b32_e32 v37, v14
	s_mov_b32 m0, s24
	ds_load_b32 v36, v36
	v_movrels_b32_e32 v38, v14
	s_add_co_i32 s27, s27, 4
	s_cmp_eq_u32 s24, s28
	s_wait_dscnt 0x0
	s_delay_alu instid0(VALU_DEP_1) | instskip(NEXT) | instid1(VALU_DEP_1)
	v_fma_f32 v36, -v37, v36, v38
	v_movreld_b32_e32 v14, v36
	s_cbranch_scc0 .LBB12_34
; %bb.35:                               ;   in Loop: Header=BB12_32 Depth=4
	s_mov_b64 s[28:29], s[24:25]
	s_branch .LBB12_31
.LBB12_36:                              ;   in Loop: Header=BB12_19 Depth=2
	s_cmp_lt_i32 s12, s33
	s_cselect_b32 s14, -1, 0
	s_add_co_i32 s13, s3, 1
	s_cmp_lt_u32 s3, 2
	s_wait_xcnt 0x0
	s_cselect_b32 s3, -1, 0
	s_delay_alu instid0(SALU_CYCLE_1) | instskip(NEXT) | instid1(SALU_CYCLE_1)
	s_and_b32 s3, s14, s3
	s_and_b32 vcc_lo, exec_lo, s3
	s_cbranch_vccz .LBB12_38
; %bb.37:                               ;   in Loop: Header=BB12_19 Depth=2
	s_mov_b32 s3, s13
	s_branch .LBB12_19
.LBB12_38:                              ;   in Loop: Header=BB12_5 Depth=1
	s_mov_b32 s3, 0
.LBB12_39:                              ;   in Loop: Header=BB12_5 Depth=1
	s_delay_alu instid0(SALU_CYCLE_1)
	s_and_b32 vcc_lo, exec_lo, s3
	s_cbranch_vccz .LBB12_3
; %bb.40:                               ;   in Loop: Header=BB12_5 Depth=1
	v_add_nc_u64_e32 v[14:15], s[10:11], v[28:29]
	s_mov_b32 s3, 0
	s_mov_b32 s10, s34
	s_load_b32 s18, s[20:21], s3 offset:0x0 scale_offset
	s_wait_kmcnt 0x0
	s_add_co_i32 s26, s18, -1
	s_delay_alu instid0(SALU_CYCLE_1)
	s_cmp_lt_i32 s10, s26
	s_cbranch_scc1 .LBB12_56
.LBB12_41:                              ;   in Loop: Header=BB12_5 Depth=1
	s_lshl_b32 s11, s10, 2
	s_lshl_b32 s12, s18, 2
	s_max_i32 s27, s18, 1
	s_add_co_i32 s28, s40, s11
	s_sub_co_i32 s29, 0, s12
	s_mul_i32 s43, s10, 52
	s_mul_i32 s44, s18, 0xffffffcc
	s_branch .LBB12_43
.LBB12_42:                              ;   in Loop: Header=BB12_43 Depth=2
	s_sub_co_i32 s10, s10, s18
	s_add_co_i32 s28, s28, s29
	s_add_co_i32 s43, s43, s44
	s_cmp_lt_i32 s10, s26
	s_cbranch_scc1 .LBB12_56
.LBB12_43:                              ;   Parent Loop BB12_5 Depth=1
                                        ; =>  This Loop Header: Depth=2
                                        ;       Child Loop BB12_44 Depth 3
                                        ;       Child Loop BB12_46 Depth 3
                                        ;         Child Loop BB12_47 Depth 4
                                        ;       Child Loop BB12_52 Depth 3
                                        ;         Child Loop BB12_54 Depth 4
	s_ashr_i32 s11, s10, 31
	s_mov_b64 s[12:13], 0
	s_wait_xcnt 0x0
	v_lshl_add_u64 v[16:17], s[10:11], 2, v[14:15]
.LBB12_44:                              ;   Parent Loop BB12_5 Depth=1
                                        ;     Parent Loop BB12_43 Depth=2
                                        ; =>    This Inner Loop Header: Depth=3
	global_load_b32 v18, v[16:17], off
	s_wait_xcnt 0x0
	v_add_nc_u64_e32 v[16:17], -4, v[16:17]
	s_mov_b32 m0, s12
	s_add_nc_u64 s[12:13], s[12:13], 1
	s_delay_alu instid0(SALU_CYCLE_1) | instskip(SKIP_2) | instid1(VALU_DEP_1)
	s_cmp_eq_u32 s27, s12
	s_wait_loadcnt 0x0
	v_mul_f32_e32 v18, s31, v18
	v_movreld_b32_e32 v2, v18
	s_cbranch_scc0 .LBB12_44
; %bb.45:                               ;   in Loop: Header=BB12_43 Depth=2
	s_cmp_le_i32 s34, s10
	s_mov_b32 s22, s28
	s_mov_b32 s12, s34
	s_cbranch_scc1 .LBB12_49
.LBB12_46:                              ;   Parent Loop BB12_5 Depth=1
                                        ;     Parent Loop BB12_43 Depth=2
                                        ; =>    This Loop Header: Depth=3
                                        ;         Child Loop BB12_47 Depth 4
	s_ashr_i32 s13, s12, 31
	s_mov_b64 s[14:15], 0
	v_lshl_add_u64 v[16:17], s[12:13], 2, v[30:31]
	s_mov_b32 s13, s22
	global_load_b32 v16, v[16:17], off
.LBB12_47:                              ;   Parent Loop BB12_5 Depth=1
                                        ;     Parent Loop BB12_43 Depth=2
                                        ;       Parent Loop BB12_46 Depth=3
                                        ; =>      This Inner Loop Header: Depth=4
	s_wait_xcnt 0x0
	v_mov_b32_e32 v17, s13
	s_mov_b32 m0, s14
	s_add_nc_u64 s[14:15], s[14:15], 1
	v_movrels_b32_e32 v18, v2
	s_add_co_i32 s13, s13, -4
	ds_load_b32 v17, v17
	s_cmp_eq_u32 s27, s14
	s_wait_loadcnt_dscnt 0x0
	v_fma_f32 v17, -v16, v17, v18
	s_delay_alu instid0(VALU_DEP_1)
	v_movreld_b32_e32 v2, v17
	s_cbranch_scc0 .LBB12_47
; %bb.48:                               ;   in Loop: Header=BB12_46 Depth=3
	s_add_co_i32 s12, s12, -1
	s_sub_co_i32 s22, s22, 48
	s_cmp_le_i32 s12, s10
	s_cbranch_scc0 .LBB12_46
.LBB12_49:                              ;   in Loop: Header=BB12_43 Depth=2
	s_mov_b64 s[12:13], 0
	s_mov_b32 s45, s43
	s_branch .LBB12_52
.LBB12_50:                              ;   in Loop: Header=BB12_52 Depth=3
	s_mov_b32 s14, s10
	s_mov_b64 s[24:25], 0
	s_mov_b64 s[22:23], s[10:11]
.LBB12_51:                              ;   in Loop: Header=BB12_52 Depth=3
	s_mul_i32 s14, s14, 52
	s_mov_b32 m0, s24
	s_wait_xcnt 0x0
	v_mov_b32_e32 v16, s14
	v_movrels_b32_e32 v17, v2
	s_add_nc_u64 s[12:13], s[12:13], 1
	s_add_co_i32 s45, s45, -4
	s_cmp_eq_u32 s12, s27
	ds_load_b32 v16, v16
	s_wait_dscnt 0x0
	v_mul_f32_e32 v18, v17, v16
	v_lshl_add_u64 v[16:17], s[22:23], 2, v[30:31]
	s_delay_alu instid0(VALU_DEP_2)
	v_movreld_b32_e32 v2, v18
	global_store_b32 v[16:17], v18, off
	s_cbranch_scc1 .LBB12_42
.LBB12_52:                              ;   Parent Loop BB12_5 Depth=1
                                        ;     Parent Loop BB12_43 Depth=2
                                        ; =>    This Loop Header: Depth=3
                                        ;         Child Loop BB12_54 Depth 4
	s_cmp_eq_u32 s12, 0
	s_cbranch_scc1 .LBB12_50
; %bb.53:                               ;   in Loop: Header=BB12_52 Depth=3
	s_mov_b64 s[14:15], 0
	s_mov_b32 s22, s45
.LBB12_54:                              ;   Parent Loop BB12_5 Depth=1
                                        ;     Parent Loop BB12_43 Depth=2
                                        ;       Parent Loop BB12_52 Depth=3
                                        ; =>      This Inner Loop Header: Depth=4
	s_wait_xcnt 0x0
	v_mov_b32_e32 v16, s22
	s_mov_b32 m0, s14
	s_add_nc_u64 s[14:15], s[14:15], 1
	v_movrels_b32_e32 v17, v2
	s_mov_b32 m0, s12
	ds_load_b32 v16, v16
	v_movrels_b32_e32 v18, v2
	s_sub_co_i32 s22, s22, 48
	s_cmp_eq_u32 s12, s14
	s_wait_dscnt 0x0
	s_delay_alu instid0(VALU_DEP_1) | instskip(NEXT) | instid1(VALU_DEP_1)
	v_fma_f32 v16, -v17, v16, v18
	v_movreld_b32_e32 v2, v16
	s_cbranch_scc0 .LBB12_54
; %bb.55:                               ;   in Loop: Header=BB12_52 Depth=3
	s_sub_co_i32 s14, s10, s12
	s_mov_b64 s[24:25], s[12:13]
	s_ashr_i32 s15, s14, 31
	s_delay_alu instid0(SALU_CYCLE_1)
	s_mov_b64 s[22:23], s[14:15]
	s_branch .LBB12_51
.LBB12_56:                              ;   Parent Loop BB12_5 Depth=1
                                        ; =>  This Inner Loop Header: Depth=2
	s_cmp_gt_i32 s10, -1
	s_cselect_b32 s12, -1, 0
	s_add_co_i32 s11, s3, 1
	s_cmp_lt_u32 s3, 2
	s_cselect_b32 s3, -1, 0
	s_delay_alu instid0(SALU_CYCLE_1) | instskip(NEXT) | instid1(SALU_CYCLE_1)
	s_and_b32 s3, s12, s3
	s_and_not1_b32 vcc_lo, exec_lo, s3
	s_cbranch_vccnz .LBB12_2
; %bb.57:                               ;   in Loop: Header=BB12_56 Depth=2
	s_mov_b32 s3, s11
	s_load_b32 s18, s[20:21], s3 offset:0x0 scale_offset
	s_wait_kmcnt 0x0
	s_add_co_i32 s26, s18, -1
	s_delay_alu instid0(SALU_CYCLE_1)
	s_cmp_lt_i32 s10, s26
	s_cbranch_scc0 .LBB12_41
	s_branch .LBB12_56
.LBB12_58:
	s_endpgm
	.section	.rodata,"a",@progbits
	.p2align	6, 0x0
	.amdhsa_kernel _ZL30rocblas_trsm_small_left_deviceILi12ELi12ELb0EffPKfPfEv13rocblas_fill_18rocblas_operation_17rocblas_diagonal_iiT3_T4_lilT5_lili
		.amdhsa_group_segment_fixed_size 576
		.amdhsa_private_segment_fixed_size 0
		.amdhsa_kernarg_size 352
		.amdhsa_user_sgpr_count 2
		.amdhsa_user_sgpr_dispatch_ptr 0
		.amdhsa_user_sgpr_queue_ptr 0
		.amdhsa_user_sgpr_kernarg_segment_ptr 1
		.amdhsa_user_sgpr_dispatch_id 0
		.amdhsa_user_sgpr_kernarg_preload_length 0
		.amdhsa_user_sgpr_kernarg_preload_offset 0
		.amdhsa_user_sgpr_private_segment_size 0
		.amdhsa_wavefront_size32 1
		.amdhsa_uses_dynamic_stack 0
		.amdhsa_enable_private_segment 0
		.amdhsa_system_sgpr_workgroup_id_x 1
		.amdhsa_system_sgpr_workgroup_id_y 0
		.amdhsa_system_sgpr_workgroup_id_z 1
		.amdhsa_system_sgpr_workgroup_info 0
		.amdhsa_system_vgpr_workitem_id 0
		.amdhsa_next_free_vgpr 39
		.amdhsa_next_free_sgpr 47
		.amdhsa_named_barrier_count 0
		.amdhsa_reserve_vcc 1
		.amdhsa_float_round_mode_32 0
		.amdhsa_float_round_mode_16_64 0
		.amdhsa_float_denorm_mode_32 3
		.amdhsa_float_denorm_mode_16_64 3
		.amdhsa_fp16_overflow 0
		.amdhsa_memory_ordered 1
		.amdhsa_forward_progress 1
		.amdhsa_inst_pref_size 17
		.amdhsa_round_robin_scheduling 0
		.amdhsa_exception_fp_ieee_invalid_op 0
		.amdhsa_exception_fp_denorm_src 0
		.amdhsa_exception_fp_ieee_div_zero 0
		.amdhsa_exception_fp_ieee_overflow 0
		.amdhsa_exception_fp_ieee_underflow 0
		.amdhsa_exception_fp_ieee_inexact 0
		.amdhsa_exception_int_div_zero 0
	.end_amdhsa_kernel
	.section	.text._ZL30rocblas_trsm_small_left_deviceILi12ELi12ELb0EffPKfPfEv13rocblas_fill_18rocblas_operation_17rocblas_diagonal_iiT3_T4_lilT5_lili,"axG",@progbits,_ZL30rocblas_trsm_small_left_deviceILi12ELi12ELb0EffPKfPfEv13rocblas_fill_18rocblas_operation_17rocblas_diagonal_iiT3_T4_lilT5_lili,comdat
.Lfunc_end12:
	.size	_ZL30rocblas_trsm_small_left_deviceILi12ELi12ELb0EffPKfPfEv13rocblas_fill_18rocblas_operation_17rocblas_diagonal_iiT3_T4_lilT5_lili, .Lfunc_end12-_ZL30rocblas_trsm_small_left_deviceILi12ELi12ELb0EffPKfPfEv13rocblas_fill_18rocblas_operation_17rocblas_diagonal_iiT3_T4_lilT5_lili
                                        ; -- End function
	.set _ZL30rocblas_trsm_small_left_deviceILi12ELi12ELb0EffPKfPfEv13rocblas_fill_18rocblas_operation_17rocblas_diagonal_iiT3_T4_lilT5_lili.num_vgpr, 39
	.set _ZL30rocblas_trsm_small_left_deviceILi12ELi12ELb0EffPKfPfEv13rocblas_fill_18rocblas_operation_17rocblas_diagonal_iiT3_T4_lilT5_lili.num_agpr, 0
	.set _ZL30rocblas_trsm_small_left_deviceILi12ELi12ELb0EffPKfPfEv13rocblas_fill_18rocblas_operation_17rocblas_diagonal_iiT3_T4_lilT5_lili.numbered_sgpr, 47
	.set _ZL30rocblas_trsm_small_left_deviceILi12ELi12ELb0EffPKfPfEv13rocblas_fill_18rocblas_operation_17rocblas_diagonal_iiT3_T4_lilT5_lili.num_named_barrier, 0
	.set _ZL30rocblas_trsm_small_left_deviceILi12ELi12ELb0EffPKfPfEv13rocblas_fill_18rocblas_operation_17rocblas_diagonal_iiT3_T4_lilT5_lili.private_seg_size, 0
	.set _ZL30rocblas_trsm_small_left_deviceILi12ELi12ELb0EffPKfPfEv13rocblas_fill_18rocblas_operation_17rocblas_diagonal_iiT3_T4_lilT5_lili.uses_vcc, 1
	.set _ZL30rocblas_trsm_small_left_deviceILi12ELi12ELb0EffPKfPfEv13rocblas_fill_18rocblas_operation_17rocblas_diagonal_iiT3_T4_lilT5_lili.uses_flat_scratch, 0
	.set _ZL30rocblas_trsm_small_left_deviceILi12ELi12ELb0EffPKfPfEv13rocblas_fill_18rocblas_operation_17rocblas_diagonal_iiT3_T4_lilT5_lili.has_dyn_sized_stack, 0
	.set _ZL30rocblas_trsm_small_left_deviceILi12ELi12ELb0EffPKfPfEv13rocblas_fill_18rocblas_operation_17rocblas_diagonal_iiT3_T4_lilT5_lili.has_recursion, 0
	.set _ZL30rocblas_trsm_small_left_deviceILi12ELi12ELb0EffPKfPfEv13rocblas_fill_18rocblas_operation_17rocblas_diagonal_iiT3_T4_lilT5_lili.has_indirect_call, 0
	.section	.AMDGPU.csdata,"",@progbits
; Kernel info:
; codeLenInByte = 2136
; TotalNumSgprs: 49
; NumVgprs: 39
; ScratchSize: 0
; MemoryBound: 0
; FloatMode: 240
; IeeeMode: 1
; LDSByteSize: 576 bytes/workgroup (compile time only)
; SGPRBlocks: 0
; VGPRBlocks: 2
; NumSGPRsForWavesPerEU: 49
; NumVGPRsForWavesPerEU: 39
; NamedBarCnt: 0
; Occupancy: 16
; WaveLimiterHint : 0
; COMPUTE_PGM_RSRC2:SCRATCH_EN: 0
; COMPUTE_PGM_RSRC2:USER_SGPR: 2
; COMPUTE_PGM_RSRC2:TRAP_HANDLER: 0
; COMPUTE_PGM_RSRC2:TGID_X_EN: 1
; COMPUTE_PGM_RSRC2:TGID_Y_EN: 0
; COMPUTE_PGM_RSRC2:TGID_Z_EN: 1
; COMPUTE_PGM_RSRC2:TIDIG_COMP_CNT: 0
	.section	.text._ZL38rocblas_trsm_small_left_device_sharedBILi12ELi12ELb1EffPKfPfEv13rocblas_fill_18rocblas_operation_17rocblas_diagonal_iiT3_T4_lilT5_lili,"axG",@progbits,_ZL38rocblas_trsm_small_left_device_sharedBILi12ELi12ELb1EffPKfPfEv13rocblas_fill_18rocblas_operation_17rocblas_diagonal_iiT3_T4_lilT5_lili,comdat
	.globl	_ZL38rocblas_trsm_small_left_device_sharedBILi12ELi12ELb1EffPKfPfEv13rocblas_fill_18rocblas_operation_17rocblas_diagonal_iiT3_T4_lilT5_lili ; -- Begin function _ZL38rocblas_trsm_small_left_device_sharedBILi12ELi12ELb1EffPKfPfEv13rocblas_fill_18rocblas_operation_17rocblas_diagonal_iiT3_T4_lilT5_lili
	.p2align	8
	.type	_ZL38rocblas_trsm_small_left_device_sharedBILi12ELi12ELb1EffPKfPfEv13rocblas_fill_18rocblas_operation_17rocblas_diagonal_iiT3_T4_lilT5_lili,@function
_ZL38rocblas_trsm_small_left_device_sharedBILi12ELi12ELb1EffPKfPfEv13rocblas_fill_18rocblas_operation_17rocblas_diagonal_iiT3_T4_lilT5_lili: ; @_ZL38rocblas_trsm_small_left_device_sharedBILi12ELi12ELb1EffPKfPfEv13rocblas_fill_18rocblas_operation_17rocblas_diagonal_iiT3_T4_lilT5_lili
; %bb.0:
	s_load_b32 s18, s[0:1], 0x58
	s_bfe_u32 s2, ttmp6, 0x40014
	s_lshr_b32 s3, ttmp7, 16
	s_add_co_i32 s2, s2, 1
	s_bfe_u32 s5, ttmp6, 0x40008
	s_mul_i32 s2, s3, s2
	s_getreg_b32 s4, hwreg(HW_REG_IB_STS2, 6, 4)
	s_add_co_i32 s5, s5, s2
	s_cmp_eq_u32 s4, 0
	s_cselect_b32 s2, s3, s5
	s_mov_b32 s3, 0
	s_wait_kmcnt 0x0
	s_cmp_ge_u32 s2, s18
	s_cbranch_scc1 .LBB13_61
; %bb.1:
	s_clause 0x3
	s_load_b32 s16, s[0:1], 0x28
	s_load_b96 s[12:14], s[0:1], 0x40
	s_load_b128 s[8:11], s[0:1], 0x4
	s_load_b32 s5, s[0:1], 0x60
	v_dual_mov_b32 v27, 0 :: v_dual_lshlrev_b32 v26, 2, v0
	s_load_b32 s19, s[0:1], 0x14
	v_mul_u32_u24_e32 v14, 48, v0
	s_delay_alu instid0(VALU_DEP_2) | instskip(NEXT) | instid1(VALU_DEP_3)
	v_or_b32_e32 v32, 0x240, v26
	v_dual_mov_b32 v2, v27 :: v_dual_mov_b32 v3, v27
	v_dual_mov_b32 v4, v27 :: v_dual_mov_b32 v5, v27
	;; [unrolled: 1-line block ×5, first 2 shown]
	s_wait_kmcnt 0x0
	s_ashr_i32 s17, s16, 31
	s_delay_alu instid0(SALU_CYCLE_1)
	s_cmp_eq_u64 s[16:17], 1
	s_cselect_b32 s15, -1, 0
	s_bfe_u32 s6, ttmp6, 0x4000c
	s_min_i32 s20, s10, 12
	s_add_co_i32 s6, s6, 1
	s_add_co_i32 s22, s5, -1
	s_and_b32 s5, ttmp6, 15
	s_mul_i32 s6, ttmp9, s6
	s_ashr_i32 s30, s14, 31
	s_add_co_i32 s21, s20, -1
	s_add_co_i32 s5, s5, s6
	s_cmp_eq_u32 s4, 0
	s_cselect_b32 s23, ttmp9, s5
	s_load_b128 s[4:7], s[0:1], 0x30
	s_mul_i32 s24, s23, -12
	s_mul_i32 s28, s23, 12
	s_add_co_i32 s11, s11, s24
	s_cmp_ge_u32 s23, s22
	s_cselect_b32 s11, s11, 12
	s_ashr_i32 s29, s28, 31
	s_cmp_lg_u32 s9, 0x84
	v_cmp_gt_i32_e32 vcc_lo, s11, v0
	s_cselect_b32 s22, -1, 0
	s_cmp_gt_i32 s10, 0
	v_lshl_add_u64 v[10:11], s[28:29], 2, v[26:27]
	s_cselect_b32 s9, -1, 0
	s_cmp_lg_u32 s8, 0x6f
	s_cselect_b32 s23, -1, 0
	s_and_b32 s24, vcc_lo, s9
	s_cmp_gt_u32 s20, 1
	s_cselect_b32 s8, -1, 0
	s_and_b32 s25, s20, -2
	s_and_b32 s26, s8, s15
	s_cmp_lg_u32 s20, s25
	s_load_b128 s[8:11], s[0:1], 0x18
	s_cselect_b32 s27, -1, 0
	s_lshl_b64 s[12:13], s[12:13], 2
	s_wait_kmcnt 0x0
	s_lshl_b64 s[4:5], s[4:5], 2
	s_add_nc_u64 s[6:7], s[6:7], s[12:13]
	s_load_b64 s[12:13], s[0:1], 0x50
	v_mad_nc_u64_u32 v[28:29], v10, s14, s[6:7]
	s_wait_xcnt 0x0
	v_cmp_gt_i32_e64 s0, s20, v0
	s_lshl_b32 s1, s20, 2
	s_delay_alu instid0(SALU_CYCLE_1) | instskip(SKIP_2) | instid1(SALU_CYCLE_1)
	s_add_co_i32 s1, s1, -4
	v_mad_u32 v11, v11, s14, v29
	s_lshl_b64 s[6:7], s[10:11], 2
	s_add_nc_u64 s[8:9], s[8:9], s[6:7]
	s_lshl_b64 s[6:7], s[16:17], 2
	v_add_nc_u64_e32 v[0:1], s[8:9], v[26:27]
	s_wait_kmcnt 0x0
	s_lshl_b64 s[10:11], s[12:13], 2
	s_get_pc_i64 s[8:9]
	s_add_nc_u64 s[8:9], s[8:9], __const._ZL38rocblas_trsm_small_left_device_sharedBILi12ELi12ELb1EffPKfPfEv13rocblas_fill_18rocblas_operation_17rocblas_diagonal_iiT3_T4_lilT5_lili.step_sizes@rel64+4
	s_delay_alu instid0(VALU_DEP_2)
	v_mad_u32 v29, v10, s30, v11
	v_dual_mov_b32 v10, v27 :: v_dual_mov_b32 v11, v27
	v_add_nc_u32_e32 v27, v26, v14
	s_branch .LBB13_3
.LBB13_2:                               ;   in Loop: Header=BB13_3 Depth=1
	s_or_b32 exec_lo, exec_lo, s12
	s_delay_alu instid0(VALU_DEP_1)
	v_mov_b64_e32 v[2:3], v[14:15]
	v_mov_b64_e32 v[4:5], v[16:17]
	;; [unrolled: 1-line block ×6, first 2 shown]
	s_add_co_i32 s2, s2, 0x10000
	s_delay_alu instid0(SALU_CYCLE_1)
	s_cmp_lt_u32 s2, s18
	s_cbranch_scc0 .LBB13_61
.LBB13_3:                               ; =>This Loop Header: Depth=1
                                        ;     Child Loop BB13_6 Depth 2
                                        ;     Child Loop BB13_10 Depth 2
	;; [unrolled: 1-line block ×4, first 2 shown]
                                        ;       Child Loop BB13_22 Depth 3
                                        ;       Child Loop BB13_24 Depth 3
                                        ;         Child Loop BB13_25 Depth 4
                                        ;       Child Loop BB13_30 Depth 3
                                        ;         Child Loop BB13_32 Depth 4
                                        ;     Child Loop BB13_34 Depth 2
                                        ;     Child Loop BB13_39 Depth 2
                                        ;       Child Loop BB13_42 Depth 3
                                        ;         Child Loop BB13_43 Depth 4
                                        ;         Child Loop BB13_46 Depth 4
                                        ;           Child Loop BB13_47 Depth 5
                                        ;         Child Loop BB13_52 Depth 4
                                        ;           Child Loop BB13_54 Depth 5
                                        ;     Child Loop BB13_60 Depth 2
	s_and_saveexec_b32 s16, s0
	s_cbranch_execz .LBB13_14
; %bb.4:                                ;   in Loop: Header=BB13_3 Depth=1
	s_and_not1_b32 vcc_lo, exec_lo, s26
	s_mul_u64 s[12:13], s[4:5], s[2:3]
	s_cbranch_vccnz .LBB13_8
; %bb.5:                                ;   in Loop: Header=BB13_3 Depth=1
	v_add_nc_u64_e32 v[14:15], s[12:13], v[0:1]
	s_mov_b32 s15, 1
	s_wait_xcnt 0x0
	s_mov_b32 s17, 0
	s_mov_b32 s28, s25
.LBB13_6:                               ;   Parent Loop BB13_3 Depth=1
                                        ; =>  This Inner Loop Header: Depth=2
	global_load_b64 v[16:17], v[14:15], off
	v_mad_u32 v18, s17, 48, v26
	v_mad_u32 v19, s15, 48, v26
	s_wait_xcnt 0x0
	v_add_nc_u64_e32 v[14:15], 8, v[14:15]
	s_add_co_i32 s28, s28, -2
	s_add_co_i32 s17, s17, 2
	s_add_co_i32 s15, s15, 2
	s_mov_b32 s14, s25
	s_mov_b32 s29, s27
	s_cmp_lg_u32 s28, 0
	s_wait_loadcnt 0x0
	ds_store_b32 v18, v16
	ds_store_b32 v19, v17
	s_cbranch_scc1 .LBB13_6
; %bb.7:                                ;   in Loop: Header=BB13_3 Depth=1
	s_and_b32 vcc_lo, exec_lo, s29
	s_cbranch_vccnz .LBB13_9
	s_branch .LBB13_11
.LBB13_8:                               ;   in Loop: Header=BB13_3 Depth=1
	s_mov_b32 s14, 0
	s_cbranch_execz .LBB13_11
.LBB13_9:                               ;   in Loop: Header=BB13_3 Depth=1
	s_mov_b32 s15, s3
	v_mad_u32 v16, s14, 48, v26
	s_mul_u64 s[28:29], s[6:7], s[14:15]
	s_delay_alu instid0(SALU_CYCLE_1) | instskip(NEXT) | instid1(SALU_CYCLE_1)
	s_add_nc_u64 s[12:13], s[28:29], s[12:13]
	v_add_nc_u64_e32 v[14:15], s[12:13], v[0:1]
	s_sub_co_i32 s12, s20, s14
.LBB13_10:                              ;   Parent Loop BB13_3 Depth=1
                                        ; =>  This Inner Loop Header: Depth=2
	global_load_b32 v17, v[14:15], off
	s_wait_xcnt 0x0
	v_add_nc_u64_e32 v[14:15], s[6:7], v[14:15]
	s_add_co_i32 s12, s12, -1
	s_delay_alu instid0(SALU_CYCLE_1)
	s_cmp_eq_u32 s12, 0
	s_wait_loadcnt 0x0
	ds_store_b32 v16, v17
	v_add_nc_u32_e32 v16, 48, v16
	s_cbranch_scc0 .LBB13_10
.LBB13_11:                              ;   in Loop: Header=BB13_3 Depth=1
	v_mov_b32_e32 v14, 1.0
	s_and_b32 vcc_lo, exec_lo, s22
	s_cbranch_vccz .LBB13_13
; %bb.12:                               ;   in Loop: Header=BB13_3 Depth=1
	ds_load_b32 v14, v27
	s_wait_dscnt 0x0
	v_div_scale_f32 v15, null, v14, v14, 1.0
	s_delay_alu instid0(VALU_DEP_1) | instskip(SKIP_1) | instid1(TRANS32_DEP_1)
	v_rcp_f32_e32 v16, v15
	v_nop
	v_fma_f32 v17, -v15, v16, 1.0
	s_delay_alu instid0(VALU_DEP_1) | instskip(SKIP_1) | instid1(VALU_DEP_1)
	v_fmac_f32_e32 v16, v17, v16
	v_div_scale_f32 v17, vcc_lo, 1.0, v14, 1.0
	v_mul_f32_e32 v18, v17, v16
	s_delay_alu instid0(VALU_DEP_1) | instskip(NEXT) | instid1(VALU_DEP_1)
	v_fma_f32 v19, -v15, v18, v17
	v_fmac_f32_e32 v18, v19, v16
	s_delay_alu instid0(VALU_DEP_1) | instskip(NEXT) | instid1(VALU_DEP_1)
	v_fma_f32 v15, -v15, v18, v17
	v_div_fmas_f32 v15, v15, v16, v18
	s_delay_alu instid0(VALU_DEP_1)
	v_div_fixup_f32 v14, v15, v14, 1.0
.LBB13_13:                              ;   in Loop: Header=BB13_3 Depth=1
	ds_store_b32 v27, v14
.LBB13_14:                              ;   in Loop: Header=BB13_3 Depth=1
	s_or_b32 exec_lo, exec_lo, s16
	s_delay_alu instid0(VALU_DEP_3) | instskip(NEXT) | instid1(VALU_DEP_1)
	v_mad_nc_u64_u32 v[30:31], s10, s2, v[28:29]
	v_mad_u32 v31, s11, s2, v31
	s_and_saveexec_b32 s12, s24
	s_cbranch_execz .LBB13_17
; %bb.15:                               ;   in Loop: Header=BB13_3 Depth=1
	s_delay_alu instid0(VALU_DEP_1)
	v_mov_b64_e32 v[14:15], v[30:31]
	v_mov_b32_e32 v16, v32
	s_mov_b32 s13, s20
.LBB13_16:                              ;   Parent Loop BB13_3 Depth=1
                                        ; =>  This Inner Loop Header: Depth=2
	global_load_b32 v17, v[14:15], off
	s_wait_xcnt 0x0
	v_add_nc_u64_e32 v[14:15], 4, v[14:15]
	s_add_co_i32 s13, s13, -1
	s_delay_alu instid0(SALU_CYCLE_1)
	s_cmp_lg_u32 s13, 0
	s_wait_loadcnt 0x0
	v_mul_f32_e32 v17, s19, v17
	ds_store_b32 v16, v17
	v_add_nc_u32_e32 v16, 48, v16
	s_cbranch_scc1 .LBB13_16
.LBB13_17:                              ;   in Loop: Header=BB13_3 Depth=1
	s_or_b32 exec_lo, exec_lo, s12
	s_delay_alu instid0(SALU_CYCLE_1)
	s_and_not1_b32 vcc_lo, exec_lo, s23
	s_mov_b32 s12, -1
	s_wait_dscnt 0x0
	; wave barrier
                                        ; implicit-def: $vgpr14_vgpr15_vgpr16_vgpr17_vgpr18_vgpr19_vgpr20_vgpr21_vgpr22_vgpr23_vgpr24_vgpr25
	s_cbranch_vccnz .LBB13_37
; %bb.18:                               ;   in Loop: Header=BB13_3 Depth=1
	v_mov_b64_e32 v[24:25], v[12:13]
	v_mov_b64_e32 v[22:23], v[10:11]
	;; [unrolled: 1-line block ×6, first 2 shown]
	s_wait_xcnt 0x0
	s_mov_b32 s17, 0
	s_mov_b32 s16, s21
	s_load_b32 s28, s[8:9], s17 offset:0x0 scale_offset
	s_wait_kmcnt 0x0
	s_add_co_i32 s29, s28, -1
	s_delay_alu instid0(SALU_CYCLE_1)
	s_cmp_lt_i32 s16, s29
	s_cbranch_scc1 .LBB13_34
.LBB13_19:                              ;   in Loop: Header=BB13_3 Depth=1
	s_mul_i32 s12, s16, 48
	s_max_i32 s30, s28, 1
	v_add_nc_u32_e32 v33, s12, v32
	s_mul_i32 s31, s28, 0xffffffd0
	s_add_co_i32 s33, s1, s12
	s_mul_i32 s34, s16, 52
	s_mul_i32 s35, s28, 0xffffffcc
	s_branch .LBB13_21
.LBB13_20:                              ;   in Loop: Header=BB13_21 Depth=2
	v_add_nc_u32_e32 v33, s31, v33
	s_sub_co_i32 s16, s16, s28
	s_add_co_i32 s33, s33, s31
	s_add_co_i32 s34, s34, s35
	s_cmp_lt_i32 s16, s29
	s_cbranch_scc1 .LBB13_34
.LBB13_21:                              ;   Parent Loop BB13_3 Depth=1
                                        ; =>  This Loop Header: Depth=2
                                        ;       Child Loop BB13_22 Depth 3
                                        ;       Child Loop BB13_24 Depth 3
                                        ;         Child Loop BB13_25 Depth 4
                                        ;       Child Loop BB13_30 Depth 3
                                        ;         Child Loop BB13_32 Depth 4
	v_mov_b32_e32 v34, v33
	s_mov_b64 s[12:13], 0
.LBB13_22:                              ;   Parent Loop BB13_3 Depth=1
                                        ;     Parent Loop BB13_21 Depth=2
                                        ; =>    This Inner Loop Header: Depth=3
	ds_load_b32 v35, v34
	v_subrev_nc_u32_e32 v34, 48, v34
	s_mov_b32 m0, s12
	s_add_nc_u64 s[12:13], s[12:13], 1
	s_delay_alu instid0(SALU_CYCLE_1)
	s_cmp_eq_u32 s30, s12
	s_wait_dscnt 0x0
	v_movreld_b32_e32 v14, v35
	s_cbranch_scc0 .LBB13_22
; %bb.23:                               ;   in Loop: Header=BB13_21 Depth=2
	s_cmp_le_i32 s21, s16
	s_mov_b32 s14, s33
	s_mov_b32 s15, s21
	s_cbranch_scc1 .LBB13_27
.LBB13_24:                              ;   Parent Loop BB13_3 Depth=1
                                        ;     Parent Loop BB13_21 Depth=2
                                        ; =>    This Loop Header: Depth=3
                                        ;         Child Loop BB13_25 Depth 4
	v_mad_u32 v34, s15, 48, v32
	s_mov_b64 s[12:13], 0
	s_mov_b32 s36, s14
	ds_load_b32 v34, v34
.LBB13_25:                              ;   Parent Loop BB13_3 Depth=1
                                        ;     Parent Loop BB13_21 Depth=2
                                        ;       Parent Loop BB13_24 Depth=3
                                        ; =>      This Inner Loop Header: Depth=4
	v_mov_b32_e32 v35, s36
	s_mov_b32 m0, s12
	s_add_nc_u64 s[12:13], s[12:13], 1
	v_movrels_b32_e32 v36, v14
	s_sub_co_i32 s36, s36, 48
	ds_load_b32 v35, v35
	s_cmp_eq_u32 s30, s12
	s_wait_dscnt 0x0
	v_fma_f32 v35, -v34, v35, v36
	s_delay_alu instid0(VALU_DEP_1)
	v_movreld_b32_e32 v14, v35
	s_cbranch_scc0 .LBB13_25
; %bb.26:                               ;   in Loop: Header=BB13_24 Depth=3
	s_add_co_i32 s15, s15, -1
	s_add_co_i32 s14, s14, -4
	s_cmp_le_i32 s15, s16
	s_cbranch_scc0 .LBB13_24
.LBB13_27:                              ;   in Loop: Header=BB13_21 Depth=2
	s_mul_i32 s36, s16, 48
	s_mov_b64 s[12:13], 0
	s_mov_b32 s37, s34
	s_branch .LBB13_30
.LBB13_28:                              ;   in Loop: Header=BB13_30 Depth=3
	s_mov_b32 s39, s16
	s_mov_b64 s[14:15], 0
	s_mov_b32 s38, s36
.LBB13_29:                              ;   in Loop: Header=BB13_30 Depth=3
	s_mov_b32 m0, s14
	s_mul_i32 s14, s39, 52
	v_movrels_b32_e32 v35, v14
	v_mov_b32_e32 v34, s14
	s_add_nc_u64 s[12:13], s[12:13], 1
	s_sub_co_i32 s37, s37, 48
	s_cmp_eq_u32 s12, s30
	ds_load_b32 v34, v34
	s_wait_dscnt 0x0
	v_dual_mul_f32 v34, v35, v34 :: v_dual_add_nc_u32 v35, s38, v32
	s_delay_alu instid0(VALU_DEP_1)
	v_movreld_b32_e32 v14, v34
	ds_store_b32 v35, v34
	s_cbranch_scc1 .LBB13_20
.LBB13_30:                              ;   Parent Loop BB13_3 Depth=1
                                        ;     Parent Loop BB13_21 Depth=2
                                        ; =>    This Loop Header: Depth=3
                                        ;         Child Loop BB13_32 Depth 4
	s_cmp_eq_u32 s12, 0
	s_cbranch_scc1 .LBB13_28
; %bb.31:                               ;   in Loop: Header=BB13_30 Depth=3
	s_sub_co_i32 s39, s16, s12
	s_mov_b64 s[14:15], 0
	s_mul_i32 s38, s39, 48
	s_mov_b32 s40, s37
.LBB13_32:                              ;   Parent Loop BB13_3 Depth=1
                                        ;     Parent Loop BB13_21 Depth=2
                                        ;       Parent Loop BB13_30 Depth=3
                                        ; =>      This Inner Loop Header: Depth=4
	s_delay_alu instid0(SALU_CYCLE_1)
	v_mov_b32_e32 v34, s40
	s_mov_b32 m0, s14
	s_add_nc_u64 s[14:15], s[14:15], 1
	v_movrels_b32_e32 v35, v14
	s_mov_b32 m0, s12
	ds_load_b32 v34, v34
	v_movrels_b32_e32 v36, v14
	s_add_co_i32 s40, s40, -4
	s_cmp_eq_u32 s12, s14
	s_wait_dscnt 0x0
	s_delay_alu instid0(VALU_DEP_1) | instskip(NEXT) | instid1(VALU_DEP_1)
	v_fma_f32 v34, -v35, v34, v36
	v_movreld_b32_e32 v14, v34
	s_cbranch_scc0 .LBB13_32
; %bb.33:                               ;   in Loop: Header=BB13_30 Depth=3
	s_mov_b64 s[14:15], s[12:13]
	s_branch .LBB13_29
.LBB13_34:                              ;   Parent Loop BB13_3 Depth=1
                                        ; =>  This Inner Loop Header: Depth=2
	s_cmp_gt_i32 s16, -1
	s_cselect_b32 s13, -1, 0
	s_add_co_i32 s12, s17, 1
	s_cmp_lt_u32 s17, 2
	s_cselect_b32 s14, -1, 0
	s_delay_alu instid0(SALU_CYCLE_1) | instskip(NEXT) | instid1(SALU_CYCLE_1)
	s_and_b32 s13, s13, s14
	s_and_b32 vcc_lo, exec_lo, s13
	s_cbranch_vccz .LBB13_36
; %bb.35:                               ;   in Loop: Header=BB13_34 Depth=2
	s_wait_xcnt 0x0
	s_mov_b32 s17, s12
	s_load_b32 s28, s[8:9], s17 offset:0x0 scale_offset
	s_wait_kmcnt 0x0
	s_add_co_i32 s29, s28, -1
	s_delay_alu instid0(SALU_CYCLE_1)
	s_cmp_lt_i32 s16, s29
	s_cbranch_scc0 .LBB13_19
	s_branch .LBB13_34
.LBB13_36:                              ;   in Loop: Header=BB13_3 Depth=1
	s_mov_b32 s12, 0
.LBB13_37:                              ;   in Loop: Header=BB13_3 Depth=1
	s_delay_alu instid0(SALU_CYCLE_1)
	s_and_b32 vcc_lo, exec_lo, s12
	s_cbranch_vccz .LBB13_58
; %bb.38:                               ;   in Loop: Header=BB13_3 Depth=1
	s_mov_b32 s16, 0
	s_wait_xcnt 0x0
	s_mov_b32 s17, 0
.LBB13_39:                              ;   Parent Loop BB13_3 Depth=1
                                        ; =>  This Loop Header: Depth=2
                                        ;       Child Loop BB13_42 Depth 3
                                        ;         Child Loop BB13_43 Depth 4
                                        ;         Child Loop BB13_46 Depth 4
                                        ;           Child Loop BB13_47 Depth 5
                                        ;         Child Loop BB13_52 Depth 4
                                        ;           Child Loop BB13_54 Depth 5
	s_load_b32 s28, s[8:9], s17 offset:0x0 scale_offset
	s_wait_kmcnt 0x0
	s_add_co_i32 s29, s28, -1
	s_delay_alu instid0(SALU_CYCLE_1) | instskip(NEXT) | instid1(SALU_CYCLE_1)
	s_add_co_i32 s12, s29, s16
	s_cmp_ge_i32 s12, s20
	s_cbranch_scc1 .LBB13_55
; %bb.40:                               ;   in Loop: Header=BB13_39 Depth=2
	v_mad_u32 v14, s16, 48, v32
	s_max_i32 s30, s28, 1
	s_mul_i32 s31, s28, 48
	s_lshl_b32 s33, s16, 2
	s_lshl_b32 s34, s28, 2
	s_mul_i32 s35, s16, 52
	s_mul_i32 s36, s28, 52
	s_branch .LBB13_42
.LBB13_41:                              ;   in Loop: Header=BB13_42 Depth=3
	s_add_co_i32 s16, s16, s28
	v_add_nc_u32_e32 v14, s31, v14
	s_add_co_i32 s12, s29, s16
	s_add_co_i32 s33, s33, s34
	;; [unrolled: 1-line block ×3, first 2 shown]
	s_cmp_ge_i32 s12, s20
	s_cbranch_scc1 .LBB13_55
.LBB13_42:                              ;   Parent Loop BB13_3 Depth=1
                                        ;     Parent Loop BB13_39 Depth=2
                                        ; =>    This Loop Header: Depth=3
                                        ;         Child Loop BB13_43 Depth 4
                                        ;         Child Loop BB13_46 Depth 4
                                        ;           Child Loop BB13_47 Depth 5
                                        ;         Child Loop BB13_52 Depth 4
                                        ;           Child Loop BB13_54 Depth 5
	s_delay_alu instid0(VALU_DEP_1)
	v_mov_b32_e32 v15, v14
	s_mov_b64 s[12:13], 0
.LBB13_43:                              ;   Parent Loop BB13_3 Depth=1
                                        ;     Parent Loop BB13_39 Depth=2
                                        ;       Parent Loop BB13_42 Depth=3
                                        ; =>      This Inner Loop Header: Depth=4
	ds_load_b32 v16, v15
	v_add_nc_u32_e32 v15, 48, v15
	s_mov_b32 m0, s12
	s_add_nc_u64 s[12:13], s[12:13], 1
	s_delay_alu instid0(SALU_CYCLE_1)
	s_cmp_eq_u32 s30, s12
	s_wait_dscnt 0x0
	v_movreld_b32_e32 v2, v16
	s_cbranch_scc0 .LBB13_43
; %bb.44:                               ;   in Loop: Header=BB13_42 Depth=3
	s_cmp_lt_i32 s16, 1
	s_cbranch_scc1 .LBB13_49
; %bb.45:                               ;   in Loop: Header=BB13_42 Depth=3
	s_mov_b32 s14, 0
	s_mov_b32 s15, s33
.LBB13_46:                              ;   Parent Loop BB13_3 Depth=1
                                        ;     Parent Loop BB13_39 Depth=2
                                        ;       Parent Loop BB13_42 Depth=3
                                        ; =>      This Loop Header: Depth=4
                                        ;           Child Loop BB13_47 Depth 5
	v_mad_u32 v15, s14, 48, v32
	s_mov_b64 s[12:13], 0
	s_mov_b32 s37, s15
	ds_load_b32 v15, v15
.LBB13_47:                              ;   Parent Loop BB13_3 Depth=1
                                        ;     Parent Loop BB13_39 Depth=2
                                        ;       Parent Loop BB13_42 Depth=3
                                        ;         Parent Loop BB13_46 Depth=4
                                        ; =>        This Inner Loop Header: Depth=5
	v_mov_b32_e32 v16, s37
	s_mov_b32 m0, s12
	s_add_nc_u64 s[12:13], s[12:13], 1
	v_movrels_b32_e32 v17, v2
	s_add_co_i32 s37, s37, 4
	ds_load_b32 v16, v16
	s_cmp_eq_u32 s30, s12
	s_wait_dscnt 0x0
	v_fma_f32 v16, -v15, v16, v17
	s_delay_alu instid0(VALU_DEP_1)
	v_movreld_b32_e32 v2, v16
	s_cbranch_scc0 .LBB13_47
; %bb.48:                               ;   in Loop: Header=BB13_46 Depth=4
	s_add_co_i32 s14, s14, 1
	s_add_co_i32 s15, s15, 48
	s_cmp_eq_u32 s14, s16
	s_cbranch_scc0 .LBB13_46
.LBB13_49:                              ;   in Loop: Header=BB13_42 Depth=3
	s_mov_b64 s[12:13], 0
	s_mov_b32 s37, s35
	s_branch .LBB13_52
.LBB13_50:                              ;   in Loop: Header=BB13_52 Depth=4
	s_mov_b64 s[14:15], s[12:13]
.LBB13_51:                              ;   in Loop: Header=BB13_52 Depth=4
	s_delay_alu instid0(SALU_CYCLE_1)
	s_mov_b32 m0, s14
	s_add_co_i32 s14, s12, s16
	v_movrels_b32_e32 v16, v2
	s_mul_i32 s15, s14, 52
	v_mad_u32 v17, s14, 48, v32
	v_mov_b32_e32 v15, s15
	s_add_nc_u64 s[12:13], s[12:13], 1
	s_add_co_i32 s37, s37, 4
	s_cmp_eq_u32 s12, s30
	ds_load_b32 v15, v15
	s_wait_dscnt 0x0
	v_mul_f32_e32 v15, v16, v15
	s_delay_alu instid0(VALU_DEP_1)
	v_movreld_b32_e32 v2, v15
	ds_store_b32 v17, v15
	s_cbranch_scc1 .LBB13_41
.LBB13_52:                              ;   Parent Loop BB13_3 Depth=1
                                        ;     Parent Loop BB13_39 Depth=2
                                        ;       Parent Loop BB13_42 Depth=3
                                        ; =>      This Loop Header: Depth=4
                                        ;           Child Loop BB13_54 Depth 5
	s_mov_b64 s[14:15], 0
	s_cmp_eq_u32 s12, 0
	s_cbranch_scc1 .LBB13_51
; %bb.53:                               ;   in Loop: Header=BB13_52 Depth=4
	s_mov_b32 s38, s37
.LBB13_54:                              ;   Parent Loop BB13_3 Depth=1
                                        ;     Parent Loop BB13_39 Depth=2
                                        ;       Parent Loop BB13_42 Depth=3
                                        ;         Parent Loop BB13_52 Depth=4
                                        ; =>        This Inner Loop Header: Depth=5
	s_delay_alu instid0(SALU_CYCLE_1)
	v_mov_b32_e32 v15, s38
	s_mov_b32 m0, s14
	s_add_nc_u64 s[14:15], s[14:15], 1
	v_movrels_b32_e32 v16, v2
	s_mov_b32 m0, s12
	ds_load_b32 v15, v15
	v_movrels_b32_e32 v17, v2
	s_add_co_i32 s38, s38, 48
	s_cmp_eq_u32 s12, s14
	s_wait_dscnt 0x0
	s_delay_alu instid0(VALU_DEP_1) | instskip(NEXT) | instid1(VALU_DEP_1)
	v_fma_f32 v15, -v16, v15, v17
	v_movreld_b32_e32 v2, v15
	s_cbranch_scc0 .LBB13_54
	s_branch .LBB13_50
.LBB13_55:                              ;   in Loop: Header=BB13_39 Depth=2
	s_cmp_lt_i32 s16, s20
	s_cselect_b32 s13, -1, 0
	s_add_co_i32 s12, s17, 1
	s_cmp_lt_u32 s17, 2
	s_cselect_b32 s14, -1, 0
	s_delay_alu instid0(SALU_CYCLE_1) | instskip(NEXT) | instid1(SALU_CYCLE_1)
	s_and_b32 s13, s13, s14
	s_and_not1_b32 vcc_lo, exec_lo, s13
	s_cbranch_vccnz .LBB13_57
; %bb.56:                               ;   in Loop: Header=BB13_39 Depth=2
	s_wait_xcnt 0x0
	s_mov_b32 s17, s12
	s_branch .LBB13_39
.LBB13_57:                              ;   in Loop: Header=BB13_3 Depth=1
	v_mov_b64_e32 v[24:25], v[12:13]
	v_mov_b64_e32 v[22:23], v[10:11]
	;; [unrolled: 1-line block ×6, first 2 shown]
.LBB13_58:                              ;   in Loop: Header=BB13_3 Depth=1
	s_wait_dscnt 0x0
	; wave barrier
	s_and_saveexec_b32 s12, s24
	s_cbranch_execz .LBB13_2
; %bb.59:                               ;   in Loop: Header=BB13_3 Depth=1
	v_mov_b32_e32 v2, v32
	s_mov_b32 s13, s20
.LBB13_60:                              ;   Parent Loop BB13_3 Depth=1
                                        ; =>  This Inner Loop Header: Depth=2
	ds_load_b32 v3, v2
	v_add_nc_u32_e32 v2, 48, v2
	s_add_co_i32 s13, s13, -1
	s_delay_alu instid0(SALU_CYCLE_1)
	s_cmp_lg_u32 s13, 0
	s_wait_dscnt 0x0
	global_store_b32 v[30:31], v3, off
	s_wait_xcnt 0x0
	v_add_nc_u64_e32 v[30:31], 4, v[30:31]
	s_cbranch_scc1 .LBB13_60
	s_branch .LBB13_2
.LBB13_61:
	s_endpgm
	.section	.rodata,"a",@progbits
	.p2align	6, 0x0
	.amdhsa_kernel _ZL38rocblas_trsm_small_left_device_sharedBILi12ELi12ELb1EffPKfPfEv13rocblas_fill_18rocblas_operation_17rocblas_diagonal_iiT3_T4_lilT5_lili
		.amdhsa_group_segment_fixed_size 1152
		.amdhsa_private_segment_fixed_size 0
		.amdhsa_kernarg_size 352
		.amdhsa_user_sgpr_count 2
		.amdhsa_user_sgpr_dispatch_ptr 0
		.amdhsa_user_sgpr_queue_ptr 0
		.amdhsa_user_sgpr_kernarg_segment_ptr 1
		.amdhsa_user_sgpr_dispatch_id 0
		.amdhsa_user_sgpr_kernarg_preload_length 0
		.amdhsa_user_sgpr_kernarg_preload_offset 0
		.amdhsa_user_sgpr_private_segment_size 0
		.amdhsa_wavefront_size32 1
		.amdhsa_uses_dynamic_stack 0
		.amdhsa_enable_private_segment 0
		.amdhsa_system_sgpr_workgroup_id_x 1
		.amdhsa_system_sgpr_workgroup_id_y 0
		.amdhsa_system_sgpr_workgroup_id_z 1
		.amdhsa_system_sgpr_workgroup_info 0
		.amdhsa_system_vgpr_workitem_id 0
		.amdhsa_next_free_vgpr 37
		.amdhsa_next_free_sgpr 41
		.amdhsa_named_barrier_count 0
		.amdhsa_reserve_vcc 1
		.amdhsa_float_round_mode_32 0
		.amdhsa_float_round_mode_16_64 0
		.amdhsa_float_denorm_mode_32 3
		.amdhsa_float_denorm_mode_16_64 3
		.amdhsa_fp16_overflow 0
		.amdhsa_memory_ordered 1
		.amdhsa_forward_progress 1
		.amdhsa_inst_pref_size 18
		.amdhsa_round_robin_scheduling 0
		.amdhsa_exception_fp_ieee_invalid_op 0
		.amdhsa_exception_fp_denorm_src 0
		.amdhsa_exception_fp_ieee_div_zero 0
		.amdhsa_exception_fp_ieee_overflow 0
		.amdhsa_exception_fp_ieee_underflow 0
		.amdhsa_exception_fp_ieee_inexact 0
		.amdhsa_exception_int_div_zero 0
	.end_amdhsa_kernel
	.section	.text._ZL38rocblas_trsm_small_left_device_sharedBILi12ELi12ELb1EffPKfPfEv13rocblas_fill_18rocblas_operation_17rocblas_diagonal_iiT3_T4_lilT5_lili,"axG",@progbits,_ZL38rocblas_trsm_small_left_device_sharedBILi12ELi12ELb1EffPKfPfEv13rocblas_fill_18rocblas_operation_17rocblas_diagonal_iiT3_T4_lilT5_lili,comdat
.Lfunc_end13:
	.size	_ZL38rocblas_trsm_small_left_device_sharedBILi12ELi12ELb1EffPKfPfEv13rocblas_fill_18rocblas_operation_17rocblas_diagonal_iiT3_T4_lilT5_lili, .Lfunc_end13-_ZL38rocblas_trsm_small_left_device_sharedBILi12ELi12ELb1EffPKfPfEv13rocblas_fill_18rocblas_operation_17rocblas_diagonal_iiT3_T4_lilT5_lili
                                        ; -- End function
	.set _ZL38rocblas_trsm_small_left_device_sharedBILi12ELi12ELb1EffPKfPfEv13rocblas_fill_18rocblas_operation_17rocblas_diagonal_iiT3_T4_lilT5_lili.num_vgpr, 37
	.set _ZL38rocblas_trsm_small_left_device_sharedBILi12ELi12ELb1EffPKfPfEv13rocblas_fill_18rocblas_operation_17rocblas_diagonal_iiT3_T4_lilT5_lili.num_agpr, 0
	.set _ZL38rocblas_trsm_small_left_device_sharedBILi12ELi12ELb1EffPKfPfEv13rocblas_fill_18rocblas_operation_17rocblas_diagonal_iiT3_T4_lilT5_lili.numbered_sgpr, 41
	.set _ZL38rocblas_trsm_small_left_device_sharedBILi12ELi12ELb1EffPKfPfEv13rocblas_fill_18rocblas_operation_17rocblas_diagonal_iiT3_T4_lilT5_lili.num_named_barrier, 0
	.set _ZL38rocblas_trsm_small_left_device_sharedBILi12ELi12ELb1EffPKfPfEv13rocblas_fill_18rocblas_operation_17rocblas_diagonal_iiT3_T4_lilT5_lili.private_seg_size, 0
	.set _ZL38rocblas_trsm_small_left_device_sharedBILi12ELi12ELb1EffPKfPfEv13rocblas_fill_18rocblas_operation_17rocblas_diagonal_iiT3_T4_lilT5_lili.uses_vcc, 1
	.set _ZL38rocblas_trsm_small_left_device_sharedBILi12ELi12ELb1EffPKfPfEv13rocblas_fill_18rocblas_operation_17rocblas_diagonal_iiT3_T4_lilT5_lili.uses_flat_scratch, 0
	.set _ZL38rocblas_trsm_small_left_device_sharedBILi12ELi12ELb1EffPKfPfEv13rocblas_fill_18rocblas_operation_17rocblas_diagonal_iiT3_T4_lilT5_lili.has_dyn_sized_stack, 0
	.set _ZL38rocblas_trsm_small_left_device_sharedBILi12ELi12ELb1EffPKfPfEv13rocblas_fill_18rocblas_operation_17rocblas_diagonal_iiT3_T4_lilT5_lili.has_recursion, 0
	.set _ZL38rocblas_trsm_small_left_device_sharedBILi12ELi12ELb1EffPKfPfEv13rocblas_fill_18rocblas_operation_17rocblas_diagonal_iiT3_T4_lilT5_lili.has_indirect_call, 0
	.section	.AMDGPU.csdata,"",@progbits
; Kernel info:
; codeLenInByte = 2208
; TotalNumSgprs: 43
; NumVgprs: 37
; ScratchSize: 0
; MemoryBound: 0
; FloatMode: 240
; IeeeMode: 1
; LDSByteSize: 1152 bytes/workgroup (compile time only)
; SGPRBlocks: 0
; VGPRBlocks: 2
; NumSGPRsForWavesPerEU: 43
; NumVGPRsForWavesPerEU: 37
; NamedBarCnt: 0
; Occupancy: 16
; WaveLimiterHint : 0
; COMPUTE_PGM_RSRC2:SCRATCH_EN: 0
; COMPUTE_PGM_RSRC2:USER_SGPR: 2
; COMPUTE_PGM_RSRC2:TRAP_HANDLER: 0
; COMPUTE_PGM_RSRC2:TGID_X_EN: 1
; COMPUTE_PGM_RSRC2:TGID_Y_EN: 0
; COMPUTE_PGM_RSRC2:TGID_Z_EN: 1
; COMPUTE_PGM_RSRC2:TIDIG_COMP_CNT: 0
	.section	.text._ZL30rocblas_trsm_small_left_deviceILi12ELi12ELb1EffPKfPfEv13rocblas_fill_18rocblas_operation_17rocblas_diagonal_iiT3_T4_lilT5_lili,"axG",@progbits,_ZL30rocblas_trsm_small_left_deviceILi12ELi12ELb1EffPKfPfEv13rocblas_fill_18rocblas_operation_17rocblas_diagonal_iiT3_T4_lilT5_lili,comdat
	.globl	_ZL30rocblas_trsm_small_left_deviceILi12ELi12ELb1EffPKfPfEv13rocblas_fill_18rocblas_operation_17rocblas_diagonal_iiT3_T4_lilT5_lili ; -- Begin function _ZL30rocblas_trsm_small_left_deviceILi12ELi12ELb1EffPKfPfEv13rocblas_fill_18rocblas_operation_17rocblas_diagonal_iiT3_T4_lilT5_lili
	.p2align	8
	.type	_ZL30rocblas_trsm_small_left_deviceILi12ELi12ELb1EffPKfPfEv13rocblas_fill_18rocblas_operation_17rocblas_diagonal_iiT3_T4_lilT5_lili,@function
_ZL30rocblas_trsm_small_left_deviceILi12ELi12ELb1EffPKfPfEv13rocblas_fill_18rocblas_operation_17rocblas_diagonal_iiT3_T4_lilT5_lili: ; @_ZL30rocblas_trsm_small_left_deviceILi12ELi12ELb1EffPKfPfEv13rocblas_fill_18rocblas_operation_17rocblas_diagonal_iiT3_T4_lilT5_lili
; %bb.0:
	s_load_b32 s28, s[0:1], 0x58
	s_bfe_u32 s2, ttmp6, 0x40014
	s_lshr_b32 s4, ttmp7, 16
	s_add_co_i32 s2, s2, 1
	s_bfe_u32 s5, ttmp6, 0x40008
	s_mul_i32 s2, s4, s2
	s_getreg_b32 s3, hwreg(HW_REG_IB_STS2, 6, 4)
	s_add_co_i32 s5, s5, s2
	s_cmp_eq_u32 s3, 0
	s_mov_b32 s19, 0
	s_cselect_b32 s2, s4, s5
	s_wait_kmcnt 0x0
	s_cmp_ge_u32 s2, s28
	s_cbranch_scc1 .LBB14_57
; %bb.1:
	s_clause 0x3
	s_load_b32 s22, s[0:1], 0x28
	s_load_b96 s[16:18], s[0:1], 0x40
	s_load_b128 s[4:7], s[0:1], 0x4
	s_load_b32 s8, s[0:1], 0x60
	v_dual_mov_b32 v27, 0 :: v_dual_lshlrev_b32 v26, 2, v0
	s_load_b32 s29, s[0:1], 0x14
	v_mul_u32_u24_e32 v16, 48, v0
	s_mov_b32 s39, 0
	s_delay_alu instid0(VALU_DEP_2)
	v_dual_mov_b32 v2, v27 :: v_dual_mov_b32 v3, v27
	v_dual_mov_b32 v5, v27 :: v_dual_mov_b32 v6, v27
	;; [unrolled: 1-line block ×4, first 2 shown]
	s_get_pc_i64 s[20:21]
	s_add_nc_u64 s[20:21], s[20:21], __const._ZL30rocblas_trsm_small_left_deviceILi12ELi12ELb1EffPKfPfEv13rocblas_fill_18rocblas_operation_17rocblas_diagonal_iiT3_T4_lilT5_lili.step_sizes@rel64+4
	v_dual_mov_b32 v4, v27 :: v_dual_mov_b32 v10, v27
	s_wait_kmcnt 0x0
	s_ashr_i32 s23, s22, 31
	s_mov_b32 s24, s18
	s_cmp_eq_u64 s[22:23], 1
	s_cselect_b32 s36, -1, 0
	s_min_i32 s30, s6, 12
	s_bfe_u32 s6, ttmp6, 0x4000c
	s_add_co_i32 s33, s8, -1
	s_add_co_i32 s6, s6, 1
	s_and_b32 s8, ttmp6, 15
	s_mul_i32 s6, ttmp9, s6
	s_ashr_i32 s25, s18, 31
	s_lshl_b64 s[26:27], s[16:17], 2
	s_add_co_i32 s31, s30, -1
	s_add_co_i32 s8, s8, s6
	s_cmp_eq_u32 s3, 0
	s_load_b64 s[16:17], s[0:1], 0x50
	s_cselect_b32 s3, ttmp9, s8
	s_clause 0x1
	s_load_b128 s[8:11], s[0:1], 0x18
	s_load_b128 s[12:15], s[0:1], 0x30
	v_mad_u32 v8, s3, 12, v0
	s_wait_xcnt 0x0
	s_mul_i32 s0, s3, -12
	s_delay_alu instid0(SALU_CYCLE_1)
	s_add_co_i32 s0, s7, s0
	s_cmp_ge_u32 s3, s33
	s_cselect_b32 s1, s0, 12
	s_cmp_lg_u32 s5, 0x84
	v_cmp_gt_i32_e64 s0, s30, v0
	s_cselect_b32 s33, -1, 0
	s_cmp_lg_u32 s4, 0x6f
	v_ashrrev_i32_e32 v9, 31, v8
	s_cselect_b32 s34, -1, 0
	s_cmp_gt_u32 s30, 1
	v_cmp_gt_i32_e64 s1, s1, v0
	s_cselect_b32 s3, -1, 0
	v_mul_u64_e32 v[14:15], s[24:25], v[8:9]
	s_and_b32 s35, s30, -2
	s_and_b32 s36, s3, s36
	s_cmp_lg_u32 s30, s35
	s_wait_kmcnt 0x0
	s_add_nc_u64 s[14:15], s[14:15], s[26:27]
	s_cselect_b32 s37, -1, 0
	s_lshl_b64 s[10:11], s[10:11], 2
	v_mov_b32_e32 v8, v27
	s_add_nc_u64 s[8:9], s[8:9], s[10:11]
	v_mov_b32_e32 v9, v27
	v_add_nc_u64_e32 v[0:1], s[8:9], v[26:27]
	v_add_nc_u32_e32 v27, v26, v16
	s_lshl_b32 s38, s30, 2
	s_lshl_b64 s[4:5], s[12:13], 2
	s_lshl_b64 s[6:7], s[22:23], 2
	;; [unrolled: 1-line block ×3, first 2 shown]
	s_add_co_i32 s38, s38, -4
	v_lshl_add_u64 v[28:29], v[14:15], 2, s[14:15]
	s_branch .LBB14_5
.LBB14_2:                               ;   in Loop: Header=BB14_5 Depth=1
	s_wait_xcnt 0x0
	v_mov_b64_e32 v[24:25], v[12:13]
	v_mov_b64_e32 v[22:23], v[10:11]
	;; [unrolled: 1-line block ×6, first 2 shown]
.LBB14_3:                               ;   in Loop: Header=BB14_5 Depth=1
	s_add_co_i32 s2, s2, 0x10000
	s_delay_alu instid0(SALU_CYCLE_1) | instskip(SKIP_1) | instid1(SALU_CYCLE_1)
	s_cmp_ge_u32 s2, s28
	s_cselect_b32 s3, -1, 0
	s_or_not1_b32 s10, s3, exec_lo
.LBB14_4:                               ;   in Loop: Header=BB14_5 Depth=1
	s_wait_xcnt 0x0
	s_or_b32 exec_lo, exec_lo, s40
	v_mov_b64_e32 v[2:3], v[14:15]
	v_mov_b64_e32 v[4:5], v[16:17]
	;; [unrolled: 1-line block ×6, first 2 shown]
	s_and_b32 s3, exec_lo, s10
	s_delay_alu instid0(SALU_CYCLE_1) | instskip(NEXT) | instid1(SALU_CYCLE_1)
	s_or_b32 s39, s3, s39
	s_and_not1_b32 exec_lo, exec_lo, s39
	s_cbranch_execz .LBB14_57
.LBB14_5:                               ; =>This Loop Header: Depth=1
                                        ;     Child Loop BB14_8 Depth 2
                                        ;     Child Loop BB14_12 Depth 2
	;; [unrolled: 1-line block ×3, first 2 shown]
                                        ;       Child Loop BB14_22 Depth 3
                                        ;       Child Loop BB14_24 Depth 3
                                        ;         Child Loop BB14_25 Depth 4
                                        ;       Child Loop BB14_30 Depth 3
                                        ;         Child Loop BB14_32 Depth 4
                                        ;     Child Loop BB14_34 Depth 2
                                        ;     Child Loop BB14_39 Depth 2
                                        ;       Child Loop BB14_42 Depth 3
                                        ;         Child Loop BB14_43 Depth 4
                                        ;         Child Loop BB14_46 Depth 4
                                        ;           Child Loop BB14_47 Depth 5
                                        ;         Child Loop BB14_52 Depth 4
                                        ;           Child Loop BB14_54 Depth 5
	s_mov_b32 s3, s19
	s_and_saveexec_b32 s12, s0
	s_cbranch_execz .LBB14_16
; %bb.6:                                ;   in Loop: Header=BB14_5 Depth=1
	s_and_not1_b32 vcc_lo, exec_lo, s36
	s_mul_u64 s[10:11], s[4:5], s[2:3]
	s_cbranch_vccnz .LBB14_10
; %bb.7:                                ;   in Loop: Header=BB14_5 Depth=1
	v_add_nc_u64_e32 v[14:15], s[10:11], v[0:1]
	s_mov_b32 s13, 1
	s_mov_b32 s14, 0
	s_mov_b32 s15, s35
.LBB14_8:                               ;   Parent Loop BB14_5 Depth=1
                                        ; =>  This Inner Loop Header: Depth=2
	global_load_b64 v[16:17], v[14:15], off
	v_mad_u32 v18, s14, 48, v26
	v_mad_u32 v19, s13, 48, v26
	s_wait_xcnt 0x0
	v_add_nc_u64_e32 v[14:15], 8, v[14:15]
	s_add_co_i32 s15, s15, -2
	s_add_co_i32 s14, s14, 2
	s_add_co_i32 s13, s13, 2
	s_mov_b32 s18, s35
	s_mov_b32 s22, s37
	s_cmp_lg_u32 s15, 0
	s_wait_loadcnt 0x0
	ds_store_b32 v18, v16
	ds_store_b32 v19, v17
	s_cbranch_scc1 .LBB14_8
; %bb.9:                                ;   in Loop: Header=BB14_5 Depth=1
	s_and_b32 vcc_lo, exec_lo, s22
	s_cbranch_vccnz .LBB14_11
	s_branch .LBB14_13
.LBB14_10:                              ;   in Loop: Header=BB14_5 Depth=1
	s_mov_b32 s18, 0
	s_cbranch_execz .LBB14_13
.LBB14_11:                              ;   in Loop: Header=BB14_5 Depth=1
	s_mul_u64 s[14:15], s[6:7], s[18:19]
	v_mad_u32 v16, s18, 48, v26
	s_add_nc_u64 s[10:11], s[14:15], s[10:11]
	s_delay_alu instid0(SALU_CYCLE_1)
	v_add_nc_u64_e32 v[14:15], s[10:11], v[0:1]
	s_sub_co_i32 s10, s30, s18
.LBB14_12:                              ;   Parent Loop BB14_5 Depth=1
                                        ; =>  This Inner Loop Header: Depth=2
	global_load_b32 v17, v[14:15], off
	s_wait_xcnt 0x0
	v_add_nc_u64_e32 v[14:15], s[6:7], v[14:15]
	s_add_co_i32 s10, s10, -1
	s_delay_alu instid0(SALU_CYCLE_1)
	s_cmp_eq_u32 s10, 0
	s_wait_loadcnt 0x0
	ds_store_b32 v16, v17
	v_add_nc_u32_e32 v16, 48, v16
	s_cbranch_scc0 .LBB14_12
.LBB14_13:                              ;   in Loop: Header=BB14_5 Depth=1
	v_mov_b32_e32 v14, 1.0
	s_and_b32 vcc_lo, exec_lo, s33
	s_cbranch_vccz .LBB14_15
; %bb.14:                               ;   in Loop: Header=BB14_5 Depth=1
	ds_load_b32 v14, v27
	s_wait_dscnt 0x0
	v_div_scale_f32 v15, null, v14, v14, 1.0
	s_delay_alu instid0(VALU_DEP_1) | instskip(SKIP_1) | instid1(TRANS32_DEP_1)
	v_rcp_f32_e32 v16, v15
	v_nop
	v_fma_f32 v17, -v15, v16, 1.0
	s_delay_alu instid0(VALU_DEP_1) | instskip(SKIP_1) | instid1(VALU_DEP_1)
	v_fmac_f32_e32 v16, v17, v16
	v_div_scale_f32 v17, vcc_lo, 1.0, v14, 1.0
	v_mul_f32_e32 v18, v17, v16
	s_delay_alu instid0(VALU_DEP_1) | instskip(NEXT) | instid1(VALU_DEP_1)
	v_fma_f32 v19, -v15, v18, v17
	v_fmac_f32_e32 v18, v19, v16
	s_delay_alu instid0(VALU_DEP_1) | instskip(NEXT) | instid1(VALU_DEP_1)
	v_fma_f32 v15, -v15, v18, v17
	v_div_fmas_f32 v15, v15, v16, v18
	s_delay_alu instid0(VALU_DEP_1)
	v_div_fixup_f32 v14, v15, v14, 1.0
.LBB14_15:                              ;   in Loop: Header=BB14_5 Depth=1
	ds_store_b32 v27, v14
.LBB14_16:                              ;   in Loop: Header=BB14_5 Depth=1
	s_or_b32 exec_lo, exec_lo, s12
	s_mov_b32 s10, -1
	s_wait_dscnt 0x0
	; wave barrier
                                        ; implicit-def: $vgpr14_vgpr15_vgpr16_vgpr17_vgpr18_vgpr19_vgpr20_vgpr21_vgpr22_vgpr23_vgpr24_vgpr25
	s_and_saveexec_b32 s40, s1
	s_cbranch_execz .LBB14_4
; %bb.17:                               ;   in Loop: Header=BB14_5 Depth=1
	s_mul_u64 s[10:11], s[16:17], s[2:3]
	s_and_not1_b32 vcc_lo, exec_lo, s34
	v_lshl_add_u64 v[30:31], s[10:11], 2, v[28:29]
	s_mul_u64 s[10:11], s[8:9], s[2:3]
	s_mov_b32 s3, -1
                                        ; implicit-def: $vgpr14_vgpr15_vgpr16_vgpr17_vgpr18_vgpr19_vgpr20_vgpr21_vgpr22_vgpr23_vgpr24_vgpr25
	s_cbranch_vccnz .LBB14_37
; %bb.18:                               ;   in Loop: Header=BB14_5 Depth=1
	v_mov_b64_e32 v[24:25], v[12:13]
	v_add_nc_u64_e32 v[32:33], s[10:11], v[28:29]
	v_mov_b64_e32 v[22:23], v[10:11]
	v_mov_b64_e32 v[20:21], v[8:9]
	;; [unrolled: 1-line block ×5, first 2 shown]
	s_mov_b32 s3, 0
	s_mov_b32 s12, s31
	s_load_b32 s18, s[20:21], s3 offset:0x0 scale_offset
	s_wait_kmcnt 0x0
	s_add_co_i32 s41, s18, -1
	s_delay_alu instid0(SALU_CYCLE_1)
	s_cmp_lt_i32 s12, s41
	s_cbranch_scc1 .LBB14_34
.LBB14_19:                              ;   in Loop: Header=BB14_5 Depth=1
	s_mul_i32 s13, s12, 48
	s_max_i32 s42, s18, 1
	s_add_co_i32 s43, s38, s13
	s_mul_i32 s44, s18, 0xffffffd0
	s_mul_i32 s45, s12, 52
	;; [unrolled: 1-line block ×3, first 2 shown]
	s_branch .LBB14_21
.LBB14_20:                              ;   in Loop: Header=BB14_21 Depth=2
	s_sub_co_i32 s12, s12, s18
	s_add_co_i32 s43, s43, s44
	s_add_co_i32 s45, s45, s46
	s_cmp_lt_i32 s12, s41
	s_cbranch_scc1 .LBB14_34
.LBB14_21:                              ;   Parent Loop BB14_5 Depth=1
                                        ; =>  This Loop Header: Depth=2
                                        ;       Child Loop BB14_22 Depth 3
                                        ;       Child Loop BB14_24 Depth 3
                                        ;         Child Loop BB14_25 Depth 4
                                        ;       Child Loop BB14_30 Depth 3
                                        ;         Child Loop BB14_32 Depth 4
	s_ashr_i32 s13, s12, 31
	s_mov_b64 s[14:15], 0
	s_wait_xcnt 0x0
	v_lshl_add_u64 v[34:35], s[12:13], 2, v[32:33]
.LBB14_22:                              ;   Parent Loop BB14_5 Depth=1
                                        ;     Parent Loop BB14_21 Depth=2
                                        ; =>    This Inner Loop Header: Depth=3
	global_load_b32 v36, v[34:35], off
	s_wait_xcnt 0x0
	v_add_nc_u64_e32 v[34:35], -4, v[34:35]
	s_mov_b32 m0, s14
	s_add_nc_u64 s[14:15], s[14:15], 1
	s_delay_alu instid0(SALU_CYCLE_1) | instskip(SKIP_2) | instid1(VALU_DEP_1)
	s_cmp_eq_u32 s42, s14
	s_wait_loadcnt 0x0
	v_mul_f32_e32 v36, s29, v36
	v_movreld_b32_e32 v14, v36
	s_cbranch_scc0 .LBB14_22
; %bb.23:                               ;   in Loop: Header=BB14_21 Depth=2
	s_cmp_le_i32 s31, s12
	s_mov_b32 s24, s43
	s_mov_b32 s14, s31
	s_cbranch_scc1 .LBB14_27
.LBB14_24:                              ;   Parent Loop BB14_5 Depth=1
                                        ;     Parent Loop BB14_21 Depth=2
                                        ; =>    This Loop Header: Depth=3
                                        ;         Child Loop BB14_25 Depth 4
	s_ashr_i32 s15, s14, 31
	s_mov_b64 s[22:23], 0
	v_lshl_add_u64 v[34:35], s[14:15], 2, v[30:31]
	s_mov_b32 s15, s24
	global_load_b32 v34, v[34:35], off
.LBB14_25:                              ;   Parent Loop BB14_5 Depth=1
                                        ;     Parent Loop BB14_21 Depth=2
                                        ;       Parent Loop BB14_24 Depth=3
                                        ; =>      This Inner Loop Header: Depth=4
	s_wait_xcnt 0x0
	v_mov_b32_e32 v35, s15
	s_mov_b32 m0, s22
	s_add_nc_u64 s[22:23], s[22:23], 1
	v_movrels_b32_e32 v36, v14
	s_sub_co_i32 s15, s15, 48
	ds_load_b32 v35, v35
	s_cmp_eq_u32 s42, s22
	s_wait_loadcnt_dscnt 0x0
	v_fma_f32 v35, -v34, v35, v36
	s_delay_alu instid0(VALU_DEP_1)
	v_movreld_b32_e32 v14, v35
	s_cbranch_scc0 .LBB14_25
; %bb.26:                               ;   in Loop: Header=BB14_24 Depth=3
	s_add_co_i32 s14, s14, -1
	s_add_co_i32 s24, s24, -4
	s_cmp_le_i32 s14, s12
	s_cbranch_scc0 .LBB14_24
.LBB14_27:                              ;   in Loop: Header=BB14_21 Depth=2
	s_mov_b64 s[14:15], 0
	s_mov_b32 s47, s45
	s_branch .LBB14_30
.LBB14_28:                              ;   in Loop: Header=BB14_30 Depth=3
	s_mov_b32 s22, s12
	s_mov_b64 s[26:27], 0
	s_mov_b64 s[24:25], s[12:13]
.LBB14_29:                              ;   in Loop: Header=BB14_30 Depth=3
	s_mul_i32 s22, s22, 52
	s_mov_b32 m0, s26
	s_wait_xcnt 0x0
	v_mov_b32_e32 v34, s22
	v_movrels_b32_e32 v35, v14
	s_add_nc_u64 s[14:15], s[14:15], 1
	s_sub_co_i32 s47, s47, 48
	s_cmp_eq_u32 s14, s42
	ds_load_b32 v34, v34
	s_wait_dscnt 0x0
	v_mul_f32_e32 v36, v35, v34
	v_lshl_add_u64 v[34:35], s[24:25], 2, v[30:31]
	s_delay_alu instid0(VALU_DEP_2)
	v_movreld_b32_e32 v14, v36
	global_store_b32 v[34:35], v36, off
	s_cbranch_scc1 .LBB14_20
.LBB14_30:                              ;   Parent Loop BB14_5 Depth=1
                                        ;     Parent Loop BB14_21 Depth=2
                                        ; =>    This Loop Header: Depth=3
                                        ;         Child Loop BB14_32 Depth 4
	s_cmp_eq_u32 s14, 0
	s_cbranch_scc1 .LBB14_28
; %bb.31:                               ;   in Loop: Header=BB14_30 Depth=3
	s_mov_b64 s[22:23], 0
	s_mov_b32 s24, s47
.LBB14_32:                              ;   Parent Loop BB14_5 Depth=1
                                        ;     Parent Loop BB14_21 Depth=2
                                        ;       Parent Loop BB14_30 Depth=3
                                        ; =>      This Inner Loop Header: Depth=4
	s_wait_xcnt 0x0
	v_mov_b32_e32 v34, s24
	s_mov_b32 m0, s22
	s_add_nc_u64 s[22:23], s[22:23], 1
	v_movrels_b32_e32 v35, v14
	s_mov_b32 m0, s14
	ds_load_b32 v34, v34
	v_movrels_b32_e32 v36, v14
	s_add_co_i32 s24, s24, -4
	s_cmp_eq_u32 s14, s22
	s_wait_dscnt 0x0
	s_delay_alu instid0(VALU_DEP_1) | instskip(NEXT) | instid1(VALU_DEP_1)
	v_fma_f32 v34, -v35, v34, v36
	v_movreld_b32_e32 v14, v34
	s_cbranch_scc0 .LBB14_32
; %bb.33:                               ;   in Loop: Header=BB14_30 Depth=3
	s_sub_co_i32 s22, s12, s14
	s_mov_b64 s[26:27], s[14:15]
	s_ashr_i32 s23, s22, 31
	s_delay_alu instid0(SALU_CYCLE_1)
	s_mov_b64 s[24:25], s[22:23]
	s_branch .LBB14_29
.LBB14_34:                              ;   Parent Loop BB14_5 Depth=1
                                        ; =>  This Inner Loop Header: Depth=2
	s_cmp_gt_i32 s12, -1
	s_cselect_b32 s14, -1, 0
	s_add_co_i32 s13, s3, 1
	s_cmp_lt_u32 s3, 2
	s_wait_xcnt 0x0
	s_cselect_b32 s3, -1, 0
	s_delay_alu instid0(SALU_CYCLE_1) | instskip(NEXT) | instid1(SALU_CYCLE_1)
	s_and_b32 s3, s14, s3
	s_and_b32 vcc_lo, exec_lo, s3
	s_cbranch_vccz .LBB14_36
; %bb.35:                               ;   in Loop: Header=BB14_34 Depth=2
	s_mov_b32 s3, s13
	s_load_b32 s18, s[20:21], s3 offset:0x0 scale_offset
	s_wait_kmcnt 0x0
	s_add_co_i32 s41, s18, -1
	s_delay_alu instid0(SALU_CYCLE_1)
	s_cmp_lt_i32 s12, s41
	s_cbranch_scc0 .LBB14_19
	s_branch .LBB14_34
.LBB14_36:                              ;   in Loop: Header=BB14_5 Depth=1
	s_mov_b32 s3, 0
.LBB14_37:                              ;   in Loop: Header=BB14_5 Depth=1
	s_delay_alu instid0(SALU_CYCLE_1)
	s_and_b32 vcc_lo, exec_lo, s3
	s_cbranch_vccz .LBB14_3
; %bb.38:                               ;   in Loop: Header=BB14_5 Depth=1
	v_add_nc_u64_e32 v[14:15], s[10:11], v[28:29]
	s_mov_b32 s10, 0
	s_mov_b32 s3, 0
.LBB14_39:                              ;   Parent Loop BB14_5 Depth=1
                                        ; =>  This Loop Header: Depth=2
                                        ;       Child Loop BB14_42 Depth 3
                                        ;         Child Loop BB14_43 Depth 4
                                        ;         Child Loop BB14_46 Depth 4
                                        ;           Child Loop BB14_47 Depth 5
                                        ;         Child Loop BB14_52 Depth 4
                                        ;           Child Loop BB14_54 Depth 5
	s_load_b32 s12, s[20:21], s3 offset:0x0 scale_offset
	s_wait_kmcnt 0x0
	s_add_co_i32 s26, s12, -1
	s_delay_alu instid0(SALU_CYCLE_1) | instskip(NEXT) | instid1(SALU_CYCLE_1)
	s_add_co_i32 s11, s26, s10
	s_cmp_ge_i32 s11, s30
	s_cbranch_scc1 .LBB14_55
; %bb.40:                               ;   in Loop: Header=BB14_39 Depth=2
	s_ashr_i32 s11, s10, 31
	s_ashr_i32 s13, s12, 31
	v_lshl_add_u64 v[16:17], s[10:11], 2, v[14:15]
	s_max_i32 s27, s12, 1
	s_lshl_b64 s[14:15], s[12:13], 2
	s_lshl_b32 s11, s10, 2
	s_lshl_b32 s13, s12, 2
	s_mul_i32 s41, s10, 52
	s_mul_i32 s42, s12, 52
	s_branch .LBB14_42
.LBB14_41:                              ;   in Loop: Header=BB14_42 Depth=3
	v_add_nc_u64_e32 v[16:17], s[14:15], v[16:17]
	s_add_co_i32 s10, s10, s12
	s_add_co_i32 s11, s11, s13
	;; [unrolled: 1-line block ×4, first 2 shown]
	s_cmp_ge_i32 s18, s30
	s_cbranch_scc1 .LBB14_55
.LBB14_42:                              ;   Parent Loop BB14_5 Depth=1
                                        ;     Parent Loop BB14_39 Depth=2
                                        ; =>    This Loop Header: Depth=3
                                        ;         Child Loop BB14_43 Depth 4
                                        ;         Child Loop BB14_46 Depth 4
                                        ;           Child Loop BB14_47 Depth 5
                                        ;         Child Loop BB14_52 Depth 4
                                        ;           Child Loop BB14_54 Depth 5
	s_wait_xcnt 0x0
	v_mov_b64_e32 v[18:19], v[16:17]
	s_mov_b64 s[22:23], 0
.LBB14_43:                              ;   Parent Loop BB14_5 Depth=1
                                        ;     Parent Loop BB14_39 Depth=2
                                        ;       Parent Loop BB14_42 Depth=3
                                        ; =>      This Inner Loop Header: Depth=4
	global_load_b32 v20, v[18:19], off
	s_wait_xcnt 0x0
	v_add_nc_u64_e32 v[18:19], 4, v[18:19]
	s_mov_b32 m0, s22
	s_add_nc_u64 s[22:23], s[22:23], 1
	s_delay_alu instid0(SALU_CYCLE_1) | instskip(SKIP_2) | instid1(VALU_DEP_1)
	s_cmp_eq_u32 s27, s22
	s_wait_loadcnt 0x0
	v_mul_f32_e32 v20, s29, v20
	v_movreld_b32_e32 v2, v20
	s_cbranch_scc0 .LBB14_43
; %bb.44:                               ;   in Loop: Header=BB14_42 Depth=3
	s_cmp_lt_i32 s10, 1
	s_cbranch_scc1 .LBB14_49
; %bb.45:                               ;   in Loop: Header=BB14_42 Depth=3
	s_mov_b32 s18, 0
	s_mov_b32 s24, s11
.LBB14_46:                              ;   Parent Loop BB14_5 Depth=1
                                        ;     Parent Loop BB14_39 Depth=2
                                        ;       Parent Loop BB14_42 Depth=3
                                        ; =>      This Loop Header: Depth=4
                                        ;           Child Loop BB14_47 Depth 5
	v_lshl_add_u64 v[18:19], s[18:19], 2, v[30:31]
	s_mov_b64 s[22:23], 0
	s_mov_b32 s25, s24
	global_load_b32 v18, v[18:19], off
.LBB14_47:                              ;   Parent Loop BB14_5 Depth=1
                                        ;     Parent Loop BB14_39 Depth=2
                                        ;       Parent Loop BB14_42 Depth=3
                                        ;         Parent Loop BB14_46 Depth=4
                                        ; =>        This Inner Loop Header: Depth=5
	s_wait_xcnt 0x0
	v_mov_b32_e32 v19, s25
	s_mov_b32 m0, s22
	s_add_nc_u64 s[22:23], s[22:23], 1
	v_movrels_b32_e32 v20, v2
	s_add_co_i32 s25, s25, 4
	ds_load_b32 v19, v19
	s_cmp_eq_u32 s27, s22
	s_wait_loadcnt_dscnt 0x0
	v_fma_f32 v19, -v18, v19, v20
	s_delay_alu instid0(VALU_DEP_1)
	v_movreld_b32_e32 v2, v19
	s_cbranch_scc0 .LBB14_47
; %bb.48:                               ;   in Loop: Header=BB14_46 Depth=4
	s_add_co_i32 s18, s18, 1
	s_add_co_i32 s24, s24, 48
	s_cmp_eq_u32 s18, s10
	s_cbranch_scc0 .LBB14_46
.LBB14_49:                              ;   in Loop: Header=BB14_42 Depth=3
	s_mov_b64 s[22:23], 0
	s_mov_b32 s18, s41
	s_branch .LBB14_52
.LBB14_50:                              ;   in Loop: Header=BB14_52 Depth=4
	s_mov_b64 s[24:25], s[22:23]
.LBB14_51:                              ;   in Loop: Header=BB14_52 Depth=4
	s_delay_alu instid0(SALU_CYCLE_1)
	s_mov_b32 m0, s24
	s_add_co_i32 s24, s22, s10
	s_wait_xcnt 0x0
	v_movrels_b32_e32 v19, v2
	s_mul_i32 s25, s24, 52
	s_add_nc_u64 s[22:23], s[22:23], 1
	v_mov_b32_e32 v18, s25
	s_ashr_i32 s25, s24, 31
	s_add_co_i32 s18, s18, 4
	s_cmp_eq_u32 s22, s27
	ds_load_b32 v18, v18
	s_wait_dscnt 0x0
	v_mul_f32_e32 v20, v19, v18
	v_lshl_add_u64 v[18:19], s[24:25], 2, v[30:31]
	s_delay_alu instid0(VALU_DEP_2)
	v_movreld_b32_e32 v2, v20
	global_store_b32 v[18:19], v20, off
	s_cbranch_scc1 .LBB14_41
.LBB14_52:                              ;   Parent Loop BB14_5 Depth=1
                                        ;     Parent Loop BB14_39 Depth=2
                                        ;       Parent Loop BB14_42 Depth=3
                                        ; =>      This Loop Header: Depth=4
                                        ;           Child Loop BB14_54 Depth 5
	s_mov_b64 s[24:25], 0
	s_cmp_eq_u32 s22, 0
	s_cbranch_scc1 .LBB14_51
; %bb.53:                               ;   in Loop: Header=BB14_52 Depth=4
	s_mov_b32 s43, s18
.LBB14_54:                              ;   Parent Loop BB14_5 Depth=1
                                        ;     Parent Loop BB14_39 Depth=2
                                        ;       Parent Loop BB14_42 Depth=3
                                        ;         Parent Loop BB14_52 Depth=4
                                        ; =>        This Inner Loop Header: Depth=5
	s_wait_xcnt 0x0
	v_mov_b32_e32 v18, s43
	s_mov_b32 m0, s24
	s_add_nc_u64 s[24:25], s[24:25], 1
	v_movrels_b32_e32 v19, v2
	s_mov_b32 m0, s22
	ds_load_b32 v18, v18
	v_movrels_b32_e32 v20, v2
	s_add_co_i32 s43, s43, 48
	s_cmp_eq_u32 s22, s24
	s_wait_dscnt 0x0
	s_delay_alu instid0(VALU_DEP_1) | instskip(NEXT) | instid1(VALU_DEP_1)
	v_fma_f32 v18, -v19, v18, v20
	v_movreld_b32_e32 v2, v18
	s_cbranch_scc0 .LBB14_54
	s_branch .LBB14_50
.LBB14_55:                              ;   in Loop: Header=BB14_39 Depth=2
	s_cmp_lt_i32 s10, s30
	s_cselect_b32 s12, -1, 0
	s_add_co_i32 s11, s3, 1
	s_cmp_lt_u32 s3, 2
	s_wait_xcnt 0x0
	s_cselect_b32 s3, -1, 0
	s_delay_alu instid0(SALU_CYCLE_1) | instskip(NEXT) | instid1(SALU_CYCLE_1)
	s_and_b32 s3, s12, s3
	s_and_not1_b32 vcc_lo, exec_lo, s3
	s_cbranch_vccnz .LBB14_2
; %bb.56:                               ;   in Loop: Header=BB14_39 Depth=2
	s_mov_b32 s3, s11
	s_branch .LBB14_39
.LBB14_57:
	s_endpgm
	.section	.rodata,"a",@progbits
	.p2align	6, 0x0
	.amdhsa_kernel _ZL30rocblas_trsm_small_left_deviceILi12ELi12ELb1EffPKfPfEv13rocblas_fill_18rocblas_operation_17rocblas_diagonal_iiT3_T4_lilT5_lili
		.amdhsa_group_segment_fixed_size 576
		.amdhsa_private_segment_fixed_size 0
		.amdhsa_kernarg_size 352
		.amdhsa_user_sgpr_count 2
		.amdhsa_user_sgpr_dispatch_ptr 0
		.amdhsa_user_sgpr_queue_ptr 0
		.amdhsa_user_sgpr_kernarg_segment_ptr 1
		.amdhsa_user_sgpr_dispatch_id 0
		.amdhsa_user_sgpr_kernarg_preload_length 0
		.amdhsa_user_sgpr_kernarg_preload_offset 0
		.amdhsa_user_sgpr_private_segment_size 0
		.amdhsa_wavefront_size32 1
		.amdhsa_uses_dynamic_stack 0
		.amdhsa_enable_private_segment 0
		.amdhsa_system_sgpr_workgroup_id_x 1
		.amdhsa_system_sgpr_workgroup_id_y 0
		.amdhsa_system_sgpr_workgroup_id_z 1
		.amdhsa_system_sgpr_workgroup_info 0
		.amdhsa_system_vgpr_workitem_id 0
		.amdhsa_next_free_vgpr 37
		.amdhsa_next_free_sgpr 48
		.amdhsa_named_barrier_count 0
		.amdhsa_reserve_vcc 1
		.amdhsa_float_round_mode_32 0
		.amdhsa_float_round_mode_16_64 0
		.amdhsa_float_denorm_mode_32 3
		.amdhsa_float_denorm_mode_16_64 3
		.amdhsa_fp16_overflow 0
		.amdhsa_memory_ordered 1
		.amdhsa_forward_progress 1
		.amdhsa_inst_pref_size 17
		.amdhsa_round_robin_scheduling 0
		.amdhsa_exception_fp_ieee_invalid_op 0
		.amdhsa_exception_fp_denorm_src 0
		.amdhsa_exception_fp_ieee_div_zero 0
		.amdhsa_exception_fp_ieee_overflow 0
		.amdhsa_exception_fp_ieee_underflow 0
		.amdhsa_exception_fp_ieee_inexact 0
		.amdhsa_exception_int_div_zero 0
	.end_amdhsa_kernel
	.section	.text._ZL30rocblas_trsm_small_left_deviceILi12ELi12ELb1EffPKfPfEv13rocblas_fill_18rocblas_operation_17rocblas_diagonal_iiT3_T4_lilT5_lili,"axG",@progbits,_ZL30rocblas_trsm_small_left_deviceILi12ELi12ELb1EffPKfPfEv13rocblas_fill_18rocblas_operation_17rocblas_diagonal_iiT3_T4_lilT5_lili,comdat
.Lfunc_end14:
	.size	_ZL30rocblas_trsm_small_left_deviceILi12ELi12ELb1EffPKfPfEv13rocblas_fill_18rocblas_operation_17rocblas_diagonal_iiT3_T4_lilT5_lili, .Lfunc_end14-_ZL30rocblas_trsm_small_left_deviceILi12ELi12ELb1EffPKfPfEv13rocblas_fill_18rocblas_operation_17rocblas_diagonal_iiT3_T4_lilT5_lili
                                        ; -- End function
	.set _ZL30rocblas_trsm_small_left_deviceILi12ELi12ELb1EffPKfPfEv13rocblas_fill_18rocblas_operation_17rocblas_diagonal_iiT3_T4_lilT5_lili.num_vgpr, 37
	.set _ZL30rocblas_trsm_small_left_deviceILi12ELi12ELb1EffPKfPfEv13rocblas_fill_18rocblas_operation_17rocblas_diagonal_iiT3_T4_lilT5_lili.num_agpr, 0
	.set _ZL30rocblas_trsm_small_left_deviceILi12ELi12ELb1EffPKfPfEv13rocblas_fill_18rocblas_operation_17rocblas_diagonal_iiT3_T4_lilT5_lili.numbered_sgpr, 48
	.set _ZL30rocblas_trsm_small_left_deviceILi12ELi12ELb1EffPKfPfEv13rocblas_fill_18rocblas_operation_17rocblas_diagonal_iiT3_T4_lilT5_lili.num_named_barrier, 0
	.set _ZL30rocblas_trsm_small_left_deviceILi12ELi12ELb1EffPKfPfEv13rocblas_fill_18rocblas_operation_17rocblas_diagonal_iiT3_T4_lilT5_lili.private_seg_size, 0
	.set _ZL30rocblas_trsm_small_left_deviceILi12ELi12ELb1EffPKfPfEv13rocblas_fill_18rocblas_operation_17rocblas_diagonal_iiT3_T4_lilT5_lili.uses_vcc, 1
	.set _ZL30rocblas_trsm_small_left_deviceILi12ELi12ELb1EffPKfPfEv13rocblas_fill_18rocblas_operation_17rocblas_diagonal_iiT3_T4_lilT5_lili.uses_flat_scratch, 0
	.set _ZL30rocblas_trsm_small_left_deviceILi12ELi12ELb1EffPKfPfEv13rocblas_fill_18rocblas_operation_17rocblas_diagonal_iiT3_T4_lilT5_lili.has_dyn_sized_stack, 0
	.set _ZL30rocblas_trsm_small_left_deviceILi12ELi12ELb1EffPKfPfEv13rocblas_fill_18rocblas_operation_17rocblas_diagonal_iiT3_T4_lilT5_lili.has_recursion, 0
	.set _ZL30rocblas_trsm_small_left_deviceILi12ELi12ELb1EffPKfPfEv13rocblas_fill_18rocblas_operation_17rocblas_diagonal_iiT3_T4_lilT5_lili.has_indirect_call, 0
	.section	.AMDGPU.csdata,"",@progbits
; Kernel info:
; codeLenInByte = 2136
; TotalNumSgprs: 50
; NumVgprs: 37
; ScratchSize: 0
; MemoryBound: 0
; FloatMode: 240
; IeeeMode: 1
; LDSByteSize: 576 bytes/workgroup (compile time only)
; SGPRBlocks: 0
; VGPRBlocks: 2
; NumSGPRsForWavesPerEU: 50
; NumVGPRsForWavesPerEU: 37
; NamedBarCnt: 0
; Occupancy: 16
; WaveLimiterHint : 0
; COMPUTE_PGM_RSRC2:SCRATCH_EN: 0
; COMPUTE_PGM_RSRC2:USER_SGPR: 2
; COMPUTE_PGM_RSRC2:TRAP_HANDLER: 0
; COMPUTE_PGM_RSRC2:TGID_X_EN: 1
; COMPUTE_PGM_RSRC2:TGID_Y_EN: 0
; COMPUTE_PGM_RSRC2:TGID_Z_EN: 1
; COMPUTE_PGM_RSRC2:TIDIG_COMP_CNT: 0
	.section	.text._ZL31rocblas_trsm_small_right_deviceIffPKfPfLi12EEv13rocblas_fill_18rocblas_operation_17rocblas_diagonal_iiT0_T1_lilT2_lili,"axG",@progbits,_ZL31rocblas_trsm_small_right_deviceIffPKfPfLi12EEv13rocblas_fill_18rocblas_operation_17rocblas_diagonal_iiT0_T1_lilT2_lili,comdat
	.globl	_ZL31rocblas_trsm_small_right_deviceIffPKfPfLi12EEv13rocblas_fill_18rocblas_operation_17rocblas_diagonal_iiT0_T1_lilT2_lili ; -- Begin function _ZL31rocblas_trsm_small_right_deviceIffPKfPfLi12EEv13rocblas_fill_18rocblas_operation_17rocblas_diagonal_iiT0_T1_lilT2_lili
	.p2align	8
	.type	_ZL31rocblas_trsm_small_right_deviceIffPKfPfLi12EEv13rocblas_fill_18rocblas_operation_17rocblas_diagonal_iiT0_T1_lilT2_lili,@function
_ZL31rocblas_trsm_small_right_deviceIffPKfPfLi12EEv13rocblas_fill_18rocblas_operation_17rocblas_diagonal_iiT0_T1_lilT2_lili: ; @_ZL31rocblas_trsm_small_right_deviceIffPKfPfLi12EEv13rocblas_fill_18rocblas_operation_17rocblas_diagonal_iiT0_T1_lilT2_lili
; %bb.0:
	s_load_b32 s28, s[0:1], 0x58
	s_bfe_u32 s2, ttmp6, 0x40014
	s_lshr_b32 s3, ttmp7, 16
	s_add_co_i32 s2, s2, 1
	s_bfe_u32 s4, ttmp6, 0x40008
	s_mul_i32 s2, s3, s2
	s_getreg_b32 s19, hwreg(HW_REG_IB_STS2, 6, 4)
	s_add_co_i32 s4, s4, s2
	s_cmp_eq_u32 s19, 0
	s_cselect_b32 s2, s3, s4
	s_mov_b32 s3, 0
	s_wait_kmcnt 0x0
	s_cmp_ge_u32 s2, s28
	s_cbranch_scc1 .LBB15_97
; %bb.1:
	s_clause 0x6
	s_load_b32 s22, s[0:1], 0x28
	s_load_b96 s[16:18], s[0:1], 0x40
	s_load_b128 s[12:15], s[0:1], 0x0
	s_load_b64 s[20:21], s[0:1], 0x10
	s_load_b32 s26, s[0:1], 0x60
	s_load_b128 s[4:7], s[0:1], 0x18
	s_load_b128 s[8:11], s[0:1], 0x30
	v_dual_mov_b32 v3, 0 :: v_dual_lshlrev_b32 v2, 2, v0
	v_mul_u32_u24_e32 v6, 48, v0
	v_mov_b32_e32 v15, 1.0
	s_delay_alu instid0(VALU_DEP_3)
	v_or_b32_e32 v12, 0x240, v2
	s_wait_kmcnt 0x0
	s_ashr_i32 s23, s22, 31
	s_mov_b32 s24, s18
	s_cmp_eq_u64 s[22:23], 1
	s_cselect_b32 s37, -1, 0
	s_ashr_i32 s25, s18, 31
	s_delay_alu instid0(SALU_CYCLE_1)
	s_cmp_eq_u64 s[24:25], 1
	s_cselect_b32 s40, -1, 0
	s_cmp_lg_u32 s12, 0x7a
	s_cselect_b32 s31, -1, 0
	s_bfe_u32 s18, ttmp6, 0x4000c
	s_min_i32 s29, s20, 12
	s_add_co_i32 s18, s18, 1
	s_add_co_i32 s27, s26, -1
	s_and_b32 s26, ttmp6, 15
	s_mul_i32 s18, ttmp9, s18
	s_add_co_i32 s30, s29, -1
	s_add_co_i32 s26, s26, s18
	s_cmp_eq_u32 s19, 0
	s_load_b64 s[18:19], s[0:1], 0x50
	s_cselect_b32 s26, ttmp9, s26
	s_mul_i32 s46, s29, 48
	s_wait_xcnt 0x0
	s_mul_i32 s0, s26, -12
	v_add3_u32 v14, s46, v2, 0x210
	s_add_co_i32 s0, s15, s0
	s_cmp_ge_u32 s26, s27
	s_mul_i32 s41, s29, 52
	s_cselect_b32 s0, s0, 12
	s_ashr_i32 s27, s26, 31
	s_cmp_eq_u32 s14, 0x84
	v_cmp_gt_i32_e32 vcc_lo, s0, v0
	s_cselect_b32 s1, -1, 0
	s_cmp_gt_i32 s20, 0
	s_mul_u64 s[42:43], s[26:27], 48
	s_cselect_b32 s35, -1, 0
	s_cmp_lg_u32 s13, 0x6f
	s_mov_b32 s14, s21
	s_cselect_b32 s13, -1, 0
	s_cmp_lg_u32 s12, 0x79
	s_mov_b32 s15, s21
	s_cselect_b32 s0, -1, 0
	s_or_b32 s31, s31, s13
	s_or_b32 s33, s0, s13
	s_cmp_gt_i32 s20, 3
	v_cndmask_b32_e64 v13, 0, 1, s0
	s_cselect_b32 s34, -1, 0
	s_and_b32 s35, vcc_lo, s35
	s_cmp_gt_u32 s29, 1
	v_cmp_gt_i32_e64 s0, s29, v0
	s_cselect_b32 s12, -1, 0
	s_and_b32 s36, s29, -2
	s_and_b32 s37, s12, s37
	s_cmp_lg_u32 s29, s36
	s_cselect_b32 s38, -1, 0
	s_cmp_gt_u32 s20, 1
	s_cselect_b32 s12, -1, 0
	s_and_b32 s39, s20, 0x7ffffffe
	s_and_b32 s40, s12, s40
	s_cmp_lg_u32 s20, s39
	s_cselect_b32 s26, -1, 0
	s_lshl_b64 s[44:45], s[6:7], 2
	s_lshl_b64 s[6:7], s[8:9], 2
	;; [unrolled: 1-line block ×4, first 2 shown]
	s_add_nc_u64 s[4:5], s[4:5], s[44:45]
	s_add_nc_u64 s[22:23], s[42:43], s[22:23]
	v_add_nc_u64_e32 v[0:1], s[4:5], v[2:3]
	s_add_nc_u64 s[10:11], s[10:11], s[22:23]
	s_lshl_b32 s4, s29, 2
	v_add_nc_u64_e32 v[4:5], s[10:11], v[2:3]
	v_add_nc_u32_e32 v3, v2, v6
	s_wait_kmcnt 0x0
	s_lshl_b64 s[12:13], s[18:19], 2
	s_lshl_b64 s[16:17], s[24:25], 2
	s_sub_co_i32 s18, s41, 64
	s_sub_co_i32 s19, s46, 48
	;; [unrolled: 1-line block ×3, first 2 shown]
	s_add_co_i32 s23, s41, 0xffffff3c
	s_add_co_i32 s24, s4, -4
	s_sub_co_i32 s25, s4, 52
	s_branch .LBB15_3
.LBB15_2:                               ;   in Loop: Header=BB15_3 Depth=1
	s_or_b32 exec_lo, exec_lo, s27
	s_add_co_i32 s2, s2, 0x10000
	s_delay_alu instid0(SALU_CYCLE_1)
	s_cmp_lt_u32 s2, s28
	s_cbranch_scc0 .LBB15_97
.LBB15_3:                               ; =>This Loop Header: Depth=1
                                        ;     Child Loop BB15_6 Depth 2
                                        ;     Child Loop BB15_10 Depth 2
                                        ;     Child Loop BB15_16 Depth 2
                                        ;     Child Loop BB15_20 Depth 2
                                        ;     Child Loop BB15_26 Depth 2
                                        ;       Child Loop BB15_27 Depth 3
                                        ;     Child Loop BB15_33 Depth 2
                                        ;       Child Loop BB15_34 Depth 3
                                        ;     Child Loop BB15_38 Depth 2
	;; [unrolled: 2-line block ×3, first 2 shown]
                                        ;     Child Loop BB15_52 Depth 2
                                        ;       Child Loop BB15_53 Depth 3
                                        ;       Child Loop BB15_55 Depth 3
                                        ;     Child Loop BB15_59 Depth 2
                                        ;       Child Loop BB15_60 Depth 3
                                        ;     Child Loop BB15_67 Depth 2
                                        ;     Child Loop BB15_72 Depth 2
                                        ;       Child Loop BB15_73 Depth 3
                                        ;       Child Loop BB15_75 Depth 3
                                        ;     Child Loop BB15_80 Depth 2
                                        ;       Child Loop BB15_81 Depth 3
                                        ;     Child Loop BB15_87 Depth 2
	;; [unrolled: 2-line block ×3, first 2 shown]
                                        ;     Child Loop BB15_96 Depth 2
	s_and_saveexec_b32 s27, s0
	s_cbranch_execz .LBB15_13
; %bb.4:                                ;   in Loop: Header=BB15_3 Depth=1
	s_and_not1_b32 vcc_lo, exec_lo, s37
	s_mul_u64 s[4:5], s[6:7], s[2:3]
	s_cbranch_vccnz .LBB15_8
; %bb.5:                                ;   in Loop: Header=BB15_3 Depth=1
	v_add_nc_u64_e32 v[6:7], s[4:5], v[0:1]
	s_mov_b32 s11, 1
	s_mov_b32 s41, 0
	;; [unrolled: 1-line block ×3, first 2 shown]
.LBB15_6:                               ;   Parent Loop BB15_3 Depth=1
                                        ; =>  This Inner Loop Header: Depth=2
	global_load_b64 v[8:9], v[6:7], off
	v_mad_u32 v10, s41, 48, v2
	v_mad_u32 v11, s11, 48, v2
	s_wait_xcnt 0x0
	v_add_nc_u64_e32 v[6:7], 8, v[6:7]
	s_add_co_i32 s42, s42, -2
	s_add_co_i32 s41, s41, 2
	s_add_co_i32 s11, s11, 2
	s_mov_b32 s10, s36
	s_mov_b32 s43, s38
	s_cmp_lg_u32 s42, 0
	s_wait_loadcnt 0x0
	ds_store_b32 v10, v8
	ds_store_b32 v11, v9
	s_cbranch_scc1 .LBB15_6
; %bb.7:                                ;   in Loop: Header=BB15_3 Depth=1
	s_and_b32 vcc_lo, exec_lo, s43
	s_cbranch_vccnz .LBB15_9
	s_branch .LBB15_11
.LBB15_8:                               ;   in Loop: Header=BB15_3 Depth=1
	s_mov_b32 s10, 0
	s_cbranch_execz .LBB15_11
.LBB15_9:                               ;   in Loop: Header=BB15_3 Depth=1
	s_mov_b32 s11, s3
	v_mad_u32 v8, s10, 48, v2
	s_mul_u64 s[42:43], s[8:9], s[10:11]
	s_delay_alu instid0(SALU_CYCLE_1) | instskip(NEXT) | instid1(SALU_CYCLE_1)
	s_add_nc_u64 s[4:5], s[42:43], s[4:5]
	v_add_nc_u64_e32 v[6:7], s[4:5], v[0:1]
	s_sub_co_i32 s4, s29, s10
.LBB15_10:                              ;   Parent Loop BB15_3 Depth=1
                                        ; =>  This Inner Loop Header: Depth=2
	global_load_b32 v9, v[6:7], off
	s_wait_xcnt 0x0
	v_add_nc_u64_e32 v[6:7], s[8:9], v[6:7]
	s_add_co_i32 s4, s4, -1
	s_delay_alu instid0(SALU_CYCLE_1)
	s_cmp_eq_u32 s4, 0
	s_wait_loadcnt 0x0
	ds_store_b32 v8, v9
	v_add_nc_u32_e32 v8, 48, v8
	s_cbranch_scc0 .LBB15_10
.LBB15_11:                              ;   in Loop: Header=BB15_3 Depth=1
	s_and_b32 vcc_lo, exec_lo, s1
	s_cbranch_vccz .LBB15_13
; %bb.12:                               ;   in Loop: Header=BB15_3 Depth=1
	ds_store_b32 v3, v15
.LBB15_13:                              ;   in Loop: Header=BB15_3 Depth=1
	s_or_b32 exec_lo, exec_lo, s27
	s_mul_u64 s[4:5], s[12:13], s[2:3]
	s_delay_alu instid0(SALU_CYCLE_1)
	v_add_nc_u64_e32 v[6:7], s[4:5], v[4:5]
	s_and_saveexec_b32 s27, s35
	s_cbranch_execz .LBB15_21
; %bb.14:                               ;   in Loop: Header=BB15_3 Depth=1
	s_and_not1_b32 vcc_lo, exec_lo, s40
	s_cbranch_vccnz .LBB15_18
; %bb.15:                               ;   in Loop: Header=BB15_3 Depth=1
	s_delay_alu instid0(VALU_DEP_1)
	v_mov_b64_e32 v[8:9], v[6:7]
	s_mov_b32 s11, 1
	s_mov_b32 s41, 0
	;; [unrolled: 1-line block ×3, first 2 shown]
.LBB15_16:                              ;   Parent Loop BB15_3 Depth=1
                                        ; =>  This Inner Loop Header: Depth=2
	global_load_b64 v[10:11], v[8:9], off
	v_mov_b64_e32 v[16:17], s[14:15]
	v_mad_u32 v18, s41, 48, v12
	v_mad_u32 v19, s11, 48, v12
	s_wait_xcnt 0x0
	v_add_nc_u64_e32 v[8:9], 8, v[8:9]
	s_add_co_i32 s42, s42, -2
	s_add_co_i32 s41, s41, 2
	s_add_co_i32 s11, s11, 2
	s_mov_b32 s10, s39
	s_mov_b32 s43, s26
	s_cmp_lg_u32 s42, 0
	s_wait_loadcnt 0x0
	v_pk_mul_f32 v[10:11], v[16:17], v[10:11]
	ds_store_b32 v18, v10
	ds_store_b32 v19, v11
	s_cbranch_scc1 .LBB15_16
; %bb.17:                               ;   in Loop: Header=BB15_3 Depth=1
	s_and_b32 vcc_lo, exec_lo, s43
	s_cbranch_vccnz .LBB15_19
	s_branch .LBB15_21
.LBB15_18:                              ;   in Loop: Header=BB15_3 Depth=1
	s_mov_b32 s10, 0
	s_cbranch_execz .LBB15_21
.LBB15_19:                              ;   in Loop: Header=BB15_3 Depth=1
	s_mov_b32 s11, s3
	v_mad_u32 v10, s10, 48, v12
	s_mul_u64 s[42:43], s[16:17], s[10:11]
	s_sub_co_i32 s10, s20, s10
	s_add_nc_u64 s[42:43], s[42:43], s[4:5]
	s_delay_alu instid0(SALU_CYCLE_1)
	v_add_nc_u64_e32 v[8:9], s[42:43], v[4:5]
.LBB15_20:                              ;   Parent Loop BB15_3 Depth=1
                                        ; =>  This Inner Loop Header: Depth=2
	global_load_b32 v11, v[8:9], off
	s_wait_xcnt 0x0
	v_add_nc_u64_e32 v[8:9], s[16:17], v[8:9]
	s_add_co_i32 s10, s10, -1
	s_delay_alu instid0(SALU_CYCLE_1)
	s_cmp_lg_u32 s10, 0
	s_wait_loadcnt 0x0
	v_mul_f32_e32 v11, s21, v11
	ds_store_b32 v10, v11
	v_add_nc_u32_e32 v10, 48, v10
	s_cbranch_scc1 .LBB15_20
.LBB15_21:                              ;   in Loop: Header=BB15_3 Depth=1
	s_or_b32 exec_lo, exec_lo, s27
	s_delay_alu instid0(SALU_CYCLE_1)
	s_and_b32 vcc_lo, exec_lo, s33
	s_mov_b32 s10, -1
	s_wait_dscnt 0x0
	; wave barrier
	s_cbranch_vccz .LBB15_77
; %bb.22:                               ;   in Loop: Header=BB15_3 Depth=1
	s_and_b32 vcc_lo, exec_lo, s31
	s_cbranch_vccz .LBB15_57
; %bb.23:                               ;   in Loop: Header=BB15_3 Depth=1
	v_cmp_ne_u32_e32 vcc_lo, 1, v13
	s_cbranch_vccnz .LBB15_36
; %bb.24:                               ;   in Loop: Header=BB15_3 Depth=1
	s_and_not1_b32 vcc_lo, exec_lo, s34
	s_mov_b32 s27, 0
	s_cbranch_vccnz .LBB15_30
; %bb.25:                               ;   in Loop: Header=BB15_3 Depth=1
	s_mov_b32 s10, 0
	s_mov_b32 s11, 0
.LBB15_26:                              ;   Parent Loop BB15_3 Depth=1
                                        ; =>  This Loop Header: Depth=2
                                        ;       Child Loop BB15_27 Depth 3
	s_delay_alu instid0(SALU_CYCLE_1) | instskip(SKIP_3) | instid1(SALU_CYCLE_1)
	v_mad_u32 v16, s11, 48, v12
	s_or_b32 s27, s11, 3
	s_cmp_eq_u32 s11, 0
	s_mul_i32 s27, s27, 48
	v_dual_mov_b32 v18, v12 :: v_dual_add_nc_u32 v17, s27, v12
	s_mov_b32 s27, s10
	s_mov_b32 s41, s11
	ds_load_2addr_b32 v[10:11], v16 offset1:12
	ds_load_b32 v8, v16 offset:96
	ds_load_b32 v9, v17
	s_cbranch_scc1 .LBB15_28
.LBB15_27:                              ;   Parent Loop BB15_3 Depth=1
                                        ;     Parent Loop BB15_26 Depth=2
                                        ; =>    This Inner Loop Header: Depth=3
	v_mov_b32_e32 v19, s27
	s_add_co_i32 s41, s41, -1
	s_add_co_i32 s27, s27, 48
	s_cmp_eq_u32 s41, 0
	ds_load_b32 v24, v18
	ds_load_b128 v[20:23], v19
	v_add_nc_u32_e32 v18, 48, v18
	s_wait_dscnt 0x0
	v_pk_fma_f32 v[10:11], v[24:25], v[20:21], v[10:11] op_sel_hi:[0,1,1] neg_lo:[1,0,0] neg_hi:[1,0,0]
	v_pk_fma_f32 v[8:9], v[24:25], v[22:23], v[8:9] op_sel_hi:[0,1,1] neg_lo:[1,0,0] neg_hi:[1,0,0]
	s_cbranch_scc0 .LBB15_27
.LBB15_28:                              ;   in Loop: Header=BB15_26 Depth=2
	s_lshl_b32 s27, s11, 2
	s_mul_i32 s41, s11, 48
	s_or_b32 s42, s27, 4
	s_add_co_i32 s41, s27, s41
	s_add_co_i32 s10, s10, 16
	v_mov_b32_e32 v24, s41
	s_add_co_i32 s41, s41, 52
	ds_load_b128 v[18:21], v24
	ds_load_2addr_b32 v[22:23], v24 offset0:13 offset1:14
	s_sub_co_i32 s41, s41, s42
	s_delay_alu instid0(SALU_CYCLE_1) | instskip(SKIP_3) | instid1(VALU_DEP_2)
	s_add_co_i32 s27, s41, s27
	s_wait_dscnt 0x1
	v_div_scale_f32 v25, null, v18, v18, v10
	v_div_scale_f32 v28, vcc_lo, v10, v18, v10
	v_rcp_f32_e32 v26, v25
	v_nop
	s_delay_alu instid0(TRANS32_DEP_1) | instskip(NEXT) | instid1(VALU_DEP_1)
	v_fma_f32 v27, -v25, v26, 1.0
	v_fmac_f32_e32 v26, v27, v26
	s_delay_alu instid0(VALU_DEP_1) | instskip(NEXT) | instid1(VALU_DEP_1)
	v_mul_f32_e32 v27, v28, v26
	v_fma_f32 v29, -v25, v27, v28
	s_delay_alu instid0(VALU_DEP_1) | instskip(NEXT) | instid1(VALU_DEP_1)
	v_fmac_f32_e32 v27, v29, v26
	v_fma_f32 v25, -v25, v27, v28
	s_delay_alu instid0(VALU_DEP_1) | instskip(NEXT) | instid1(VALU_DEP_1)
	v_div_fmas_f32 v25, v25, v26, v27
	v_div_fixup_f32 v18, v25, v18, v10
	s_delay_alu instid0(VALU_DEP_1)
	v_dual_fma_f32 v19, -v18, v19, v11 :: v_dual_fma_f32 v8, -v18, v20, v8
	ds_load_b32 v20, v24 offset:156
	v_fma_f32 v9, -v18, v21, v9
	s_wait_dscnt 0x1
	v_div_scale_f32 v25, null, v22, v22, v19
	v_div_scale_f32 v27, vcc_lo, v19, v22, v19
	s_delay_alu instid0(VALU_DEP_2) | instskip(SKIP_1) | instid1(TRANS32_DEP_1)
	v_rcp_f32_e32 v26, v25
	v_nop
	v_fma_f32 v10, -v25, v26, 1.0
	s_delay_alu instid0(VALU_DEP_1) | instskip(NEXT) | instid1(VALU_DEP_1)
	v_fmac_f32_e32 v26, v10, v26
	v_mul_f32_e32 v28, v27, v26
	s_delay_alu instid0(VALU_DEP_1) | instskip(NEXT) | instid1(VALU_DEP_1)
	v_fma_f32 v10, -v25, v28, v27
	v_fmac_f32_e32 v28, v10, v26
	ds_load_b64 v[10:11], v24 offset:104
	v_fma_f32 v25, -v25, v28, v27
	s_delay_alu instid0(VALU_DEP_1) | instskip(NEXT) | instid1(VALU_DEP_1)
	v_div_fmas_f32 v25, v25, v26, v28
	v_div_fixup_f32 v19, v25, v22, v19
	s_delay_alu instid0(VALU_DEP_1) | instskip(SKIP_3) | instid1(VALU_DEP_1)
	v_fma_f32 v8, -v19, v23, v8
	ds_store_2addr_b32 v16, v18, v19 offset1:12
	s_wait_dscnt 0x1
	v_div_scale_f32 v22, null, v10, v10, v8
	v_rcp_f32_e32 v23, v22
	v_nop
	s_delay_alu instid0(TRANS32_DEP_1) | instskip(NEXT) | instid1(VALU_DEP_1)
	v_fma_f32 v24, -v22, v23, 1.0
	v_dual_fmac_f32 v23, v24, v23 :: v_dual_mov_b32 v24, s27
	v_div_scale_f32 v25, vcc_lo, v8, v10, v8
	s_add_co_i32 s27, s11, 4
	s_add_co_i32 s11, s11, 7
	ds_load_b32 v24, v24 offset:12
	v_mul_f32_e32 v26, v25, v23
	s_cmp_ge_i32 s11, s29
	s_delay_alu instid0(VALU_DEP_1) | instskip(NEXT) | instid1(VALU_DEP_1)
	v_fma_f32 v27, -v22, v26, v25
	v_fmac_f32_e32 v26, v27, v23
	s_delay_alu instid0(VALU_DEP_1) | instskip(SKIP_2) | instid1(VALU_DEP_2)
	v_fma_f32 v22, -v22, v26, v25
	s_wait_dscnt 0x0
	v_fma_f32 v9, -v19, v24, v9
	v_div_fmas_f32 v21, v22, v23, v26
	s_delay_alu instid0(VALU_DEP_1) | instskip(NEXT) | instid1(VALU_DEP_1)
	v_div_fixup_f32 v8, v21, v10, v8
	v_fma_f32 v9, -v8, v11, v9
	s_delay_alu instid0(VALU_DEP_1) | instskip(SKIP_1) | instid1(VALU_DEP_2)
	v_div_scale_f32 v10, null, v20, v20, v9
	v_div_scale_f32 v22, vcc_lo, v9, v20, v9
	v_rcp_f32_e32 v11, v10
	v_nop
	s_delay_alu instid0(TRANS32_DEP_1) | instskip(NEXT) | instid1(VALU_DEP_1)
	v_fma_f32 v21, -v10, v11, 1.0
	v_fmac_f32_e32 v11, v21, v11
	s_delay_alu instid0(VALU_DEP_1) | instskip(NEXT) | instid1(VALU_DEP_1)
	v_mul_f32_e32 v21, v22, v11
	v_fma_f32 v23, -v10, v21, v22
	s_delay_alu instid0(VALU_DEP_1) | instskip(NEXT) | instid1(VALU_DEP_1)
	v_fmac_f32_e32 v21, v23, v11
	v_fma_f32 v10, -v10, v21, v22
	s_delay_alu instid0(VALU_DEP_1) | instskip(NEXT) | instid1(VALU_DEP_1)
	v_div_fmas_f32 v10, v10, v11, v21
	v_div_fixup_f32 v9, v10, v20, v9
	ds_store_b32 v16, v8 offset:96
	ds_store_b32 v17, v9
	s_cbranch_scc1 .LBB15_30
; %bb.29:                               ;   in Loop: Header=BB15_26 Depth=2
	s_mov_b32 s11, s27
	s_branch .LBB15_26
.LBB15_30:                              ;   in Loop: Header=BB15_3 Depth=1
	s_cmp_ge_i32 s27, s29
	s_cbranch_scc1 .LBB15_35
; %bb.31:                               ;   in Loop: Header=BB15_3 Depth=1
	s_lshl_b32 s10, s27, 2
	s_branch .LBB15_33
.LBB15_32:                              ;   in Loop: Header=BB15_33 Depth=2
	s_lshl_b32 s41, s27, 2
	s_add_co_i32 s27, s27, 1
	s_add_co_i32 s11, s41, s11
	;; [unrolled: 1-line block ×3, first 2 shown]
	v_mov_b32_e32 v10, s11
	s_cmp_ge_i32 s27, s29
	ds_load_b32 v10, v10
	s_wait_dscnt 0x0
	v_div_scale_f32 v11, null, v10, v10, v9
	s_delay_alu instid0(VALU_DEP_1) | instskip(SKIP_1) | instid1(TRANS32_DEP_1)
	v_rcp_f32_e32 v16, v11
	v_nop
	v_fma_f32 v17, -v11, v16, 1.0
	s_delay_alu instid0(VALU_DEP_1) | instskip(SKIP_1) | instid1(VALU_DEP_1)
	v_fmac_f32_e32 v16, v17, v16
	v_div_scale_f32 v17, vcc_lo, v9, v10, v9
	v_mul_f32_e32 v18, v17, v16
	s_delay_alu instid0(VALU_DEP_1) | instskip(NEXT) | instid1(VALU_DEP_1)
	v_fma_f32 v19, -v11, v18, v17
	v_fmac_f32_e32 v18, v19, v16
	s_delay_alu instid0(VALU_DEP_1) | instskip(NEXT) | instid1(VALU_DEP_1)
	v_fma_f32 v11, -v11, v18, v17
	v_div_fmas_f32 v11, v11, v16, v18
	s_delay_alu instid0(VALU_DEP_1)
	v_div_fixup_f32 v9, v11, v10, v9
	ds_store_b32 v8, v9
	s_cbranch_scc1 .LBB15_35
.LBB15_33:                              ;   Parent Loop BB15_3 Depth=1
                                        ; =>  This Loop Header: Depth=2
                                        ;       Child Loop BB15_34 Depth 3
	s_mul_i32 s11, s27, 48
	s_cmp_eq_u32 s27, 0
	v_dual_add_nc_u32 v8, s11, v12 :: v_dual_mov_b32 v10, v12
	s_mov_b32 s41, s10
	s_mov_b32 s42, s27
	ds_load_b32 v9, v8
	s_cbranch_scc1 .LBB15_32
.LBB15_34:                              ;   Parent Loop BB15_3 Depth=1
                                        ;     Parent Loop BB15_33 Depth=2
                                        ; =>    This Inner Loop Header: Depth=3
	v_mov_b32_e32 v11, s41
	s_add_co_i32 s42, s42, -1
	s_add_co_i32 s41, s41, 48
	s_cmp_eq_u32 s42, 0
	ds_load_b32 v16, v10
	ds_load_b32 v11, v11
	s_wait_dscnt 0x0
	v_dual_add_nc_u32 v10, 48, v10 :: v_dual_fma_f32 v9, -v16, v11, v9
	s_cbranch_scc0 .LBB15_34
	s_branch .LBB15_32
.LBB15_35:                              ;   in Loop: Header=BB15_3 Depth=1
	s_mov_b32 s10, 0
.LBB15_36:                              ;   in Loop: Header=BB15_3 Depth=1
	s_delay_alu instid0(SALU_CYCLE_1)
	s_and_b32 vcc_lo, exec_lo, s10
	s_cbranch_vccz .LBB15_56
; %bb.37:                               ;   in Loop: Header=BB15_3 Depth=1
	s_mov_b32 s27, s30
	s_and_not1_b32 vcc_lo, exec_lo, s34
	s_mov_b32 s10, s18
	s_mov_b32 s11, s30
	s_cbranch_vccnz .LBB15_43
.LBB15_38:                              ;   Parent Loop BB15_3 Depth=1
                                        ; =>  This Loop Header: Depth=2
                                        ;       Child Loop BB15_39 Depth 3
	s_mul_i32 s27, s11, 48
	s_delay_alu instid0(SALU_CYCLE_1)
	v_dual_mov_b32 v20, v14 :: v_dual_add_nc_u32 v16, s27, v12
	s_addk_co_i32 s27, 0xff70
	s_cmp_le_i32 s30, s11
	v_add_nc_u32_e32 v19, s27, v12
	s_mov_b32 s41, s10
	v_subrev_nc_u32_e32 v17, 48, v16
	v_add_nc_u32_e32 v18, 0xffffffa0, v16
	s_mov_b32 s42, s30
	ds_load_b32 v11, v16
	ds_load_b32 v10, v17
	;; [unrolled: 1-line block ×4, first 2 shown]
	s_cbranch_scc1 .LBB15_40
.LBB15_39:                              ;   Parent Loop BB15_3 Depth=1
                                        ;     Parent Loop BB15_38 Depth=2
                                        ; =>    This Inner Loop Header: Depth=3
	v_mov_b32_e32 v21, s41
	s_add_co_i32 s42, s42, -1
	s_sub_co_i32 s41, s41, 48
	s_cmp_le_i32 s42, s11
	ds_load_b32 v22, v20
	ds_load_2addr_b32 v[24:25], v21 offset0:2 offset1:3
	ds_load_2addr_b32 v[26:27], v21 offset1:1
	v_subrev_nc_u32_e32 v20, 48, v20
	s_wait_dscnt 0x1
	v_pk_fma_f32 v[10:11], v[22:23], v[24:25], v[10:11] op_sel_hi:[0,1,1] neg_lo:[1,0,0] neg_hi:[1,0,0]
	s_wait_dscnt 0x0
	v_pk_fma_f32 v[8:9], v[22:23], v[26:27], v[8:9] op_sel_hi:[0,1,1] neg_lo:[1,0,0] neg_hi:[1,0,0]
	s_cbranch_scc0 .LBB15_39
.LBB15_40:                              ;   in Loop: Header=BB15_38 Depth=2
	s_add_co_i32 s41, s11, -3
; %bb.41:                               ;   in Loop: Header=BB15_38 Depth=2
	s_mul_i32 s42, s11, 52
	s_lshl_b32 s41, s41, 2
	s_add_co_i32 s43, s42, -4
	s_add_co_i32 s42, s42, -12
	v_mov_b32_e32 v20, s43
	s_add_co_i32 s43, s11, -1
	s_add_co_i32 s27, s41, s27
	s_lshl_b32 s44, s43, 2
	s_mul_i32 s43, s43, 48
	s_add_co_i32 s10, s10, -16
	s_add_co_i32 s44, s44, s43
	s_add_co_i32 s43, s41, s43
	v_mov_b32_e32 v22, s44
	ds_load_2addr_b32 v[20:21], v20 offset1:1
	v_dual_mov_b32 v23, s42 :: v_dual_mov_b32 v24, s43
	s_lshl_b32 s42, s11, 2
	ds_load_b32 v26, v22
	ds_load_2addr_b32 v[22:23], v23 offset1:1
	ds_load_2addr_b32 v[24:25], v24 offset1:1
	s_sub_co_i32 s42, s44, s42
	s_delay_alu instid0(SALU_CYCLE_1) | instskip(NEXT) | instid1(SALU_CYCLE_1)
	s_add_co_i32 s42, s42, s41
	s_sub_co_i32 s42, s42, 44
	s_wait_dscnt 0x3
	v_div_scale_f32 v27, null, v21, v21, v11
	v_div_scale_f32 v30, vcc_lo, v11, v21, v11
	s_delay_alu instid0(VALU_DEP_2) | instskip(SKIP_1) | instid1(TRANS32_DEP_1)
	v_rcp_f32_e32 v28, v27
	v_nop
	v_fma_f32 v29, -v27, v28, 1.0
	s_delay_alu instid0(VALU_DEP_1) | instskip(NEXT) | instid1(VALU_DEP_1)
	v_fmac_f32_e32 v28, v29, v28
	v_mul_f32_e32 v29, v30, v28
	s_delay_alu instid0(VALU_DEP_1) | instskip(NEXT) | instid1(VALU_DEP_1)
	v_fma_f32 v31, -v27, v29, v30
	v_fmac_f32_e32 v29, v31, v28
	s_delay_alu instid0(VALU_DEP_1) | instskip(NEXT) | instid1(VALU_DEP_1)
	v_fma_f32 v27, -v27, v29, v30
	v_div_fmas_f32 v27, v27, v28, v29
	s_delay_alu instid0(VALU_DEP_1) | instskip(NEXT) | instid1(VALU_DEP_1)
	v_div_fixup_f32 v21, v27, v21, v11
	v_dual_mov_b32 v11, s42 :: v_dual_fma_f32 v20, -v21, v20, v10
	s_wait_dscnt 0x1
	v_dual_fma_f32 v8, -v21, v22, v8 :: v_dual_fma_f32 v9, -v21, v23, v9
	v_mov_b32_e32 v23, s27
	s_add_co_i32 s27, s11, -4
	v_div_scale_f32 v27, null, v26, v26, v20
	v_div_scale_f32 v29, vcc_lo, v20, v26, v20
	s_cmp_lt_i32 s11, 7
	v_rcp_f32_e32 v28, v27
	ds_load_b32 v23, v23
	v_nop
	v_fma_f32 v10, -v27, v28, 1.0
	s_delay_alu instid0(VALU_DEP_1) | instskip(NEXT) | instid1(VALU_DEP_1)
	v_fmac_f32_e32 v28, v10, v28
	v_mul_f32_e32 v30, v29, v28
	s_delay_alu instid0(VALU_DEP_1) | instskip(NEXT) | instid1(VALU_DEP_1)
	v_fma_f32 v10, -v27, v30, v29
	v_fmac_f32_e32 v30, v10, v28
	ds_load_2addr_b32 v[10:11], v11 offset1:1
	v_fma_f32 v27, -v27, v30, v29
	s_delay_alu instid0(VALU_DEP_1) | instskip(NEXT) | instid1(VALU_DEP_1)
	v_div_fmas_f32 v27, v27, v28, v30
	v_div_fixup_f32 v20, v27, v26, v20
	s_wait_dscnt 0x2
	s_delay_alu instid0(VALU_DEP_1) | instskip(SKIP_1) | instid1(VALU_DEP_1)
	v_dual_fma_f32 v9, -v20, v25, v9 :: v_dual_fma_f32 v8, -v20, v24, v8
	s_wait_dscnt 0x0
	v_div_scale_f32 v25, null, v11, v11, v9
	s_delay_alu instid0(VALU_DEP_1) | instskip(SKIP_1) | instid1(TRANS32_DEP_1)
	v_rcp_f32_e32 v26, v25
	v_nop
	v_fma_f32 v27, -v25, v26, 1.0
	s_delay_alu instid0(VALU_DEP_1) | instskip(SKIP_1) | instid1(VALU_DEP_1)
	v_fmac_f32_e32 v26, v27, v26
	v_div_scale_f32 v28, vcc_lo, v9, v11, v9
	v_mul_f32_e32 v27, v28, v26
	s_delay_alu instid0(VALU_DEP_1) | instskip(NEXT) | instid1(VALU_DEP_1)
	v_fma_f32 v29, -v25, v27, v28
	v_fmac_f32_e32 v27, v29, v26
	s_delay_alu instid0(VALU_DEP_1) | instskip(NEXT) | instid1(VALU_DEP_1)
	v_fma_f32 v25, -v25, v27, v28
	v_div_fmas_f32 v22, v25, v26, v27
	s_delay_alu instid0(VALU_DEP_1) | instskip(NEXT) | instid1(VALU_DEP_1)
	v_div_fixup_f32 v9, v22, v11, v9
	v_fma_f32 v8, -v9, v10, v8
	s_delay_alu instid0(VALU_DEP_1) | instskip(SKIP_1) | instid1(VALU_DEP_2)
	v_div_scale_f32 v10, null, v23, v23, v8
	v_div_scale_f32 v24, vcc_lo, v8, v23, v8
	v_rcp_f32_e32 v11, v10
	v_nop
	s_delay_alu instid0(TRANS32_DEP_1) | instskip(NEXT) | instid1(VALU_DEP_1)
	v_fma_f32 v22, -v10, v11, 1.0
	v_fmac_f32_e32 v11, v22, v11
	s_delay_alu instid0(VALU_DEP_1) | instskip(NEXT) | instid1(VALU_DEP_1)
	v_mul_f32_e32 v22, v24, v11
	v_fma_f32 v25, -v10, v22, v24
	s_delay_alu instid0(VALU_DEP_1) | instskip(NEXT) | instid1(VALU_DEP_1)
	v_fmac_f32_e32 v22, v25, v11
	v_fma_f32 v10, -v10, v22, v24
	s_delay_alu instid0(VALU_DEP_1) | instskip(NEXT) | instid1(VALU_DEP_1)
	v_div_fmas_f32 v10, v10, v11, v22
	v_div_fixup_f32 v8, v10, v23, v8
	ds_store_b32 v16, v21
	ds_store_b32 v17, v20
	;; [unrolled: 1-line block ×4, first 2 shown]
	s_cbranch_scc1 .LBB15_43
; %bb.42:                               ;   in Loop: Header=BB15_38 Depth=2
	s_mov_b32 s11, s27
	s_branch .LBB15_38
.LBB15_43:                              ;   in Loop: Header=BB15_3 Depth=1
	s_cmp_lt_i32 s27, 0
	s_cbranch_scc1 .LBB15_56
; %bb.44:                               ;   in Loop: Header=BB15_3 Depth=1
	s_bitcmp1_b32 s27, 0
	s_cselect_b32 s10, -1, 0
	s_delay_alu instid0(SALU_CYCLE_1)
	s_and_b32 vcc_lo, exec_lo, s10
	s_mov_b32 s10, s27
	s_cbranch_vccnz .LBB15_49
; %bb.45:                               ;   in Loop: Header=BB15_3 Depth=1
	s_mul_i32 s10, s27, 48
	s_cmp_le_i32 s30, s27
	v_add_nc_u32_e32 v8, s10, v12
	ds_load_b32 v9, v8
	s_cbranch_scc1 .LBB15_48
; %bb.46:                               ;   in Loop: Header=BB15_3 Depth=1
	v_mov_b32_e32 v10, v14
	s_lshl_b32 s11, s27, 2
	s_mov_b32 s41, s30
	s_add_co_i32 s11, s19, s11
.LBB15_47:                              ;   Parent Loop BB15_3 Depth=1
                                        ; =>  This Inner Loop Header: Depth=2
	s_delay_alu instid0(SALU_CYCLE_1)
	v_mov_b32_e32 v11, s11
	s_add_co_i32 s41, s41, -1
	s_sub_co_i32 s11, s11, 48
	s_cmp_gt_i32 s41, s27
	ds_load_b32 v16, v10
	ds_load_b32 v11, v11
	v_subrev_nc_u32_e32 v10, 48, v10
	s_wait_dscnt 0x0
	v_fma_f32 v9, -v16, v11, v9
	s_cbranch_scc1 .LBB15_47
.LBB15_48:                              ;   in Loop: Header=BB15_3 Depth=1
	s_lshl_b32 s11, s27, 2
	s_delay_alu instid0(SALU_CYCLE_1) | instskip(NEXT) | instid1(SALU_CYCLE_1)
	s_add_co_i32 s10, s11, s10
	v_mov_b32_e32 v10, s10
	s_add_co_i32 s10, s27, -1
	ds_load_b32 v10, v10
	s_wait_dscnt 0x0
	v_div_scale_f32 v11, null, v10, v10, v9
	s_delay_alu instid0(VALU_DEP_1) | instskip(SKIP_1) | instid1(TRANS32_DEP_1)
	v_rcp_f32_e32 v16, v11
	v_nop
	v_fma_f32 v17, -v11, v16, 1.0
	s_delay_alu instid0(VALU_DEP_1) | instskip(SKIP_1) | instid1(VALU_DEP_1)
	v_fmac_f32_e32 v16, v17, v16
	v_div_scale_f32 v17, vcc_lo, v9, v10, v9
	v_mul_f32_e32 v18, v17, v16
	s_delay_alu instid0(VALU_DEP_1) | instskip(NEXT) | instid1(VALU_DEP_1)
	v_fma_f32 v19, -v11, v18, v17
	v_fmac_f32_e32 v18, v19, v16
	s_delay_alu instid0(VALU_DEP_1) | instskip(NEXT) | instid1(VALU_DEP_1)
	v_fma_f32 v11, -v11, v18, v17
	v_div_fmas_f32 v11, v11, v16, v18
	s_delay_alu instid0(VALU_DEP_1)
	v_div_fixup_f32 v9, v11, v10, v9
	ds_store_b32 v8, v9
.LBB15_49:                              ;   in Loop: Header=BB15_3 Depth=1
	s_cmp_eq_u32 s27, 0
	s_cbranch_scc1 .LBB15_56
; %bb.50:                               ;   in Loop: Header=BB15_3 Depth=1
	s_lshl_b32 s27, s10, 2
	s_delay_alu instid0(SALU_CYCLE_1)
	s_add_co_i32 s11, s19, s27
	s_add_co_i32 s27, s22, s27
	s_branch .LBB15_52
.LBB15_51:                              ;   in Loop: Header=BB15_52 Depth=2
	s_sub_co_i32 s41, s41, 52
	s_add_co_i32 s11, s11, -8
	v_mov_b32_e32 v8, s41
	s_add_co_i32 s41, s10, -2
	s_add_co_i32 s27, s27, -8
	s_cmp_lt_i32 s10, 2
	s_mov_b32 s10, s41
	ds_load_b32 v8, v8
	s_wait_dscnt 0x0
	v_div_scale_f32 v10, null, v8, v8, v11
	v_div_scale_f32 v18, vcc_lo, v11, v8, v11
	s_delay_alu instid0(VALU_DEP_2) | instskip(SKIP_1) | instid1(TRANS32_DEP_1)
	v_rcp_f32_e32 v16, v10
	v_nop
	v_fma_f32 v17, -v10, v16, 1.0
	s_delay_alu instid0(VALU_DEP_1) | instskip(NEXT) | instid1(VALU_DEP_1)
	v_fmac_f32_e32 v16, v17, v16
	v_mul_f32_e32 v17, v18, v16
	s_delay_alu instid0(VALU_DEP_1) | instskip(NEXT) | instid1(VALU_DEP_1)
	v_fma_f32 v19, -v10, v17, v18
	v_fmac_f32_e32 v17, v19, v16
	s_delay_alu instid0(VALU_DEP_1) | instskip(NEXT) | instid1(VALU_DEP_1)
	v_fma_f32 v10, -v10, v17, v18
	v_div_fmas_f32 v10, v10, v16, v17
	s_delay_alu instid0(VALU_DEP_1)
	v_div_fixup_f32 v8, v10, v8, v11
	ds_store_b32 v9, v8
	s_cbranch_scc1 .LBB15_56
.LBB15_52:                              ;   Parent Loop BB15_3 Depth=1
                                        ; =>  This Loop Header: Depth=2
                                        ;       Child Loop BB15_53 Depth 3
                                        ;       Child Loop BB15_55 Depth 3
	s_mul_i32 s42, s10, 48
	s_cmp_le_i32 s30, s10
	v_dual_mov_b32 v9, v14 :: v_dual_add_nc_u32 v8, s42, v12
	s_mov_b32 s41, s11
	s_mov_b32 s43, s30
	ds_load_b32 v10, v8
	s_cbranch_scc1 .LBB15_54
.LBB15_53:                              ;   Parent Loop BB15_3 Depth=1
                                        ;     Parent Loop BB15_52 Depth=2
                                        ; =>    This Inner Loop Header: Depth=3
	v_mov_b32_e32 v11, s41
	s_add_co_i32 s43, s43, -1
	s_sub_co_i32 s41, s41, 48
	s_cmp_le_i32 s43, s10
	ds_load_b32 v16, v9
	ds_load_b32 v11, v11
	v_subrev_nc_u32_e32 v9, 48, v9
	s_wait_dscnt 0x0
	v_fma_f32 v10, -v16, v11, v10
	s_cbranch_scc0 .LBB15_53
.LBB15_54:                              ;   in Loop: Header=BB15_52 Depth=2
	s_lshl_b32 s41, s10, 2
	s_mov_b32 s43, s29
	s_add_co_i32 s41, s41, s42
	s_sub_co_i32 s42, s42, 48
	v_mov_b32_e32 v9, s41
	s_cmp_le_i32 s29, s10
	ds_load_b32 v16, v9
	s_wait_dscnt 0x0
	v_div_scale_f32 v17, null, v16, v16, v10
	s_delay_alu instid0(VALU_DEP_1) | instskip(SKIP_1) | instid1(TRANS32_DEP_1)
	v_rcp_f32_e32 v18, v17
	v_nop
	v_fma_f32 v19, -v17, v18, 1.0
	s_delay_alu instid0(VALU_DEP_1) | instskip(SKIP_3) | instid1(VALU_DEP_2)
	v_fmac_f32_e32 v18, v19, v18
	v_div_scale_f32 v19, vcc_lo, v10, v16, v10
	v_add_nc_u32_e32 v9, s42, v12
	s_mov_b32 s42, s27
	v_mul_f32_e32 v20, v19, v18
	ds_load_b32 v11, v9
	v_fma_f32 v21, -v17, v20, v19
	s_delay_alu instid0(VALU_DEP_1) | instskip(NEXT) | instid1(VALU_DEP_1)
	v_fmac_f32_e32 v20, v21, v18
	v_fma_f32 v17, -v17, v20, v19
	s_delay_alu instid0(VALU_DEP_1) | instskip(NEXT) | instid1(VALU_DEP_1)
	v_div_fmas_f32 v17, v17, v18, v20
	v_div_fixup_f32 v16, v17, v16, v10
	v_mov_b32_e32 v10, v14
	ds_store_b32 v8, v16
	s_cbranch_scc1 .LBB15_51
.LBB15_55:                              ;   Parent Loop BB15_3 Depth=1
                                        ;     Parent Loop BB15_52 Depth=2
                                        ; =>    This Inner Loop Header: Depth=3
	v_mov_b32_e32 v8, s42
	s_add_co_i32 s43, s43, -1
	s_sub_co_i32 s42, s42, 48
	s_cmp_gt_i32 s43, s10
	ds_load_b32 v16, v10
	ds_load_b32 v8, v8
	v_subrev_nc_u32_e32 v10, 48, v10
	s_wait_dscnt 0x0
	v_fma_f32 v11, -v16, v8, v11
	s_cbranch_scc1 .LBB15_55
	s_branch .LBB15_51
.LBB15_56:                              ;   in Loop: Header=BB15_3 Depth=1
	s_mov_b32 s10, 0
.LBB15_57:                              ;   in Loop: Header=BB15_3 Depth=1
	s_delay_alu instid0(SALU_CYCLE_1)
	s_and_not1_b32 vcc_lo, exec_lo, s10
	s_cbranch_vccnz .LBB15_76
; %bb.58:                               ;   in Loop: Header=BB15_3 Depth=1
	s_mov_b32 s27, s30
	s_and_not1_b32 vcc_lo, exec_lo, s34
	s_mov_b32 s10, s23
	s_mov_b32 s11, s30
	s_cbranch_vccnz .LBB15_63
.LBB15_59:                              ;   Parent Loop BB15_3 Depth=1
                                        ; =>  This Loop Header: Depth=2
                                        ;       Child Loop BB15_60 Depth 3
	s_mul_i32 s27, s11, 12
	s_cmp_le_i32 s30, s11
	v_lshl_add_u32 v16, s27, 2, v12
	s_mov_b32 s41, s10
	s_mov_b32 s42, s30
	s_delay_alu instid0(VALU_DEP_1)
	v_dual_mov_b32 v20, v14 :: v_dual_add_nc_u32 v19, 0xffffff70, v16
	v_subrev_nc_u32_e32 v17, 48, v16
	v_add_nc_u32_e32 v18, 0xffffffa0, v16
	ds_load_b32 v10, v16
	ds_load_b32 v11, v17
	;; [unrolled: 1-line block ×4, first 2 shown]
	s_cbranch_scc1 .LBB15_61
.LBB15_60:                              ;   Parent Loop BB15_3 Depth=1
                                        ;     Parent Loop BB15_59 Depth=2
                                        ; =>    This Inner Loop Header: Depth=3
	v_mov_b32_e32 v21, s41
	s_add_co_i32 s42, s42, -1
	s_add_co_i32 s41, s41, -4
	s_cmp_le_i32 s42, s11
	ds_load_2addr_b32 v[22:23], v21 offset0:24 offset1:36
	ds_load_2addr_b32 v[24:25], v21 offset1:12
	ds_load_b32 v26, v20
	v_subrev_nc_u32_e32 v20, 48, v20
	s_wait_dscnt 0x2
	v_dual_mov_b32 v28, v23 :: v_dual_mov_b32 v29, v22
	s_wait_dscnt 0x1
	v_dual_mov_b32 v22, v25 :: v_dual_mov_b32 v23, v24
	s_wait_dscnt 0x0
	s_delay_alu instid0(VALU_DEP_2) | instskip(NEXT) | instid1(VALU_DEP_2)
	v_pk_fma_f32 v[10:11], v[26:27], v[28:29], v[10:11] op_sel_hi:[0,1,1] neg_lo:[1,0,0] neg_hi:[1,0,0]
	v_pk_fma_f32 v[8:9], v[26:27], v[22:23], v[8:9] op_sel_hi:[0,1,1] neg_lo:[1,0,0] neg_hi:[1,0,0]
	s_cbranch_scc0 .LBB15_60
.LBB15_61:                              ;   in Loop: Header=BB15_59 Depth=2
	s_mul_i32 s41, s11, 52
	s_lshl_b32 s27, s27, 2
	v_mov_b32_e32 v20, s41
	s_lshl_b32 s41, s11, 2
	s_addk_co_i32 s10, 0xff40
	s_add_co_i32 s27, s27, s41
	s_delay_alu instid0(SALU_CYCLE_1) | instskip(SKIP_4) | instid1(SALU_CYCLE_1)
	s_add_co_i32 s42, s27, 0xffffffa0
	s_sub_co_i32 s41, s27, 52
	v_mov_b32_e32 v22, s42
	ds_load_b32 v24, v20
	s_add_co_i32 s43, s27, 0xffffff98
	v_dual_mov_b32 v20, s41 :: v_dual_mov_b32 v23, s43
	ds_load_2addr_b32 v[20:21], v20 offset1:1
	ds_load_b32 v25, v22
	ds_load_2addr_b32 v[22:23], v23 offset1:1
	s_add_co_i32 s41, s27, 0xffffff6c
	s_addk_co_i32 s27, 0xff64
	s_wait_dscnt 0x3
	v_div_scale_f32 v26, null, v24, v24, v10
	v_div_scale_f32 v29, vcc_lo, v10, v24, v10
	s_delay_alu instid0(VALU_DEP_2) | instskip(SKIP_1) | instid1(TRANS32_DEP_1)
	v_rcp_f32_e32 v27, v26
	v_nop
	v_fma_f32 v28, -v26, v27, 1.0
	s_delay_alu instid0(VALU_DEP_1) | instskip(NEXT) | instid1(VALU_DEP_1)
	v_fmac_f32_e32 v27, v28, v27
	v_mul_f32_e32 v28, v29, v27
	s_delay_alu instid0(VALU_DEP_1) | instskip(NEXT) | instid1(VALU_DEP_1)
	v_fma_f32 v30, -v26, v28, v29
	v_fmac_f32_e32 v28, v30, v27
	s_delay_alu instid0(VALU_DEP_1) | instskip(NEXT) | instid1(VALU_DEP_1)
	v_fma_f32 v26, -v26, v28, v29
	v_div_fmas_f32 v26, v26, v27, v28
	s_delay_alu instid0(VALU_DEP_1) | instskip(SKIP_1) | instid1(VALU_DEP_1)
	v_div_fixup_f32 v24, v26, v24, v10
	s_wait_dscnt 0x2
	v_fma_f32 v10, -v24, v21, v11
	s_wait_dscnt 0x1
	v_fma_f32 v8, -v24, v25, v8
	s_delay_alu instid0(VALU_DEP_2) | instskip(SKIP_1) | instid1(VALU_DEP_2)
	v_div_scale_f32 v11, null, v20, v20, v10
	v_div_scale_f32 v27, vcc_lo, v10, v20, v10
	v_rcp_f32_e32 v21, v11
	v_nop
	s_delay_alu instid0(TRANS32_DEP_1) | instskip(NEXT) | instid1(VALU_DEP_1)
	v_fma_f32 v26, -v11, v21, 1.0
	v_fmac_f32_e32 v21, v26, v21
	s_delay_alu instid0(VALU_DEP_1) | instskip(NEXT) | instid1(VALU_DEP_1)
	v_mul_f32_e32 v26, v27, v21
	v_fma_f32 v28, -v11, v26, v27
	s_delay_alu instid0(VALU_DEP_1) | instskip(NEXT) | instid1(VALU_DEP_1)
	v_fmac_f32_e32 v26, v28, v21
	v_fma_f32 v11, -v11, v26, v27
	s_delay_alu instid0(VALU_DEP_1) | instskip(NEXT) | instid1(VALU_DEP_1)
	v_div_fmas_f32 v11, v11, v21, v26
	v_div_fixup_f32 v25, v11, v20, v10
	s_wait_dscnt 0x0
	s_delay_alu instid0(VALU_DEP_1) | instskip(NEXT) | instid1(VALU_DEP_1)
	v_fma_f32 v8, -v25, v23, v8
	v_div_scale_f32 v23, null, v22, v22, v8
	v_div_scale_f32 v27, vcc_lo, v8, v22, v8
	s_delay_alu instid0(VALU_DEP_2) | instskip(SKIP_1) | instid1(TRANS32_DEP_1)
	v_rcp_f32_e32 v26, v23
	v_nop
	v_fma_f32 v10, -v23, v26, 1.0
	s_delay_alu instid0(VALU_DEP_1) | instskip(NEXT) | instid1(VALU_DEP_1)
	v_dual_fmac_f32 v26, v10, v26 :: v_dual_mov_b32 v11, s41
	v_mul_f32_e32 v28, v27, v26
	ds_load_2addr_b32 v[10:11], v11 offset1:1
	v_mov_b32_e32 v20, s27
	s_add_co_i32 s27, s11, -4
	s_cmp_lt_i32 s11, 7
	v_fma_f32 v29, -v23, v28, v27
	ds_load_2addr_b32 v[20:21], v20 offset1:1
	s_wait_dscnt 0x1
	v_dual_fmac_f32 v28, v29, v26 :: v_dual_fma_f32 v9, -v24, v11, v9
	s_delay_alu instid0(VALU_DEP_1) | instskip(NEXT) | instid1(VALU_DEP_1)
	v_dual_fma_f32 v23, -v23, v28, v27 :: v_dual_fma_f32 v9, -v25, v10, v9
	v_div_fmas_f32 v11, v23, v26, v28
	s_delay_alu instid0(VALU_DEP_1) | instskip(SKIP_1) | instid1(VALU_DEP_1)
	v_div_fixup_f32 v8, v11, v22, v8
	s_wait_dscnt 0x0
	v_fma_f32 v9, -v8, v21, v9
	s_delay_alu instid0(VALU_DEP_1) | instskip(NEXT) | instid1(VALU_DEP_1)
	v_div_scale_f32 v10, null, v20, v20, v9
	v_rcp_f32_e32 v11, v10
	v_nop
	s_delay_alu instid0(TRANS32_DEP_1) | instskip(NEXT) | instid1(VALU_DEP_1)
	v_fma_f32 v21, -v10, v11, 1.0
	v_fmac_f32_e32 v11, v21, v11
	v_div_scale_f32 v22, vcc_lo, v9, v20, v9
	s_delay_alu instid0(VALU_DEP_1) | instskip(NEXT) | instid1(VALU_DEP_1)
	v_mul_f32_e32 v21, v22, v11
	v_fma_f32 v23, -v10, v21, v22
	s_delay_alu instid0(VALU_DEP_1) | instskip(NEXT) | instid1(VALU_DEP_1)
	v_fmac_f32_e32 v21, v23, v11
	v_fma_f32 v10, -v10, v21, v22
	s_delay_alu instid0(VALU_DEP_1) | instskip(NEXT) | instid1(VALU_DEP_1)
	v_div_fmas_f32 v10, v10, v11, v21
	v_div_fixup_f32 v9, v10, v20, v9
	ds_store_b32 v16, v24
	ds_store_b32 v17, v25
	;; [unrolled: 1-line block ×4, first 2 shown]
	s_cbranch_scc1 .LBB15_63
; %bb.62:                               ;   in Loop: Header=BB15_59 Depth=2
	s_mov_b32 s11, s27
	s_branch .LBB15_59
.LBB15_63:                              ;   in Loop: Header=BB15_3 Depth=1
	s_cmp_lt_i32 s27, 0
	s_cbranch_scc1 .LBB15_76
; %bb.64:                               ;   in Loop: Header=BB15_3 Depth=1
	s_bitcmp1_b32 s27, 0
	s_cselect_b32 s10, -1, 0
	s_delay_alu instid0(SALU_CYCLE_1)
	s_and_b32 vcc_lo, exec_lo, s10
	s_mov_b32 s10, s27
	s_cbranch_vccnz .LBB15_69
; %bb.65:                               ;   in Loop: Header=BB15_3 Depth=1
	v_mad_u32 v8, s27, 48, v12
	s_cmp_le_i32 s30, s27
	ds_load_b32 v9, v8
	s_cbranch_scc1 .LBB15_68
; %bb.66:                               ;   in Loop: Header=BB15_3 Depth=1
	v_mov_b32_e32 v10, v14
	s_mul_i32 s10, s27, 48
	s_mov_b32 s11, s30
	s_add_co_i32 s10, s24, s10
.LBB15_67:                              ;   Parent Loop BB15_3 Depth=1
                                        ; =>  This Inner Loop Header: Depth=2
	s_delay_alu instid0(SALU_CYCLE_1)
	v_mov_b32_e32 v11, s10
	s_add_co_i32 s11, s11, -1
	s_add_co_i32 s10, s10, -4
	s_cmp_gt_u32 s11, s27
	ds_load_b32 v16, v10
	ds_load_b32 v11, v11
	v_subrev_nc_u32_e32 v10, 48, v10
	s_wait_dscnt 0x0
	v_fma_f32 v9, -v16, v11, v9
	s_cbranch_scc1 .LBB15_67
.LBB15_68:                              ;   in Loop: Header=BB15_3 Depth=1
	s_mul_i32 s10, s27, 52
	s_delay_alu instid0(SALU_CYCLE_1) | instskip(SKIP_4) | instid1(VALU_DEP_1)
	v_mov_b32_e32 v10, s10
	s_add_co_i32 s10, s27, -1
	ds_load_b32 v10, v10
	s_wait_dscnt 0x0
	v_div_scale_f32 v11, null, v10, v10, v9
	v_rcp_f32_e32 v16, v11
	v_nop
	s_delay_alu instid0(TRANS32_DEP_1) | instskip(NEXT) | instid1(VALU_DEP_1)
	v_fma_f32 v17, -v11, v16, 1.0
	v_fmac_f32_e32 v16, v17, v16
	v_div_scale_f32 v17, vcc_lo, v9, v10, v9
	s_delay_alu instid0(VALU_DEP_1) | instskip(NEXT) | instid1(VALU_DEP_1)
	v_mul_f32_e32 v18, v17, v16
	v_fma_f32 v19, -v11, v18, v17
	s_delay_alu instid0(VALU_DEP_1) | instskip(NEXT) | instid1(VALU_DEP_1)
	v_fmac_f32_e32 v18, v19, v16
	v_fma_f32 v11, -v11, v18, v17
	s_delay_alu instid0(VALU_DEP_1) | instskip(NEXT) | instid1(VALU_DEP_1)
	v_div_fmas_f32 v11, v11, v16, v18
	v_div_fixup_f32 v9, v11, v10, v9
	ds_store_b32 v8, v9
.LBB15_69:                              ;   in Loop: Header=BB15_3 Depth=1
	s_cmp_eq_u32 s27, 0
	s_cbranch_scc1 .LBB15_76
; %bb.70:                               ;   in Loop: Header=BB15_3 Depth=1
	s_mul_i32 s27, s10, 48
	s_delay_alu instid0(SALU_CYCLE_1)
	s_add_co_i32 s11, s24, s27
	s_add_co_i32 s27, s25, s27
	s_branch .LBB15_72
.LBB15_71:                              ;   in Loop: Header=BB15_72 Depth=2
	s_sub_co_i32 s41, s41, 52
	s_add_co_i32 s10, s10, -2
	v_mov_b32_e32 v8, s41
	s_addk_co_i32 s11, 0xffa0
	s_addk_co_i32 s27, 0xffa0
	s_cmp_eq_u32 s42, 0
	ds_load_b32 v8, v8
	s_wait_dscnt 0x0
	v_div_scale_f32 v10, null, v8, v8, v11
	v_div_scale_f32 v18, vcc_lo, v11, v8, v11
	s_delay_alu instid0(VALU_DEP_2) | instskip(SKIP_1) | instid1(TRANS32_DEP_1)
	v_rcp_f32_e32 v16, v10
	v_nop
	v_fma_f32 v17, -v10, v16, 1.0
	s_delay_alu instid0(VALU_DEP_1) | instskip(NEXT) | instid1(VALU_DEP_1)
	v_fmac_f32_e32 v16, v17, v16
	v_mul_f32_e32 v17, v18, v16
	s_delay_alu instid0(VALU_DEP_1) | instskip(NEXT) | instid1(VALU_DEP_1)
	v_fma_f32 v19, -v10, v17, v18
	v_fmac_f32_e32 v17, v19, v16
	s_delay_alu instid0(VALU_DEP_1) | instskip(NEXT) | instid1(VALU_DEP_1)
	v_fma_f32 v10, -v10, v17, v18
	v_div_fmas_f32 v10, v10, v16, v17
	s_delay_alu instid0(VALU_DEP_1)
	v_div_fixup_f32 v8, v10, v8, v11
	ds_store_b32 v9, v8
	s_cbranch_scc1 .LBB15_76
.LBB15_72:                              ;   Parent Loop BB15_3 Depth=1
                                        ; =>  This Loop Header: Depth=2
                                        ;       Child Loop BB15_73 Depth 3
                                        ;       Child Loop BB15_75 Depth 3
	v_mad_u32 v8, s10, 48, v12
	v_mov_b32_e32 v9, v14
	s_cmp_le_i32 s30, s10
	s_mov_b32 s41, s11
	s_mov_b32 s42, s30
	ds_load_b32 v10, v8
	s_cbranch_scc1 .LBB15_74
.LBB15_73:                              ;   Parent Loop BB15_3 Depth=1
                                        ;     Parent Loop BB15_72 Depth=2
                                        ; =>    This Inner Loop Header: Depth=3
	v_mov_b32_e32 v11, s41
	s_add_co_i32 s42, s42, -1
	s_add_co_i32 s41, s41, -4
	s_cmp_le_u32 s42, s10
	ds_load_b32 v16, v9
	ds_load_b32 v11, v11
	v_subrev_nc_u32_e32 v9, 48, v9
	s_wait_dscnt 0x0
	v_fma_f32 v10, -v16, v11, v10
	s_cbranch_scc0 .LBB15_73
.LBB15_74:                              ;   in Loop: Header=BB15_72 Depth=2
	s_mul_i32 s41, s10, 52
	s_add_co_i32 s42, s10, -1
	v_mov_b32_e32 v9, s41
	s_cmp_le_i32 s29, s10
	s_mov_b32 s43, s27
	s_mov_b32 s44, s30
	ds_load_b32 v16, v9
	v_subrev_nc_u32_e32 v9, 48, v8
	ds_load_b32 v11, v9
	s_wait_dscnt 0x1
	v_div_scale_f32 v17, null, v16, v16, v10
	v_div_scale_f32 v20, vcc_lo, v10, v16, v10
	s_delay_alu instid0(VALU_DEP_2) | instskip(SKIP_1) | instid1(TRANS32_DEP_1)
	v_rcp_f32_e32 v18, v17
	v_nop
	v_fma_f32 v19, -v17, v18, 1.0
	s_delay_alu instid0(VALU_DEP_1) | instskip(NEXT) | instid1(VALU_DEP_1)
	v_fmac_f32_e32 v18, v19, v18
	v_mul_f32_e32 v19, v20, v18
	s_delay_alu instid0(VALU_DEP_1) | instskip(NEXT) | instid1(VALU_DEP_1)
	v_fma_f32 v21, -v17, v19, v20
	v_fmac_f32_e32 v19, v21, v18
	s_delay_alu instid0(VALU_DEP_1) | instskip(NEXT) | instid1(VALU_DEP_1)
	v_fma_f32 v17, -v17, v19, v20
	v_div_fmas_f32 v17, v17, v18, v19
	s_delay_alu instid0(VALU_DEP_1)
	v_div_fixup_f32 v16, v17, v16, v10
	v_mov_b32_e32 v10, v14
	ds_store_b32 v8, v16
	s_cbranch_scc1 .LBB15_71
.LBB15_75:                              ;   Parent Loop BB15_3 Depth=1
                                        ;     Parent Loop BB15_72 Depth=2
                                        ; =>    This Inner Loop Header: Depth=3
	v_mov_b32_e32 v8, s43
	s_add_co_i32 s44, s44, -1
	s_add_co_i32 s43, s43, -4
	s_cmp_gt_u32 s44, s42
	ds_load_b32 v16, v10
	ds_load_b32 v8, v8
	v_subrev_nc_u32_e32 v10, 48, v10
	s_wait_dscnt 0x0
	v_fma_f32 v11, -v16, v8, v11
	s_cbranch_scc1 .LBB15_75
	s_branch .LBB15_71
.LBB15_76:                              ;   in Loop: Header=BB15_3 Depth=1
	s_mov_b32 s10, 0
.LBB15_77:                              ;   in Loop: Header=BB15_3 Depth=1
	s_delay_alu instid0(SALU_CYCLE_1)
	s_and_not1_b32 vcc_lo, exec_lo, s10
	s_cbranch_vccnz .LBB15_89
; %bb.78:                               ;   in Loop: Header=BB15_3 Depth=1
	s_and_not1_b32 vcc_lo, exec_lo, s34
	s_mov_b32 s27, 0
	s_cbranch_vccnz .LBB15_84
; %bb.79:                               ;   in Loop: Header=BB15_3 Depth=1
	s_mov_b32 s10, 0
	s_mov_b32 s11, 0
.LBB15_80:                              ;   Parent Loop BB15_3 Depth=1
                                        ; =>  This Loop Header: Depth=2
                                        ;       Child Loop BB15_81 Depth 3
	s_delay_alu instid0(SALU_CYCLE_1)
	s_mul_i32 s27, s11, 12
	v_mov_b32_e32 v17, v12
	v_lshl_add_u32 v16, s27, 2, v12
	s_cmp_eq_u32 s11, 0
	s_mov_b32 s41, s10
	s_mov_b32 s42, s11
	ds_load_2addr_b32 v[10:11], v16 offset1:12
	ds_load_2addr_b32 v[8:9], v16 offset0:24 offset1:36
	s_cbranch_scc1 .LBB15_82
.LBB15_81:                              ;   Parent Loop BB15_3 Depth=1
                                        ;     Parent Loop BB15_80 Depth=2
                                        ; =>    This Inner Loop Header: Depth=3
	v_mov_b32_e32 v19, s41
	s_add_co_i32 s42, s42, -1
	s_add_co_i32 s41, s41, 4
	s_cmp_eq_u32 s42, 0
	ds_load_b32 v18, v17
	ds_load_2addr_b32 v[20:21], v19 offset1:12
	ds_load_2addr_b32 v[22:23], v19 offset0:24 offset1:36
	v_add_nc_u32_e32 v17, 48, v17
	s_wait_dscnt 0x1
	v_pk_fma_f32 v[10:11], v[18:19], v[20:21], v[10:11] op_sel_hi:[0,1,1] neg_lo:[1,0,0] neg_hi:[1,0,0]
	s_wait_dscnt 0x0
	v_pk_fma_f32 v[8:9], v[18:19], v[22:23], v[8:9] op_sel_hi:[0,1,1] neg_lo:[1,0,0] neg_hi:[1,0,0]
	s_cbranch_scc0 .LBB15_81
.LBB15_82:                              ;   in Loop: Header=BB15_80 Depth=2
	s_mul_i32 s41, s11, 52
	s_lshl_b32 s27, s27, 2
	v_mov_b32_e32 v17, s41
	s_lshl_b32 s41, s11, 2
	s_addk_co_i32 s10, 0xc0
	s_add_co_i32 s27, s27, s41
	s_delay_alu instid0(SALU_CYCLE_1)
	v_mov_b32_e32 v23, s27
	ds_load_b32 v17, v17
	s_add_co_i32 s27, s11, 4
	s_add_co_i32 s11, s11, 7
	ds_load_b64 v[18:19], v23 offset:48
	ds_load_b96 v[20:22], v23 offset:96
	s_cmp_ge_i32 s11, s29
	s_wait_dscnt 0x2
	v_div_scale_f32 v24, null, v17, v17, v10
	v_div_scale_f32 v27, vcc_lo, v10, v17, v10
	s_delay_alu instid0(VALU_DEP_2) | instskip(SKIP_1) | instid1(TRANS32_DEP_1)
	v_rcp_f32_e32 v25, v24
	v_nop
	v_fma_f32 v26, -v24, v25, 1.0
	s_delay_alu instid0(VALU_DEP_1) | instskip(NEXT) | instid1(VALU_DEP_1)
	v_fmac_f32_e32 v25, v26, v25
	v_mul_f32_e32 v26, v27, v25
	s_delay_alu instid0(VALU_DEP_1) | instskip(NEXT) | instid1(VALU_DEP_1)
	v_fma_f32 v28, -v24, v26, v27
	v_fmac_f32_e32 v26, v28, v25
	s_delay_alu instid0(VALU_DEP_1) | instskip(NEXT) | instid1(VALU_DEP_1)
	v_fma_f32 v24, -v24, v26, v27
	v_div_fmas_f32 v24, v24, v25, v26
	s_delay_alu instid0(VALU_DEP_1) | instskip(SKIP_1) | instid1(VALU_DEP_1)
	v_div_fixup_f32 v10, v24, v17, v10
	s_wait_dscnt 0x0
	v_dual_fma_f32 v11, -v10, v18, v11 :: v_dual_fma_f32 v8, -v10, v20, v8
	s_delay_alu instid0(VALU_DEP_1) | instskip(SKIP_1) | instid1(VALU_DEP_2)
	v_div_scale_f32 v17, null, v19, v19, v11
	v_div_scale_f32 v25, vcc_lo, v11, v19, v11
	v_rcp_f32_e32 v18, v17
	v_nop
	s_delay_alu instid0(TRANS32_DEP_1) | instskip(NEXT) | instid1(VALU_DEP_1)
	v_fma_f32 v24, -v17, v18, 1.0
	v_fmac_f32_e32 v18, v24, v18
	s_delay_alu instid0(VALU_DEP_1) | instskip(NEXT) | instid1(VALU_DEP_1)
	v_mul_f32_e32 v24, v25, v18
	v_fma_f32 v26, -v17, v24, v25
	s_delay_alu instid0(VALU_DEP_1) | instskip(NEXT) | instid1(VALU_DEP_1)
	v_fmac_f32_e32 v24, v26, v18
	v_fma_f32 v17, -v17, v24, v25
	s_delay_alu instid0(VALU_DEP_1) | instskip(NEXT) | instid1(VALU_DEP_1)
	v_div_fmas_f32 v17, v17, v18, v24
	v_div_fixup_f32 v11, v17, v19, v11
	s_delay_alu instid0(VALU_DEP_1) | instskip(NEXT) | instid1(VALU_DEP_1)
	v_fma_f32 v8, -v11, v21, v8
	v_div_scale_f32 v17, null, v22, v22, v8
	v_div_scale_f32 v25, vcc_lo, v8, v22, v8
	s_delay_alu instid0(VALU_DEP_2) | instskip(SKIP_1) | instid1(TRANS32_DEP_1)
	v_rcp_f32_e32 v24, v17
	v_nop
	v_fma_f32 v18, -v17, v24, 1.0
	s_delay_alu instid0(VALU_DEP_1) | instskip(SKIP_3) | instid1(VALU_DEP_1)
	v_fmac_f32_e32 v24, v18, v24
	ds_load_b128 v[18:21], v23 offset:144
	s_wait_dscnt 0x0
	v_dual_mul_f32 v23, v25, v24 :: v_dual_fma_f32 v9, -v10, v18, v9
	v_fma_f32 v26, -v17, v23, v25
	s_delay_alu instid0(VALU_DEP_1) | instskip(NEXT) | instid1(VALU_DEP_1)
	v_dual_fma_f32 v9, -v11, v19, v9 :: v_dual_fmac_f32 v23, v26, v24
	v_fma_f32 v17, -v17, v23, v25
	s_delay_alu instid0(VALU_DEP_1) | instskip(NEXT) | instid1(VALU_DEP_1)
	v_div_fmas_f32 v17, v17, v24, v23
	v_div_fixup_f32 v8, v17, v22, v8
	s_delay_alu instid0(VALU_DEP_1) | instskip(NEXT) | instid1(VALU_DEP_1)
	v_fma_f32 v9, -v8, v20, v9
	v_div_scale_f32 v17, null, v21, v21, v9
	s_delay_alu instid0(VALU_DEP_1) | instskip(SKIP_1) | instid1(TRANS32_DEP_1)
	v_rcp_f32_e32 v18, v17
	v_nop
	v_fma_f32 v19, -v17, v18, 1.0
	s_delay_alu instid0(VALU_DEP_1) | instskip(SKIP_1) | instid1(VALU_DEP_1)
	v_fmac_f32_e32 v18, v19, v18
	v_div_scale_f32 v20, vcc_lo, v9, v21, v9
	v_mul_f32_e32 v19, v20, v18
	s_delay_alu instid0(VALU_DEP_1) | instskip(NEXT) | instid1(VALU_DEP_1)
	v_fma_f32 v22, -v17, v19, v20
	v_fmac_f32_e32 v19, v22, v18
	s_delay_alu instid0(VALU_DEP_1) | instskip(NEXT) | instid1(VALU_DEP_1)
	v_fma_f32 v17, -v17, v19, v20
	v_div_fmas_f32 v17, v17, v18, v19
	s_delay_alu instid0(VALU_DEP_1)
	v_div_fixup_f32 v9, v17, v21, v9
	ds_store_2addr_b32 v16, v10, v11 offset1:12
	ds_store_2addr_b32 v16, v8, v9 offset0:24 offset1:36
	s_cbranch_scc1 .LBB15_84
; %bb.83:                               ;   in Loop: Header=BB15_80 Depth=2
	s_mov_b32 s11, s27
	s_branch .LBB15_80
.LBB15_84:                              ;   in Loop: Header=BB15_3 Depth=1
	s_cmp_ge_i32 s27, s29
	s_cbranch_scc1 .LBB15_89
; %bb.85:                               ;   in Loop: Header=BB15_3 Depth=1
	s_mul_i32 s10, s27, 48
	s_branch .LBB15_87
.LBB15_86:                              ;   in Loop: Header=BB15_87 Depth=2
	s_mul_i32 s11, s27, 52
	s_add_co_i32 s27, s27, 1
	v_mov_b32_e32 v10, s11
	s_add_co_i32 s10, s10, 48
	s_cmp_ge_i32 s27, s29
	ds_load_b32 v10, v10
	s_wait_dscnt 0x0
	v_div_scale_f32 v11, null, v10, v10, v9
	s_delay_alu instid0(VALU_DEP_1) | instskip(SKIP_1) | instid1(TRANS32_DEP_1)
	v_rcp_f32_e32 v16, v11
	v_nop
	v_fma_f32 v17, -v11, v16, 1.0
	s_delay_alu instid0(VALU_DEP_1) | instskip(SKIP_1) | instid1(VALU_DEP_1)
	v_fmac_f32_e32 v16, v17, v16
	v_div_scale_f32 v17, vcc_lo, v9, v10, v9
	v_mul_f32_e32 v18, v17, v16
	s_delay_alu instid0(VALU_DEP_1) | instskip(NEXT) | instid1(VALU_DEP_1)
	v_fma_f32 v19, -v11, v18, v17
	v_fmac_f32_e32 v18, v19, v16
	s_delay_alu instid0(VALU_DEP_1) | instskip(NEXT) | instid1(VALU_DEP_1)
	v_fma_f32 v11, -v11, v18, v17
	v_div_fmas_f32 v11, v11, v16, v18
	s_delay_alu instid0(VALU_DEP_1)
	v_div_fixup_f32 v9, v11, v10, v9
	ds_store_b32 v8, v9
	s_cbranch_scc1 .LBB15_89
.LBB15_87:                              ;   Parent Loop BB15_3 Depth=1
                                        ; =>  This Loop Header: Depth=2
                                        ;       Child Loop BB15_88 Depth 3
	v_mad_u32 v8, s27, 48, v12
	v_mov_b32_e32 v10, v12
	s_cmp_eq_u32 s27, 0
	s_mov_b32 s11, s10
	s_mov_b32 s41, s27
	ds_load_b32 v9, v8
	s_cbranch_scc1 .LBB15_86
.LBB15_88:                              ;   Parent Loop BB15_3 Depth=1
                                        ;     Parent Loop BB15_87 Depth=2
                                        ; =>    This Inner Loop Header: Depth=3
	v_mov_b32_e32 v11, s11
	s_add_co_i32 s41, s41, -1
	s_add_co_i32 s11, s11, 4
	s_cmp_eq_u32 s41, 0
	ds_load_b32 v16, v10
	ds_load_b32 v11, v11
	s_wait_dscnt 0x0
	v_dual_add_nc_u32 v10, 48, v10 :: v_dual_fma_f32 v9, -v16, v11, v9
	s_cbranch_scc0 .LBB15_88
	s_branch .LBB15_86
.LBB15_89:                              ;   in Loop: Header=BB15_3 Depth=1
	s_and_saveexec_b32 s27, s35
	s_cbranch_execz .LBB15_2
; %bb.90:                               ;   in Loop: Header=BB15_3 Depth=1
	s_and_not1_b32 vcc_lo, exec_lo, s40
	s_cbranch_vccnz .LBB15_94
; %bb.91:                               ;   in Loop: Header=BB15_3 Depth=1
	s_mov_b32 s11, 1
	s_mov_b32 s41, 0
	;; [unrolled: 1-line block ×3, first 2 shown]
.LBB15_92:                              ;   Parent Loop BB15_3 Depth=1
                                        ; =>  This Inner Loop Header: Depth=2
	v_mad_u32 v8, s41, 48, v12
	v_mad_u32 v9, s11, 48, v12
	s_add_co_i32 s42, s42, -2
	s_add_co_i32 s41, s41, 2
	s_add_co_i32 s11, s11, 2
	s_mov_b32 s10, s39
	s_cmp_lg_u32 s42, 0
	s_mov_b32 s43, s26
	ds_load_b32 v8, v8
	ds_load_b32 v9, v9
	s_wait_dscnt 0x0
	global_store_b64 v[6:7], v[8:9], off
	s_wait_xcnt 0x0
	v_add_nc_u64_e32 v[6:7], 8, v[6:7]
	s_cbranch_scc1 .LBB15_92
; %bb.93:                               ;   in Loop: Header=BB15_3 Depth=1
	s_and_b32 vcc_lo, exec_lo, s43
	s_cbranch_vccz .LBB15_2
	s_branch .LBB15_95
.LBB15_94:                              ;   in Loop: Header=BB15_3 Depth=1
	s_mov_b32 s10, 0
	s_cbranch_execz .LBB15_2
.LBB15_95:                              ;   in Loop: Header=BB15_3 Depth=1
	s_mov_b32 s11, s3
	v_mad_u32 v8, s10, 48, v12
	s_mul_u64 s[42:43], s[16:17], s[10:11]
	s_delay_alu instid0(SALU_CYCLE_1) | instskip(NEXT) | instid1(SALU_CYCLE_1)
	s_add_nc_u64 s[4:5], s[42:43], s[4:5]
	v_add_nc_u64_e32 v[6:7], s[4:5], v[4:5]
	s_sub_co_i32 s4, s20, s10
.LBB15_96:                              ;   Parent Loop BB15_3 Depth=1
                                        ; =>  This Inner Loop Header: Depth=2
	ds_load_b32 v9, v8
	v_add_nc_u32_e32 v8, 48, v8
	s_add_co_i32 s4, s4, -1
	s_delay_alu instid0(SALU_CYCLE_1)
	s_cmp_lg_u32 s4, 0
	s_wait_dscnt 0x0
	global_store_b32 v[6:7], v9, off
	s_wait_xcnt 0x0
	v_add_nc_u64_e32 v[6:7], s[16:17], v[6:7]
	s_cbranch_scc1 .LBB15_96
	s_branch .LBB15_2
.LBB15_97:
	s_endpgm
	.section	.rodata,"a",@progbits
	.p2align	6, 0x0
	.amdhsa_kernel _ZL31rocblas_trsm_small_right_deviceIffPKfPfLi12EEv13rocblas_fill_18rocblas_operation_17rocblas_diagonal_iiT0_T1_lilT2_lili
		.amdhsa_group_segment_fixed_size 1152
		.amdhsa_private_segment_fixed_size 0
		.amdhsa_kernarg_size 352
		.amdhsa_user_sgpr_count 2
		.amdhsa_user_sgpr_dispatch_ptr 0
		.amdhsa_user_sgpr_queue_ptr 0
		.amdhsa_user_sgpr_kernarg_segment_ptr 1
		.amdhsa_user_sgpr_dispatch_id 0
		.amdhsa_user_sgpr_kernarg_preload_length 0
		.amdhsa_user_sgpr_kernarg_preload_offset 0
		.amdhsa_user_sgpr_private_segment_size 0
		.amdhsa_wavefront_size32 1
		.amdhsa_uses_dynamic_stack 0
		.amdhsa_enable_private_segment 0
		.amdhsa_system_sgpr_workgroup_id_x 1
		.amdhsa_system_sgpr_workgroup_id_y 0
		.amdhsa_system_sgpr_workgroup_id_z 1
		.amdhsa_system_sgpr_workgroup_info 0
		.amdhsa_system_vgpr_workitem_id 0
		.amdhsa_next_free_vgpr 32
		.amdhsa_next_free_sgpr 47
		.amdhsa_named_barrier_count 0
		.amdhsa_reserve_vcc 1
		.amdhsa_float_round_mode_32 0
		.amdhsa_float_round_mode_16_64 0
		.amdhsa_float_denorm_mode_32 3
		.amdhsa_float_denorm_mode_16_64 3
		.amdhsa_fp16_overflow 0
		.amdhsa_memory_ordered 1
		.amdhsa_forward_progress 1
		.amdhsa_inst_pref_size 51
		.amdhsa_round_robin_scheduling 0
		.amdhsa_exception_fp_ieee_invalid_op 0
		.amdhsa_exception_fp_denorm_src 0
		.amdhsa_exception_fp_ieee_div_zero 0
		.amdhsa_exception_fp_ieee_overflow 0
		.amdhsa_exception_fp_ieee_underflow 0
		.amdhsa_exception_fp_ieee_inexact 0
		.amdhsa_exception_int_div_zero 0
	.end_amdhsa_kernel
	.section	.text._ZL31rocblas_trsm_small_right_deviceIffPKfPfLi12EEv13rocblas_fill_18rocblas_operation_17rocblas_diagonal_iiT0_T1_lilT2_lili,"axG",@progbits,_ZL31rocblas_trsm_small_right_deviceIffPKfPfLi12EEv13rocblas_fill_18rocblas_operation_17rocblas_diagonal_iiT0_T1_lilT2_lili,comdat
.Lfunc_end15:
	.size	_ZL31rocblas_trsm_small_right_deviceIffPKfPfLi12EEv13rocblas_fill_18rocblas_operation_17rocblas_diagonal_iiT0_T1_lilT2_lili, .Lfunc_end15-_ZL31rocblas_trsm_small_right_deviceIffPKfPfLi12EEv13rocblas_fill_18rocblas_operation_17rocblas_diagonal_iiT0_T1_lilT2_lili
                                        ; -- End function
	.set _ZL31rocblas_trsm_small_right_deviceIffPKfPfLi12EEv13rocblas_fill_18rocblas_operation_17rocblas_diagonal_iiT0_T1_lilT2_lili.num_vgpr, 32
	.set _ZL31rocblas_trsm_small_right_deviceIffPKfPfLi12EEv13rocblas_fill_18rocblas_operation_17rocblas_diagonal_iiT0_T1_lilT2_lili.num_agpr, 0
	.set _ZL31rocblas_trsm_small_right_deviceIffPKfPfLi12EEv13rocblas_fill_18rocblas_operation_17rocblas_diagonal_iiT0_T1_lilT2_lili.numbered_sgpr, 47
	.set _ZL31rocblas_trsm_small_right_deviceIffPKfPfLi12EEv13rocblas_fill_18rocblas_operation_17rocblas_diagonal_iiT0_T1_lilT2_lili.num_named_barrier, 0
	.set _ZL31rocblas_trsm_small_right_deviceIffPKfPfLi12EEv13rocblas_fill_18rocblas_operation_17rocblas_diagonal_iiT0_T1_lilT2_lili.private_seg_size, 0
	.set _ZL31rocblas_trsm_small_right_deviceIffPKfPfLi12EEv13rocblas_fill_18rocblas_operation_17rocblas_diagonal_iiT0_T1_lilT2_lili.uses_vcc, 1
	.set _ZL31rocblas_trsm_small_right_deviceIffPKfPfLi12EEv13rocblas_fill_18rocblas_operation_17rocblas_diagonal_iiT0_T1_lilT2_lili.uses_flat_scratch, 0
	.set _ZL31rocblas_trsm_small_right_deviceIffPKfPfLi12EEv13rocblas_fill_18rocblas_operation_17rocblas_diagonal_iiT0_T1_lilT2_lili.has_dyn_sized_stack, 0
	.set _ZL31rocblas_trsm_small_right_deviceIffPKfPfLi12EEv13rocblas_fill_18rocblas_operation_17rocblas_diagonal_iiT0_T1_lilT2_lili.has_recursion, 0
	.set _ZL31rocblas_trsm_small_right_deviceIffPKfPfLi12EEv13rocblas_fill_18rocblas_operation_17rocblas_diagonal_iiT0_T1_lilT2_lili.has_indirect_call, 0
	.section	.AMDGPU.csdata,"",@progbits
; Kernel info:
; codeLenInByte = 6404
; TotalNumSgprs: 49
; NumVgprs: 32
; ScratchSize: 0
; MemoryBound: 0
; FloatMode: 240
; IeeeMode: 1
; LDSByteSize: 1152 bytes/workgroup (compile time only)
; SGPRBlocks: 0
; VGPRBlocks: 1
; NumSGPRsForWavesPerEU: 49
; NumVGPRsForWavesPerEU: 32
; NamedBarCnt: 0
; Occupancy: 16
; WaveLimiterHint : 0
; COMPUTE_PGM_RSRC2:SCRATCH_EN: 0
; COMPUTE_PGM_RSRC2:USER_SGPR: 2
; COMPUTE_PGM_RSRC2:TRAP_HANDLER: 0
; COMPUTE_PGM_RSRC2:TGID_X_EN: 1
; COMPUTE_PGM_RSRC2:TGID_Y_EN: 0
; COMPUTE_PGM_RSRC2:TGID_Z_EN: 1
; COMPUTE_PGM_RSRC2:TIDIG_COMP_CNT: 0
	.section	.text._ZL38rocblas_trsm_small_left_device_sharedBILi16ELi16ELb0EffPKfPfEv13rocblas_fill_18rocblas_operation_17rocblas_diagonal_iiT3_T4_lilT5_lili,"axG",@progbits,_ZL38rocblas_trsm_small_left_device_sharedBILi16ELi16ELb0EffPKfPfEv13rocblas_fill_18rocblas_operation_17rocblas_diagonal_iiT3_T4_lilT5_lili,comdat
	.globl	_ZL38rocblas_trsm_small_left_device_sharedBILi16ELi16ELb0EffPKfPfEv13rocblas_fill_18rocblas_operation_17rocblas_diagonal_iiT3_T4_lilT5_lili ; -- Begin function _ZL38rocblas_trsm_small_left_device_sharedBILi16ELi16ELb0EffPKfPfEv13rocblas_fill_18rocblas_operation_17rocblas_diagonal_iiT3_T4_lilT5_lili
	.p2align	8
	.type	_ZL38rocblas_trsm_small_left_device_sharedBILi16ELi16ELb0EffPKfPfEv13rocblas_fill_18rocblas_operation_17rocblas_diagonal_iiT3_T4_lilT5_lili,@function
_ZL38rocblas_trsm_small_left_device_sharedBILi16ELi16ELb0EffPKfPfEv13rocblas_fill_18rocblas_operation_17rocblas_diagonal_iiT3_T4_lilT5_lili: ; @_ZL38rocblas_trsm_small_left_device_sharedBILi16ELi16ELb0EffPKfPfEv13rocblas_fill_18rocblas_operation_17rocblas_diagonal_iiT3_T4_lilT5_lili
; %bb.0:
	s_load_b32 s20, s[0:1], 0x58
	s_bfe_u32 s2, ttmp6, 0x40014
	s_lshr_b32 s3, ttmp7, 16
	s_add_co_i32 s2, s2, 1
	s_bfe_u32 s4, ttmp6, 0x40008
	s_mul_i32 s2, s3, s2
	s_getreg_b32 s8, hwreg(HW_REG_IB_STS2, 6, 4)
	s_add_co_i32 s4, s4, s2
	s_cmp_eq_u32 s8, 0
	s_cselect_b32 s2, s3, s4
	s_mov_b32 s3, 0
	s_wait_kmcnt 0x0
	s_cmp_ge_u32 s2, s20
	s_cbranch_scc1 .LBB16_72
; %bb.1:
	s_clause 0x3
	s_load_b32 s18, s[0:1], 0x28
	s_load_b96 s[12:14], s[0:1], 0x40
	s_load_b128 s[4:7], s[0:1], 0x4
	s_load_b32 s9, s[0:1], 0x60
	v_dual_mov_b32 v35, 0 :: v_dual_lshlrev_b32 v34, 2, v0
	s_clause 0x1
	s_load_b32 s16, s[0:1], 0x14
	s_load_b128 s[36:39], s[0:1], 0x18
	v_lshlrev_b32_e32 v18, 6, v0
	v_or_b32_e32 v40, 0x400, v34
	v_dual_mov_b32 v2, v35 :: v_dual_mov_b32 v3, v35
	v_dual_mov_b32 v4, v35 :: v_dual_mov_b32 v5, v35
	;; [unrolled: 1-line block ×5, first 2 shown]
	s_wait_kmcnt 0x0
	s_ashr_i32 s19, s18, 31
	v_dual_mov_b32 v12, v35 :: v_dual_mov_b32 v13, v35
	s_cmp_eq_u64 s[18:19], 1
	v_dual_mov_b32 v16, v35 :: v_dual_mov_b32 v17, v35
	s_cselect_b32 s15, -1, 0
	s_bfe_u32 s10, ttmp6, 0x4000c
	s_min_i32 s21, s6, 16
	s_add_co_i32 s10, s10, 1
	s_and_b32 s11, ttmp6, 15
	s_mul_i32 s10, ttmp9, s10
	s_ashr_i32 s33, s14, 31
	s_add_co_i32 s9, s9, -1
	s_add_co_i32 s22, s21, -1
	s_add_co_i32 s11, s11, s10
	s_cmp_eq_u32 s8, 0
	s_mov_b32 s17, s16
	s_cselect_b32 s8, ttmp9, s11
	s_delay_alu instid0(SALU_CYCLE_1) | instskip(NEXT) | instid1(SALU_CYCLE_1)
	s_lshl_b32 s34, s8, 4
	s_sub_co_i32 s7, s7, s34
	s_cmp_ge_u32 s8, s9
	s_load_b128 s[8:11], s[0:1], 0x30
	s_cselect_b32 s7, s7, 16
	s_ashr_i32 s35, s34, 31
	s_cmp_lg_u32 s5, 0x84
	v_cmp_gt_i32_e32 vcc_lo, s7, v0
	s_cselect_b32 s23, -1, 0
	s_cmp_gt_i32 s6, 0
	s_cselect_b32 s5, -1, 0
	s_cmp_lg_u32 s4, 0x6f
	s_cselect_b32 s24, -1, 0
	s_and_b32 s25, vcc_lo, s5
	s_cmp_gt_u32 s21, 1
	s_cselect_b32 s4, -1, 0
	s_and_b32 s26, s21, -2
	s_and_b32 s27, s4, s15
	s_cmp_lg_u32 s21, s26
	s_cselect_b32 s28, -1, 0
	s_cmp_gt_i32 s6, 1
	s_cselect_b32 s29, -1, 0
	s_and_b32 s30, s21, 30
	s_delay_alu instid0(SALU_CYCLE_1)
	s_cmp_lg_u32 s21, s30
	s_cselect_b32 s31, -1, 0
	s_lshl_b64 s[4:5], s[34:35], 2
	s_load_b64 s[34:35], s[0:1], 0x50
	v_or_b32_e32 v14, s4, v34
	s_wait_xcnt 0x0
	s_lshl_b64 s[0:1], s[12:13], 2
	s_lshl_b64 s[6:7], s[38:39], 2
	s_wait_kmcnt 0x0
	s_add_nc_u64 s[0:1], s[10:11], s[0:1]
	s_delay_alu instid0(SALU_CYCLE_1) | instskip(SKIP_2) | instid1(SALU_CYCLE_1)
	v_mad_nc_u64_u32 v[36:37], v14, s14, s[0:1]
	v_cmp_gt_i32_e64 s0, s21, v0
	s_lshl_b32 s1, s21, 6
	s_sub_co_i32 s1, s1, 64
	v_mad_u32 v15, s5, s14, v37
	s_lshl_b64 s[4:5], s[8:9], 2
	s_add_nc_u64 s[8:9], s[36:37], s[6:7]
	s_lshl_b64 s[6:7], s[18:19], 2
	v_add_nc_u64_e32 v[0:1], s[8:9], v[34:35]
	s_lshl_b64 s[10:11], s[34:35], 2
	s_get_pc_i64 s[8:9]
	s_add_nc_u64 s[8:9], s[8:9], __const._ZL38rocblas_trsm_small_left_device_sharedBILi16ELi16ELb0EffPKfPfEv13rocblas_fill_18rocblas_operation_17rocblas_diagonal_iiT3_T4_lilT5_lili.step_sizes@rel64+4
	s_delay_alu instid0(VALU_DEP_2)
	v_mad_u32 v37, v14, s33, v15
	v_dual_mov_b32 v14, v35 :: v_dual_mov_b32 v15, v35
	v_add_nc_u32_e32 v35, v34, v18
	s_branch .LBB16_3
.LBB16_2:                               ;   in Loop: Header=BB16_3 Depth=1
	s_or_b32 exec_lo, exec_lo, s14
	s_add_co_i32 s2, s2, 0x10000
	s_delay_alu instid0(SALU_CYCLE_1)
	s_cmp_lt_u32 s2, s20
	s_cbranch_scc0 .LBB16_72
.LBB16_3:                               ; =>This Loop Header: Depth=1
                                        ;     Child Loop BB16_6 Depth 2
                                        ;     Child Loop BB16_10 Depth 2
	;; [unrolled: 1-line block ×5, first 2 shown]
                                        ;       Child Loop BB16_27 Depth 3
                                        ;         Child Loop BB16_28 Depth 4
                                        ;         Child Loop BB16_31 Depth 4
                                        ;           Child Loop BB16_32 Depth 5
                                        ;         Child Loop BB16_37 Depth 4
                                        ;           Child Loop BB16_39 Depth 5
                                        ;     Child Loop BB16_48 Depth 2
                                        ;       Child Loop BB16_49 Depth 3
                                        ;       Child Loop BB16_51 Depth 3
                                        ;         Child Loop BB16_52 Depth 4
                                        ;       Child Loop BB16_57 Depth 3
                                        ;         Child Loop BB16_59 Depth 4
                                        ;     Child Loop BB16_61 Depth 2
                                        ;     Child Loop BB16_67 Depth 2
	;; [unrolled: 1-line block ×3, first 2 shown]
	s_and_saveexec_b32 s18, s0
	s_cbranch_execz .LBB16_14
; %bb.4:                                ;   in Loop: Header=BB16_3 Depth=1
	s_and_not1_b32 vcc_lo, exec_lo, s27
	s_mul_u64 s[12:13], s[4:5], s[2:3]
	s_cbranch_vccnz .LBB16_8
; %bb.5:                                ;   in Loop: Header=BB16_3 Depth=1
	v_add_nc_u64_e32 v[18:19], s[12:13], v[0:1]
	s_mov_b32 s15, 1
	s_mov_b32 s19, 0
	;; [unrolled: 1-line block ×3, first 2 shown]
.LBB16_6:                               ;   Parent Loop BB16_3 Depth=1
                                        ; =>  This Inner Loop Header: Depth=2
	global_load_b64 v[20:21], v[18:19], off
	s_wait_xcnt 0x0
	v_add_nc_u64_e32 v[18:19], 8, v[18:19]
	v_lshl_or_b32 v22, s19, 6, v34
	v_lshl_or_b32 v23, s15, 6, v34
	s_add_co_i32 s33, s33, -2
	s_add_co_i32 s19, s19, 2
	s_add_co_i32 s15, s15, 2
	s_mov_b32 s14, s26
	s_mov_b32 s34, s28
	s_cmp_lg_u32 s33, 0
	s_wait_loadcnt 0x0
	ds_store_b32 v22, v20
	ds_store_b32 v23, v21
	s_cbranch_scc1 .LBB16_6
; %bb.7:                                ;   in Loop: Header=BB16_3 Depth=1
	s_and_b32 vcc_lo, exec_lo, s34
	s_cbranch_vccnz .LBB16_9
	s_branch .LBB16_11
.LBB16_8:                               ;   in Loop: Header=BB16_3 Depth=1
	s_wait_xcnt 0x0
	s_mov_b32 s14, 0
	s_cbranch_execz .LBB16_11
.LBB16_9:                               ;   in Loop: Header=BB16_3 Depth=1
	s_mov_b32 s15, s3
	v_lshl_or_b32 v20, s14, 6, v34
	s_mul_u64 s[34:35], s[6:7], s[14:15]
	s_delay_alu instid0(SALU_CYCLE_1) | instskip(NEXT) | instid1(SALU_CYCLE_1)
	s_add_nc_u64 s[12:13], s[34:35], s[12:13]
	v_add_nc_u64_e32 v[18:19], s[12:13], v[0:1]
	s_sub_co_i32 s12, s21, s14
.LBB16_10:                              ;   Parent Loop BB16_3 Depth=1
                                        ; =>  This Inner Loop Header: Depth=2
	global_load_b32 v21, v[18:19], off
	s_wait_xcnt 0x0
	v_add_nc_u64_e32 v[18:19], s[6:7], v[18:19]
	s_add_co_i32 s12, s12, -1
	s_delay_alu instid0(SALU_CYCLE_1)
	s_cmp_eq_u32 s12, 0
	s_wait_loadcnt 0x0
	ds_store_b32 v20, v21
	v_add_nc_u32_e32 v20, 64, v20
	s_cbranch_scc0 .LBB16_10
.LBB16_11:                              ;   in Loop: Header=BB16_3 Depth=1
	v_mov_b32_e32 v18, 1.0
	s_and_b32 vcc_lo, exec_lo, s23
	s_cbranch_vccz .LBB16_13
; %bb.12:                               ;   in Loop: Header=BB16_3 Depth=1
	ds_load_b32 v18, v35
	s_wait_dscnt 0x0
	v_div_scale_f32 v19, null, v18, v18, 1.0
	s_delay_alu instid0(VALU_DEP_1) | instskip(SKIP_1) | instid1(TRANS32_DEP_1)
	v_rcp_f32_e32 v20, v19
	v_nop
	v_fma_f32 v21, -v19, v20, 1.0
	s_delay_alu instid0(VALU_DEP_1) | instskip(SKIP_1) | instid1(VALU_DEP_1)
	v_fmac_f32_e32 v20, v21, v20
	v_div_scale_f32 v21, vcc_lo, 1.0, v18, 1.0
	v_mul_f32_e32 v22, v21, v20
	s_delay_alu instid0(VALU_DEP_1) | instskip(NEXT) | instid1(VALU_DEP_1)
	v_fma_f32 v23, -v19, v22, v21
	v_fmac_f32_e32 v22, v23, v20
	s_delay_alu instid0(VALU_DEP_1) | instskip(NEXT) | instid1(VALU_DEP_1)
	v_fma_f32 v19, -v19, v22, v21
	v_div_fmas_f32 v19, v19, v20, v22
	s_delay_alu instid0(VALU_DEP_1)
	v_div_fixup_f32 v18, v19, v18, 1.0
.LBB16_13:                              ;   in Loop: Header=BB16_3 Depth=1
	ds_store_b32 v35, v18
.LBB16_14:                              ;   in Loop: Header=BB16_3 Depth=1
	s_or_b32 exec_lo, exec_lo, s18
	s_mul_u64 s[12:13], s[10:11], s[2:3]
	s_delay_alu instid0(VALU_DEP_3) | instid1(SALU_CYCLE_1)
	v_add_nc_u64_e32 v[38:39], s[12:13], v[36:37]
	s_and_saveexec_b32 s14, s25
	s_cbranch_execz .LBB16_22
; %bb.15:                               ;   in Loop: Header=BB16_3 Depth=1
	s_and_not1_b32 vcc_lo, exec_lo, s29
	s_cbranch_vccnz .LBB16_19
; %bb.16:                               ;   in Loop: Header=BB16_3 Depth=1
	s_delay_alu instid0(VALU_DEP_1)
	v_mov_b64_e32 v[18:19], v[38:39]
	s_mov_b32 s15, 1
	s_mov_b32 s18, 0
	;; [unrolled: 1-line block ×3, first 2 shown]
.LBB16_17:                              ;   Parent Loop BB16_3 Depth=1
                                        ; =>  This Inner Loop Header: Depth=2
	global_load_b64 v[20:21], v[18:19], off
	v_mov_b64_e32 v[22:23], s[16:17]
	s_wait_xcnt 0x0
	v_add_nc_u64_e32 v[18:19], 8, v[18:19]
	v_lshl_add_u32 v24, s18, 6, v40
	v_lshl_add_u32 v25, s15, 6, v40
	s_add_co_i32 s19, s19, -2
	s_add_co_i32 s18, s18, 2
	s_add_co_i32 s15, s15, 2
	s_mov_b32 s33, s30
	s_mov_b32 s34, s31
	s_cmp_lg_u32 s19, 0
	s_wait_loadcnt 0x0
	v_pk_mul_f32 v[20:21], v[22:23], v[20:21]
	ds_store_b32 v24, v20
	ds_store_b32 v25, v21
	s_cbranch_scc1 .LBB16_17
; %bb.18:                               ;   in Loop: Header=BB16_3 Depth=1
	s_and_b32 vcc_lo, exec_lo, s34
	s_cbranch_vccnz .LBB16_20
	s_branch .LBB16_22
.LBB16_19:                              ;   in Loop: Header=BB16_3 Depth=1
	s_wait_xcnt 0x0
	s_mov_b32 s33, 0
	s_cbranch_execz .LBB16_22
.LBB16_20:                              ;   in Loop: Header=BB16_3 Depth=1
	s_lshl_b32 s18, s33, 2
	s_mov_b32 s19, s3
	v_lshl_add_u32 v20, s33, 6, v40
	s_add_nc_u64 s[18:19], s[12:13], s[18:19]
	s_sub_co_i32 s15, s21, s33
	v_add_nc_u64_e32 v[18:19], s[18:19], v[36:37]
.LBB16_21:                              ;   Parent Loop BB16_3 Depth=1
                                        ; =>  This Inner Loop Header: Depth=2
	global_load_b32 v21, v[18:19], off
	s_wait_xcnt 0x0
	v_add_nc_u64_e32 v[18:19], 4, v[18:19]
	s_add_co_i32 s15, s15, -1
	s_delay_alu instid0(SALU_CYCLE_1)
	s_cmp_lg_u32 s15, 0
	s_wait_loadcnt 0x0
	v_mul_f32_e32 v21, s16, v21
	ds_store_b32 v20, v21
	v_add_nc_u32_e32 v20, 64, v20
	s_cbranch_scc1 .LBB16_21
.LBB16_22:                              ;   in Loop: Header=BB16_3 Depth=1
	s_or_b32 exec_lo, exec_lo, s14
	s_delay_alu instid0(SALU_CYCLE_1)
	s_and_not1_b32 vcc_lo, exec_lo, s24
	s_mov_b32 s14, -1
	s_wait_dscnt 0x0
	; wave barrier
                                        ; implicit-def: $vgpr18_vgpr19_vgpr20_vgpr21_vgpr22_vgpr23_vgpr24_vgpr25_vgpr26_vgpr27_vgpr28_vgpr29_vgpr30_vgpr31_vgpr32_vgpr33
	s_cbranch_vccnz .LBB16_44
; %bb.23:                               ;   in Loop: Header=BB16_3 Depth=1
	v_mov_b64_e32 v[32:33], v[16:17]
	v_mov_b64_e32 v[30:31], v[14:15]
	;; [unrolled: 1-line block ×8, first 2 shown]
	s_wait_xcnt 0x0
	s_mov_b32 s34, 0
	s_mov_b32 s33, 0
.LBB16_24:                              ;   Parent Loop BB16_3 Depth=1
                                        ; =>  This Loop Header: Depth=2
                                        ;       Child Loop BB16_27 Depth 3
                                        ;         Child Loop BB16_28 Depth 4
                                        ;         Child Loop BB16_31 Depth 4
                                        ;           Child Loop BB16_32 Depth 5
                                        ;         Child Loop BB16_37 Depth 4
                                        ;           Child Loop BB16_39 Depth 5
	s_load_b32 s35, s[8:9], s34 offset:0x0 scale_offset
	s_wait_kmcnt 0x0
	s_add_co_i32 s36, s35, -1
	s_delay_alu instid0(SALU_CYCLE_1) | instskip(NEXT) | instid1(SALU_CYCLE_1)
	s_add_co_i32 s14, s36, s33
	s_cmp_ge_i32 s14, s21
	s_cbranch_scc1 .LBB16_41
; %bb.25:                               ;   in Loop: Header=BB16_24 Depth=2
	s_lshl_b32 s37, s33, 6
	s_max_i32 s38, s35, 1
	v_add_nc_u32_e32 v41, s37, v40
	s_lshl_b32 s39, s35, 6
	s_mul_i32 s40, s33, 0x44
	s_mul_i32 s41, s35, 0x44
	s_branch .LBB16_27
.LBB16_26:                              ;   in Loop: Header=BB16_27 Depth=3
	s_add_co_i32 s33, s33, s35
	v_add_nc_u32_e32 v41, s39, v41
	s_add_co_i32 s14, s36, s33
	s_add_co_i32 s37, s37, s39
	;; [unrolled: 1-line block ×3, first 2 shown]
	s_cmp_ge_i32 s14, s21
	s_cbranch_scc1 .LBB16_41
.LBB16_27:                              ;   Parent Loop BB16_3 Depth=1
                                        ;     Parent Loop BB16_24 Depth=2
                                        ; =>    This Loop Header: Depth=3
                                        ;         Child Loop BB16_28 Depth 4
                                        ;         Child Loop BB16_31 Depth 4
                                        ;           Child Loop BB16_32 Depth 5
                                        ;         Child Loop BB16_37 Depth 4
                                        ;           Child Loop BB16_39 Depth 5
	v_mov_b32_e32 v42, v41
	s_mov_b64 s[14:15], 0
.LBB16_28:                              ;   Parent Loop BB16_3 Depth=1
                                        ;     Parent Loop BB16_24 Depth=2
                                        ;       Parent Loop BB16_27 Depth=3
                                        ; =>      This Inner Loop Header: Depth=4
	ds_load_b32 v43, v42
	v_add_nc_u32_e32 v42, 64, v42
	s_mov_b32 m0, s14
	s_add_nc_u64 s[14:15], s[14:15], 1
	s_delay_alu instid0(SALU_CYCLE_1)
	s_cmp_eq_u32 s38, s14
	s_wait_dscnt 0x0
	v_movreld_b32_e32 v18, v43
	s_cbranch_scc0 .LBB16_28
; %bb.29:                               ;   in Loop: Header=BB16_27 Depth=3
	s_cmp_lt_i32 s33, 1
	s_cbranch_scc1 .LBB16_34
; %bb.30:                               ;   in Loop: Header=BB16_27 Depth=3
	s_mov_b32 s18, 0
	s_mov_b32 s19, s37
.LBB16_31:                              ;   Parent Loop BB16_3 Depth=1
                                        ;     Parent Loop BB16_24 Depth=2
                                        ;       Parent Loop BB16_27 Depth=3
                                        ; =>      This Loop Header: Depth=4
                                        ;           Child Loop BB16_32 Depth 5
	v_lshl_add_u32 v42, s18, 6, v40
	s_mov_b64 s[14:15], 0
	s_mov_b32 s42, s19
	ds_load_b32 v42, v42
.LBB16_32:                              ;   Parent Loop BB16_3 Depth=1
                                        ;     Parent Loop BB16_24 Depth=2
                                        ;       Parent Loop BB16_27 Depth=3
                                        ;         Parent Loop BB16_31 Depth=4
                                        ; =>        This Inner Loop Header: Depth=5
	v_mov_b32_e32 v43, s42
	s_mov_b32 m0, s14
	s_add_nc_u64 s[14:15], s[14:15], 1
	v_movrels_b32_e32 v44, v18
	s_add_co_i32 s42, s42, 64
	ds_load_b32 v43, v43
	s_cmp_eq_u32 s38, s14
	s_wait_dscnt 0x0
	v_fma_f32 v43, -v42, v43, v44
	s_delay_alu instid0(VALU_DEP_1)
	v_movreld_b32_e32 v18, v43
	s_cbranch_scc0 .LBB16_32
; %bb.33:                               ;   in Loop: Header=BB16_31 Depth=4
	s_add_co_i32 s18, s18, 1
	s_add_co_i32 s19, s19, 4
	s_cmp_eq_u32 s18, s33
	s_cbranch_scc0 .LBB16_31
.LBB16_34:                              ;   in Loop: Header=BB16_27 Depth=3
	s_lshl_b32 s42, s33, 6
	s_mov_b64 s[14:15], 0
	s_mov_b32 s43, s40
	s_branch .LBB16_37
.LBB16_35:                              ;   in Loop: Header=BB16_37 Depth=4
	s_mov_b32 s45, s33
	s_mov_b64 s[18:19], 0
	s_mov_b32 s44, s42
.LBB16_36:                              ;   in Loop: Header=BB16_37 Depth=4
	s_mov_b32 m0, s18
	s_mul_i32 s18, s45, 0x44
	v_movrels_b32_e32 v43, v18
	v_mov_b32_e32 v42, s18
	s_add_nc_u64 s[14:15], s[14:15], 1
	s_add_co_i32 s43, s43, 64
	s_cmp_eq_u32 s14, s38
	ds_load_b32 v42, v42
	s_wait_dscnt 0x0
	v_dual_mul_f32 v42, v43, v42 :: v_dual_add_nc_u32 v43, s44, v40
	s_delay_alu instid0(VALU_DEP_1)
	v_movreld_b32_e32 v18, v42
	ds_store_b32 v43, v42
	s_cbranch_scc1 .LBB16_26
.LBB16_37:                              ;   Parent Loop BB16_3 Depth=1
                                        ;     Parent Loop BB16_24 Depth=2
                                        ;       Parent Loop BB16_27 Depth=3
                                        ; =>      This Loop Header: Depth=4
                                        ;           Child Loop BB16_39 Depth 5
	s_cmp_eq_u32 s14, 0
	s_cbranch_scc1 .LBB16_35
; %bb.38:                               ;   in Loop: Header=BB16_37 Depth=4
	s_add_co_i32 s45, s14, s33
	s_mov_b64 s[18:19], 0
	s_lshl_b32 s44, s45, 6
	s_mov_b32 s46, s43
.LBB16_39:                              ;   Parent Loop BB16_3 Depth=1
                                        ;     Parent Loop BB16_24 Depth=2
                                        ;       Parent Loop BB16_27 Depth=3
                                        ;         Parent Loop BB16_37 Depth=4
                                        ; =>        This Inner Loop Header: Depth=5
	s_delay_alu instid0(SALU_CYCLE_1)
	v_mov_b32_e32 v42, s46
	s_mov_b32 m0, s18
	s_add_nc_u64 s[18:19], s[18:19], 1
	v_movrels_b32_e32 v43, v18
	s_mov_b32 m0, s14
	ds_load_b32 v42, v42
	v_movrels_b32_e32 v44, v18
	s_add_co_i32 s46, s46, 4
	s_cmp_eq_u32 s14, s18
	s_wait_dscnt 0x0
	s_delay_alu instid0(VALU_DEP_1) | instskip(NEXT) | instid1(VALU_DEP_1)
	v_fma_f32 v42, -v43, v42, v44
	v_movreld_b32_e32 v18, v42
	s_cbranch_scc0 .LBB16_39
; %bb.40:                               ;   in Loop: Header=BB16_37 Depth=4
	s_mov_b64 s[18:19], s[14:15]
	s_branch .LBB16_36
.LBB16_41:                              ;   in Loop: Header=BB16_24 Depth=2
	s_cmp_lt_i32 s33, s21
	s_cselect_b32 s15, -1, 0
	s_add_co_i32 s14, s34, 1
	s_cmp_lt_u32 s34, 2
	s_cselect_b32 s18, -1, 0
	s_delay_alu instid0(SALU_CYCLE_1) | instskip(NEXT) | instid1(SALU_CYCLE_1)
	s_and_b32 s15, s15, s18
	s_and_b32 vcc_lo, exec_lo, s15
	s_cbranch_vccz .LBB16_43
; %bb.42:                               ;   in Loop: Header=BB16_24 Depth=2
	s_wait_xcnt 0x0
	s_mov_b32 s34, s14
	s_branch .LBB16_24
.LBB16_43:                              ;   in Loop: Header=BB16_3 Depth=1
	s_mov_b32 s14, 0
.LBB16_44:                              ;   in Loop: Header=BB16_3 Depth=1
	s_delay_alu instid0(SALU_CYCLE_1)
	s_and_b32 vcc_lo, exec_lo, s14
	s_cbranch_vccz .LBB16_64
; %bb.45:                               ;   in Loop: Header=BB16_3 Depth=1
	s_wait_xcnt 0x0
	s_mov_b32 s34, 0
	s_mov_b32 s33, s22
	s_load_b32 s35, s[8:9], s34 offset:0x0 scale_offset
	s_wait_kmcnt 0x0
	s_add_co_i32 s36, s35, -1
	s_delay_alu instid0(SALU_CYCLE_1)
	s_cmp_lt_i32 s33, s36
	s_cbranch_scc1 .LBB16_61
.LBB16_46:                              ;   in Loop: Header=BB16_3 Depth=1
	s_lshl_b32 s14, s35, 6
	v_lshl_add_u32 v18, s33, 6, v40
	s_sub_co_i32 s38, 0, s14
	s_lshl_b32 s14, s33, 2
	s_lshl_b32 s15, s35, 2
	s_max_i32 s37, s35, 1
	s_add_co_i32 s39, s1, s14
	s_sub_co_i32 s40, 0, s15
	s_mul_i32 s41, s33, 0x44
	s_mul_i32 s42, s35, 0xffffffbc
	s_branch .LBB16_48
.LBB16_47:                              ;   in Loop: Header=BB16_48 Depth=2
	v_add_nc_u32_e32 v18, s38, v18
	s_sub_co_i32 s33, s33, s35
	s_add_co_i32 s39, s39, s40
	s_add_co_i32 s41, s41, s42
	s_cmp_lt_i32 s33, s36
	s_cbranch_scc1 .LBB16_61
.LBB16_48:                              ;   Parent Loop BB16_3 Depth=1
                                        ; =>  This Loop Header: Depth=2
                                        ;       Child Loop BB16_49 Depth 3
                                        ;       Child Loop BB16_51 Depth 3
                                        ;         Child Loop BB16_52 Depth 4
                                        ;       Child Loop BB16_57 Depth 3
                                        ;         Child Loop BB16_59 Depth 4
	v_mov_b32_e32 v19, v18
	s_mov_b64 s[14:15], 0
.LBB16_49:                              ;   Parent Loop BB16_3 Depth=1
                                        ;     Parent Loop BB16_48 Depth=2
                                        ; =>    This Inner Loop Header: Depth=3
	ds_load_b32 v20, v19
	v_subrev_nc_u32_e32 v19, 64, v19
	s_mov_b32 m0, s14
	s_add_nc_u64 s[14:15], s[14:15], 1
	s_delay_alu instid0(SALU_CYCLE_1)
	s_cmp_eq_u32 s37, s14
	s_wait_dscnt 0x0
	v_movreld_b32_e32 v2, v20
	s_cbranch_scc0 .LBB16_49
; %bb.50:                               ;   in Loop: Header=BB16_48 Depth=2
	s_cmp_le_i32 s22, s33
	s_mov_b32 s18, s39
	s_mov_b32 s19, s22
	s_cbranch_scc1 .LBB16_54
.LBB16_51:                              ;   Parent Loop BB16_3 Depth=1
                                        ;     Parent Loop BB16_48 Depth=2
                                        ; =>    This Loop Header: Depth=3
                                        ;         Child Loop BB16_52 Depth 4
	v_lshl_add_u32 v19, s19, 6, v40
	s_mov_b64 s[14:15], 0
	s_mov_b32 s43, s18
	ds_load_b32 v19, v19
.LBB16_52:                              ;   Parent Loop BB16_3 Depth=1
                                        ;     Parent Loop BB16_48 Depth=2
                                        ;       Parent Loop BB16_51 Depth=3
                                        ; =>      This Inner Loop Header: Depth=4
	v_mov_b32_e32 v20, s43
	s_mov_b32 m0, s14
	s_add_nc_u64 s[14:15], s[14:15], 1
	v_movrels_b32_e32 v21, v2
	s_add_co_i32 s43, s43, -4
	ds_load_b32 v20, v20
	s_cmp_eq_u32 s37, s14
	s_wait_dscnt 0x0
	v_fma_f32 v20, -v19, v20, v21
	s_delay_alu instid0(VALU_DEP_1)
	v_movreld_b32_e32 v2, v20
	s_cbranch_scc0 .LBB16_52
; %bb.53:                               ;   in Loop: Header=BB16_51 Depth=3
	s_add_co_i32 s19, s19, -1
	s_sub_co_i32 s18, s18, 64
	s_cmp_le_i32 s19, s33
	s_cbranch_scc0 .LBB16_51
.LBB16_54:                              ;   in Loop: Header=BB16_48 Depth=2
	s_mov_b64 s[14:15], 0
	s_mov_b32 s43, s41
	s_branch .LBB16_57
.LBB16_55:                              ;   in Loop: Header=BB16_57 Depth=3
	s_mov_b32 s44, s33
	s_mov_b64 s[18:19], 0
.LBB16_56:                              ;   in Loop: Header=BB16_57 Depth=3
	s_delay_alu instid0(SALU_CYCLE_1)
	s_mov_b32 m0, s18
	s_mul_i32 s18, s44, 0x44
	v_movrels_b32_e32 v20, v2
	v_mov_b32_e32 v19, s18
	s_add_nc_u64 s[14:15], s[14:15], 1
	s_add_co_i32 s43, s43, -4
	s_cmp_eq_u32 s14, s37
	ds_load_b32 v19, v19
	s_wait_dscnt 0x0
	v_mul_f32_e32 v19, v20, v19
	v_lshl_add_u32 v20, s44, 6, v40
	s_delay_alu instid0(VALU_DEP_2)
	v_movreld_b32_e32 v2, v19
	ds_store_b32 v20, v19
	s_cbranch_scc1 .LBB16_47
.LBB16_57:                              ;   Parent Loop BB16_3 Depth=1
                                        ;     Parent Loop BB16_48 Depth=2
                                        ; =>    This Loop Header: Depth=3
                                        ;         Child Loop BB16_59 Depth 4
	s_cmp_eq_u32 s14, 0
	s_cbranch_scc1 .LBB16_55
; %bb.58:                               ;   in Loop: Header=BB16_57 Depth=3
	s_sub_co_i32 s44, s33, s14
	s_mov_b64 s[18:19], 0
	s_mov_b32 s45, s43
.LBB16_59:                              ;   Parent Loop BB16_3 Depth=1
                                        ;     Parent Loop BB16_48 Depth=2
                                        ;       Parent Loop BB16_57 Depth=3
                                        ; =>      This Inner Loop Header: Depth=4
	s_delay_alu instid0(SALU_CYCLE_1)
	v_mov_b32_e32 v19, s45
	s_mov_b32 m0, s18
	s_add_nc_u64 s[18:19], s[18:19], 1
	v_movrels_b32_e32 v20, v2
	s_mov_b32 m0, s14
	ds_load_b32 v19, v19
	v_movrels_b32_e32 v21, v2
	s_sub_co_i32 s45, s45, 64
	s_cmp_eq_u32 s14, s18
	s_wait_dscnt 0x0
	s_delay_alu instid0(VALU_DEP_1) | instskip(NEXT) | instid1(VALU_DEP_1)
	v_fma_f32 v19, -v20, v19, v21
	v_movreld_b32_e32 v2, v19
	s_cbranch_scc0 .LBB16_59
; %bb.60:                               ;   in Loop: Header=BB16_57 Depth=3
	s_mov_b64 s[18:19], s[14:15]
	s_branch .LBB16_56
.LBB16_61:                              ;   Parent Loop BB16_3 Depth=1
                                        ; =>  This Inner Loop Header: Depth=2
	s_cmp_gt_i32 s33, -1
	s_cselect_b32 s15, -1, 0
	s_add_co_i32 s14, s34, 1
	s_cmp_lt_u32 s34, 2
	s_cselect_b32 s18, -1, 0
	s_delay_alu instid0(SALU_CYCLE_1) | instskip(NEXT) | instid1(SALU_CYCLE_1)
	s_and_b32 s15, s15, s18
	s_and_not1_b32 vcc_lo, exec_lo, s15
	s_cbranch_vccnz .LBB16_63
; %bb.62:                               ;   in Loop: Header=BB16_61 Depth=2
	s_wait_xcnt 0x0
	s_mov_b32 s34, s14
	s_load_b32 s35, s[8:9], s34 offset:0x0 scale_offset
	s_wait_kmcnt 0x0
	s_add_co_i32 s36, s35, -1
	s_delay_alu instid0(SALU_CYCLE_1)
	s_cmp_lt_i32 s33, s36
	s_cbranch_scc0 .LBB16_46
	s_branch .LBB16_61
.LBB16_63:                              ;   in Loop: Header=BB16_3 Depth=1
	v_mov_b64_e32 v[32:33], v[16:17]
	v_mov_b64_e32 v[30:31], v[14:15]
	;; [unrolled: 1-line block ×8, first 2 shown]
.LBB16_64:                              ;   in Loop: Header=BB16_3 Depth=1
	s_delay_alu instid0(VALU_DEP_1) | instskip(NEXT) | instid1(VALU_DEP_3)
	v_mov_b64_e32 v[2:3], v[18:19]
	v_mov_b64_e32 v[4:5], v[20:21]
	;; [unrolled: 1-line block ×8, first 2 shown]
	s_wait_dscnt 0x0
	; wave barrier
	s_and_saveexec_b32 s14, s25
	s_cbranch_execz .LBB16_2
; %bb.65:                               ;   in Loop: Header=BB16_3 Depth=1
	s_and_not1_b32 vcc_lo, exec_lo, s29
	s_cbranch_vccnz .LBB16_69
; %bb.66:                               ;   in Loop: Header=BB16_3 Depth=1
	s_mov_b32 s15, 1
	s_mov_b32 s18, 0
	;; [unrolled: 1-line block ×3, first 2 shown]
.LBB16_67:                              ;   Parent Loop BB16_3 Depth=1
                                        ; =>  This Inner Loop Header: Depth=2
	v_lshl_add_u32 v18, s18, 6, v40
	v_lshl_add_u32 v19, s15, 6, v40
	s_add_co_i32 s19, s19, -2
	s_add_co_i32 s18, s18, 2
	s_add_co_i32 s15, s15, 2
	ds_load_b32 v18, v18
	ds_load_b32 v19, v19
	s_mov_b32 s33, s30
	s_cmp_lg_u32 s19, 0
	s_wait_xcnt 0x0
	s_mov_b32 s34, s31
	s_wait_dscnt 0x0
	global_store_b64 v[38:39], v[18:19], off
	s_wait_xcnt 0x0
	v_add_nc_u64_e32 v[38:39], 8, v[38:39]
	s_cbranch_scc1 .LBB16_67
; %bb.68:                               ;   in Loop: Header=BB16_3 Depth=1
	s_and_b32 vcc_lo, exec_lo, s34
	s_cbranch_vccz .LBB16_2
	s_branch .LBB16_70
.LBB16_69:                              ;   in Loop: Header=BB16_3 Depth=1
	s_wait_xcnt 0x0
	s_mov_b32 s33, 0
	s_cbranch_execz .LBB16_2
.LBB16_70:                              ;   in Loop: Header=BB16_3 Depth=1
	s_lshl_b32 s18, s33, 2
	s_mov_b32 s19, s3
	v_lshl_add_u32 v20, s33, 6, v40
	s_add_nc_u64 s[12:13], s[12:13], s[18:19]
	s_delay_alu instid0(SALU_CYCLE_1)
	v_add_nc_u64_e32 v[18:19], s[12:13], v[36:37]
	s_sub_co_i32 s12, s21, s33
.LBB16_71:                              ;   Parent Loop BB16_3 Depth=1
                                        ; =>  This Inner Loop Header: Depth=2
	ds_load_b32 v21, v20
	v_add_nc_u32_e32 v20, 64, v20
	s_add_co_i32 s12, s12, -1
	s_delay_alu instid0(SALU_CYCLE_1)
	s_cmp_lg_u32 s12, 0
	s_wait_dscnt 0x0
	global_store_b32 v[18:19], v21, off
	s_wait_xcnt 0x0
	v_add_nc_u64_e32 v[18:19], 4, v[18:19]
	s_cbranch_scc1 .LBB16_71
	s_branch .LBB16_2
.LBB16_72:
	s_endpgm
	.section	.rodata,"a",@progbits
	.p2align	6, 0x0
	.amdhsa_kernel _ZL38rocblas_trsm_small_left_device_sharedBILi16ELi16ELb0EffPKfPfEv13rocblas_fill_18rocblas_operation_17rocblas_diagonal_iiT3_T4_lilT5_lili
		.amdhsa_group_segment_fixed_size 2048
		.amdhsa_private_segment_fixed_size 0
		.amdhsa_kernarg_size 352
		.amdhsa_user_sgpr_count 2
		.amdhsa_user_sgpr_dispatch_ptr 0
		.amdhsa_user_sgpr_queue_ptr 0
		.amdhsa_user_sgpr_kernarg_segment_ptr 1
		.amdhsa_user_sgpr_dispatch_id 0
		.amdhsa_user_sgpr_kernarg_preload_length 0
		.amdhsa_user_sgpr_kernarg_preload_offset 0
		.amdhsa_user_sgpr_private_segment_size 0
		.amdhsa_wavefront_size32 1
		.amdhsa_uses_dynamic_stack 0
		.amdhsa_enable_private_segment 0
		.amdhsa_system_sgpr_workgroup_id_x 1
		.amdhsa_system_sgpr_workgroup_id_y 0
		.amdhsa_system_sgpr_workgroup_id_z 1
		.amdhsa_system_sgpr_workgroup_info 0
		.amdhsa_system_vgpr_workitem_id 0
		.amdhsa_next_free_vgpr 45
		.amdhsa_next_free_sgpr 47
		.amdhsa_named_barrier_count 0
		.amdhsa_reserve_vcc 1
		.amdhsa_float_round_mode_32 0
		.amdhsa_float_round_mode_16_64 0
		.amdhsa_float_denorm_mode_32 3
		.amdhsa_float_denorm_mode_16_64 3
		.amdhsa_fp16_overflow 0
		.amdhsa_memory_ordered 1
		.amdhsa_forward_progress 1
		.amdhsa_inst_pref_size 21
		.amdhsa_round_robin_scheduling 0
		.amdhsa_exception_fp_ieee_invalid_op 0
		.amdhsa_exception_fp_denorm_src 0
		.amdhsa_exception_fp_ieee_div_zero 0
		.amdhsa_exception_fp_ieee_overflow 0
		.amdhsa_exception_fp_ieee_underflow 0
		.amdhsa_exception_fp_ieee_inexact 0
		.amdhsa_exception_int_div_zero 0
	.end_amdhsa_kernel
	.section	.text._ZL38rocblas_trsm_small_left_device_sharedBILi16ELi16ELb0EffPKfPfEv13rocblas_fill_18rocblas_operation_17rocblas_diagonal_iiT3_T4_lilT5_lili,"axG",@progbits,_ZL38rocblas_trsm_small_left_device_sharedBILi16ELi16ELb0EffPKfPfEv13rocblas_fill_18rocblas_operation_17rocblas_diagonal_iiT3_T4_lilT5_lili,comdat
.Lfunc_end16:
	.size	_ZL38rocblas_trsm_small_left_device_sharedBILi16ELi16ELb0EffPKfPfEv13rocblas_fill_18rocblas_operation_17rocblas_diagonal_iiT3_T4_lilT5_lili, .Lfunc_end16-_ZL38rocblas_trsm_small_left_device_sharedBILi16ELi16ELb0EffPKfPfEv13rocblas_fill_18rocblas_operation_17rocblas_diagonal_iiT3_T4_lilT5_lili
                                        ; -- End function
	.set _ZL38rocblas_trsm_small_left_device_sharedBILi16ELi16ELb0EffPKfPfEv13rocblas_fill_18rocblas_operation_17rocblas_diagonal_iiT3_T4_lilT5_lili.num_vgpr, 45
	.set _ZL38rocblas_trsm_small_left_device_sharedBILi16ELi16ELb0EffPKfPfEv13rocblas_fill_18rocblas_operation_17rocblas_diagonal_iiT3_T4_lilT5_lili.num_agpr, 0
	.set _ZL38rocblas_trsm_small_left_device_sharedBILi16ELi16ELb0EffPKfPfEv13rocblas_fill_18rocblas_operation_17rocblas_diagonal_iiT3_T4_lilT5_lili.numbered_sgpr, 47
	.set _ZL38rocblas_trsm_small_left_device_sharedBILi16ELi16ELb0EffPKfPfEv13rocblas_fill_18rocblas_operation_17rocblas_diagonal_iiT3_T4_lilT5_lili.num_named_barrier, 0
	.set _ZL38rocblas_trsm_small_left_device_sharedBILi16ELi16ELb0EffPKfPfEv13rocblas_fill_18rocblas_operation_17rocblas_diagonal_iiT3_T4_lilT5_lili.private_seg_size, 0
	.set _ZL38rocblas_trsm_small_left_device_sharedBILi16ELi16ELb0EffPKfPfEv13rocblas_fill_18rocblas_operation_17rocblas_diagonal_iiT3_T4_lilT5_lili.uses_vcc, 1
	.set _ZL38rocblas_trsm_small_left_device_sharedBILi16ELi16ELb0EffPKfPfEv13rocblas_fill_18rocblas_operation_17rocblas_diagonal_iiT3_T4_lilT5_lili.uses_flat_scratch, 0
	.set _ZL38rocblas_trsm_small_left_device_sharedBILi16ELi16ELb0EffPKfPfEv13rocblas_fill_18rocblas_operation_17rocblas_diagonal_iiT3_T4_lilT5_lili.has_dyn_sized_stack, 0
	.set _ZL38rocblas_trsm_small_left_device_sharedBILi16ELi16ELb0EffPKfPfEv13rocblas_fill_18rocblas_operation_17rocblas_diagonal_iiT3_T4_lilT5_lili.has_recursion, 0
	.set _ZL38rocblas_trsm_small_left_device_sharedBILi16ELi16ELb0EffPKfPfEv13rocblas_fill_18rocblas_operation_17rocblas_diagonal_iiT3_T4_lilT5_lili.has_indirect_call, 0
	.section	.AMDGPU.csdata,"",@progbits
; Kernel info:
; codeLenInByte = 2604
; TotalNumSgprs: 49
; NumVgprs: 45
; ScratchSize: 0
; MemoryBound: 0
; FloatMode: 240
; IeeeMode: 1
; LDSByteSize: 2048 bytes/workgroup (compile time only)
; SGPRBlocks: 0
; VGPRBlocks: 2
; NumSGPRsForWavesPerEU: 49
; NumVGPRsForWavesPerEU: 45
; NamedBarCnt: 0
; Occupancy: 16
; WaveLimiterHint : 0
; COMPUTE_PGM_RSRC2:SCRATCH_EN: 0
; COMPUTE_PGM_RSRC2:USER_SGPR: 2
; COMPUTE_PGM_RSRC2:TRAP_HANDLER: 0
; COMPUTE_PGM_RSRC2:TGID_X_EN: 1
; COMPUTE_PGM_RSRC2:TGID_Y_EN: 0
; COMPUTE_PGM_RSRC2:TGID_Z_EN: 1
; COMPUTE_PGM_RSRC2:TIDIG_COMP_CNT: 0
	.section	.text._ZL30rocblas_trsm_small_left_deviceILi16ELi16ELb0EffPKfPfEv13rocblas_fill_18rocblas_operation_17rocblas_diagonal_iiT3_T4_lilT5_lili,"axG",@progbits,_ZL30rocblas_trsm_small_left_deviceILi16ELi16ELb0EffPKfPfEv13rocblas_fill_18rocblas_operation_17rocblas_diagonal_iiT3_T4_lilT5_lili,comdat
	.globl	_ZL30rocblas_trsm_small_left_deviceILi16ELi16ELb0EffPKfPfEv13rocblas_fill_18rocblas_operation_17rocblas_diagonal_iiT3_T4_lilT5_lili ; -- Begin function _ZL30rocblas_trsm_small_left_deviceILi16ELi16ELb0EffPKfPfEv13rocblas_fill_18rocblas_operation_17rocblas_diagonal_iiT3_T4_lilT5_lili
	.p2align	8
	.type	_ZL30rocblas_trsm_small_left_deviceILi16ELi16ELb0EffPKfPfEv13rocblas_fill_18rocblas_operation_17rocblas_diagonal_iiT3_T4_lilT5_lili,@function
_ZL30rocblas_trsm_small_left_deviceILi16ELi16ELb0EffPKfPfEv13rocblas_fill_18rocblas_operation_17rocblas_diagonal_iiT3_T4_lilT5_lili: ; @_ZL30rocblas_trsm_small_left_deviceILi16ELi16ELb0EffPKfPfEv13rocblas_fill_18rocblas_operation_17rocblas_diagonal_iiT3_T4_lilT5_lili
; %bb.0:
	s_load_b32 s30, s[0:1], 0x58
	s_bfe_u32 s2, ttmp6, 0x40014
	s_lshr_b32 s4, ttmp7, 16
	s_add_co_i32 s2, s2, 1
	s_bfe_u32 s5, ttmp6, 0x40008
	s_mul_i32 s2, s4, s2
	s_getreg_b32 s3, hwreg(HW_REG_IB_STS2, 6, 4)
	s_add_co_i32 s5, s5, s2
	s_cmp_eq_u32 s3, 0
	s_mov_b32 s19, 0
	s_cselect_b32 s2, s4, s5
	s_wait_kmcnt 0x0
	s_cmp_ge_u32 s2, s30
	s_cbranch_scc1 .LBB17_58
; %bb.1:
	s_clause 0x7
	s_load_b32 s22, s[0:1], 0x28
	s_load_b96 s[16:18], s[0:1], 0x40
	s_load_b128 s[4:7], s[0:1], 0x4
	s_load_b32 s26, s[0:1], 0x60
	s_load_b128 s[8:11], s[0:1], 0x18
	s_load_b128 s[12:15], s[0:1], 0x30
	s_load_b64 s[20:21], s[0:1], 0x50
	s_load_b32 s31, s[0:1], 0x14
	v_dual_mov_b32 v35, 0 :: v_dual_lshlrev_b32 v34, 2, v0
	v_lshlrev_b32_e32 v20, 6, v0
	s_mov_b32 s41, 0
	s_delay_alu instid0(VALU_DEP_2)
	v_dual_mov_b32 v2, v35 :: v_dual_mov_b32 v4, v35
	v_dual_mov_b32 v5, v35 :: v_dual_mov_b32 v7, v35
	;; [unrolled: 1-line block ×3, first 2 shown]
	s_wait_kmcnt 0x0
	s_ashr_i32 s23, s22, 31
	v_dual_mov_b32 v13, v35 :: v_dual_mov_b32 v14, v35
	s_cmp_eq_u64 s[22:23], 1
	v_dual_mov_b32 v15, v35 :: v_dual_mov_b32 v16, v35
	s_cselect_b32 s27, -1, 0
	s_bfe_u32 s0, ttmp6, 0x4000c
	s_min_i32 s33, s6, 16
	s_add_co_i32 s0, s0, 1
	s_and_b32 s6, ttmp6, 15
	s_mul_i32 s0, ttmp9, s0
	s_ashr_i32 s1, s18, 31
	s_lshl_b64 s[24:25], s[16:17], 2
	s_add_co_i32 s26, s26, -1
	s_add_co_i32 s34, s33, -1
	s_add_co_i32 s6, s6, s0
	s_cmp_eq_u32 s3, 0
	v_mov_b32_e32 v3, v35
	s_cselect_b32 s3, ttmp9, s6
	s_mov_b32 s0, s18
	s_lshl_b32 s6, s3, 4
	s_add_nc_u64 s[14:15], s[14:15], s[24:25]
	v_dual_mov_b32 v6, v35 :: v_dual_bitop2_b32 v10, s6, v0 bitop3:0x54
	v_mov_b32_e32 v17, v35
	s_get_pc_i64 s[16:17]
	s_add_nc_u64 s[16:17], s[16:17], __const._ZL30rocblas_trsm_small_left_deviceILi16ELi16ELb0EffPKfPfEv13rocblas_fill_18rocblas_operation_17rocblas_diagonal_iiT3_T4_lilT5_lili.step_sizes@rel64+4
	s_delay_alu instid0(VALU_DEP_2) | instskip(NEXT) | instid1(VALU_DEP_1)
	v_dual_mov_b32 v12, v35 :: v_dual_ashrrev_i32 v11, 31, v10
	v_mul_u64_e32 v[18:19], s[0:1], v[10:11]
	s_sub_co_i32 s0, s7, s6
	s_cmp_ge_u32 s3, s26
	v_mov_b32_e32 v10, v35
	s_cselect_b32 s1, s0, 16
	s_cmp_lg_u32 s5, 0x84
	v_cmp_gt_i32_e64 s0, s33, v0
	s_cselect_b32 s35, -1, 0
	s_cmp_lg_u32 s4, 0x6f
	v_cmp_gt_i32_e64 s1, s1, v0
	s_cselect_b32 s36, -1, 0
	s_cmp_gt_u32 s33, 1
	v_mov_b32_e32 v11, v35
	s_cselect_b32 s3, -1, 0
	s_and_b32 s37, s33, -2
	s_and_b32 s38, s3, s27
	s_cmp_lg_u32 s33, s37
	s_cselect_b32 s39, -1, 0
	s_lshl_b64 s[10:11], s[10:11], 2
	s_lshl_b32 s3, s33, 6
	s_add_nc_u64 s[8:9], s[8:9], s[10:11]
	s_lshl_b64 s[4:5], s[12:13], 2
	v_add_nc_u64_e32 v[0:1], s[8:9], v[34:35]
	v_add_nc_u32_e32 v35, v34, v20
	s_lshl_b64 s[6:7], s[22:23], 2
	s_lshl_b64 s[8:9], s[20:21], 2
	s_sub_co_i32 s40, s3, 64
	v_lshl_add_u64 v[36:37], v[18:19], 2, s[14:15]
	s_branch .LBB17_5
.LBB17_2:                               ;   in Loop: Header=BB17_5 Depth=1
	s_wait_xcnt 0x0
	v_mov_b64_e32 v[32:33], v[16:17]
	v_mov_b64_e32 v[30:31], v[14:15]
	;; [unrolled: 1-line block ×8, first 2 shown]
.LBB17_3:                               ;   in Loop: Header=BB17_5 Depth=1
	s_add_co_i32 s2, s2, 0x10000
	s_delay_alu instid0(SALU_CYCLE_1) | instskip(SKIP_1) | instid1(SALU_CYCLE_1)
	s_cmp_ge_u32 s2, s30
	s_cselect_b32 s3, -1, 0
	s_or_not1_b32 s10, s3, exec_lo
.LBB17_4:                               ;   in Loop: Header=BB17_5 Depth=1
	s_wait_xcnt 0x0
	s_or_b32 exec_lo, exec_lo, s42
	v_mov_b64_e32 v[2:3], v[18:19]
	v_mov_b64_e32 v[4:5], v[20:21]
	;; [unrolled: 1-line block ×8, first 2 shown]
	s_and_b32 s3, exec_lo, s10
	s_delay_alu instid0(SALU_CYCLE_1) | instskip(NEXT) | instid1(SALU_CYCLE_1)
	s_or_b32 s41, s3, s41
	s_and_not1_b32 exec_lo, exec_lo, s41
	s_cbranch_execz .LBB17_58
.LBB17_5:                               ; =>This Loop Header: Depth=1
                                        ;     Child Loop BB17_8 Depth 2
                                        ;     Child Loop BB17_12 Depth 2
	;; [unrolled: 1-line block ×3, first 2 shown]
                                        ;       Child Loop BB17_22 Depth 3
                                        ;         Child Loop BB17_23 Depth 4
                                        ;         Child Loop BB17_26 Depth 4
                                        ;           Child Loop BB17_27 Depth 5
                                        ;         Child Loop BB17_32 Depth 4
                                        ;           Child Loop BB17_34 Depth 5
                                        ;     Child Loop BB17_43 Depth 2
                                        ;       Child Loop BB17_44 Depth 3
                                        ;       Child Loop BB17_46 Depth 3
                                        ;         Child Loop BB17_47 Depth 4
                                        ;       Child Loop BB17_52 Depth 3
                                        ;         Child Loop BB17_54 Depth 4
                                        ;     Child Loop BB17_56 Depth 2
	s_mov_b32 s3, s19
	s_and_saveexec_b32 s12, s0
	s_cbranch_execz .LBB17_16
; %bb.6:                                ;   in Loop: Header=BB17_5 Depth=1
	s_and_not1_b32 vcc_lo, exec_lo, s38
	s_mul_u64 s[10:11], s[4:5], s[2:3]
	s_cbranch_vccnz .LBB17_10
; %bb.7:                                ;   in Loop: Header=BB17_5 Depth=1
	v_add_nc_u64_e32 v[18:19], s[10:11], v[0:1]
	s_mov_b32 s13, 1
	s_mov_b32 s14, 0
	s_mov_b32 s15, s37
.LBB17_8:                               ;   Parent Loop BB17_5 Depth=1
                                        ; =>  This Inner Loop Header: Depth=2
	global_load_b64 v[20:21], v[18:19], off
	s_wait_xcnt 0x0
	v_add_nc_u64_e32 v[18:19], 8, v[18:19]
	v_lshl_or_b32 v22, s14, 6, v34
	v_lshl_or_b32 v23, s13, 6, v34
	s_add_co_i32 s15, s15, -2
	s_add_co_i32 s14, s14, 2
	s_add_co_i32 s13, s13, 2
	s_mov_b32 s18, s37
	s_mov_b32 s22, s39
	s_cmp_lg_u32 s15, 0
	s_wait_loadcnt 0x0
	ds_store_b32 v22, v20
	ds_store_b32 v23, v21
	s_cbranch_scc1 .LBB17_8
; %bb.9:                                ;   in Loop: Header=BB17_5 Depth=1
	s_and_b32 vcc_lo, exec_lo, s22
	s_cbranch_vccnz .LBB17_11
	s_branch .LBB17_13
.LBB17_10:                              ;   in Loop: Header=BB17_5 Depth=1
	s_mov_b32 s18, 0
	s_cbranch_execz .LBB17_13
.LBB17_11:                              ;   in Loop: Header=BB17_5 Depth=1
	s_mul_u64 s[14:15], s[6:7], s[18:19]
	v_lshl_or_b32 v20, s18, 6, v34
	s_add_nc_u64 s[10:11], s[14:15], s[10:11]
	s_delay_alu instid0(SALU_CYCLE_1)
	v_add_nc_u64_e32 v[18:19], s[10:11], v[0:1]
	s_sub_co_i32 s10, s33, s18
.LBB17_12:                              ;   Parent Loop BB17_5 Depth=1
                                        ; =>  This Inner Loop Header: Depth=2
	global_load_b32 v21, v[18:19], off
	s_wait_xcnt 0x0
	v_add_nc_u64_e32 v[18:19], s[6:7], v[18:19]
	s_add_co_i32 s10, s10, -1
	s_delay_alu instid0(SALU_CYCLE_1)
	s_cmp_eq_u32 s10, 0
	s_wait_loadcnt 0x0
	ds_store_b32 v20, v21
	v_add_nc_u32_e32 v20, 64, v20
	s_cbranch_scc0 .LBB17_12
.LBB17_13:                              ;   in Loop: Header=BB17_5 Depth=1
	v_mov_b32_e32 v18, 1.0
	s_and_b32 vcc_lo, exec_lo, s35
	s_cbranch_vccz .LBB17_15
; %bb.14:                               ;   in Loop: Header=BB17_5 Depth=1
	ds_load_b32 v18, v35
	s_wait_dscnt 0x0
	v_div_scale_f32 v19, null, v18, v18, 1.0
	s_delay_alu instid0(VALU_DEP_1) | instskip(SKIP_1) | instid1(TRANS32_DEP_1)
	v_rcp_f32_e32 v20, v19
	v_nop
	v_fma_f32 v21, -v19, v20, 1.0
	s_delay_alu instid0(VALU_DEP_1) | instskip(SKIP_1) | instid1(VALU_DEP_1)
	v_fmac_f32_e32 v20, v21, v20
	v_div_scale_f32 v21, vcc_lo, 1.0, v18, 1.0
	v_mul_f32_e32 v22, v21, v20
	s_delay_alu instid0(VALU_DEP_1) | instskip(NEXT) | instid1(VALU_DEP_1)
	v_fma_f32 v23, -v19, v22, v21
	v_fmac_f32_e32 v22, v23, v20
	s_delay_alu instid0(VALU_DEP_1) | instskip(NEXT) | instid1(VALU_DEP_1)
	v_fma_f32 v19, -v19, v22, v21
	v_div_fmas_f32 v19, v19, v20, v22
	s_delay_alu instid0(VALU_DEP_1)
	v_div_fixup_f32 v18, v19, v18, 1.0
.LBB17_15:                              ;   in Loop: Header=BB17_5 Depth=1
	ds_store_b32 v35, v18
.LBB17_16:                              ;   in Loop: Header=BB17_5 Depth=1
	s_or_b32 exec_lo, exec_lo, s12
	s_mov_b32 s10, -1
	s_wait_dscnt 0x0
	; wave barrier
                                        ; implicit-def: $vgpr18_vgpr19_vgpr20_vgpr21_vgpr22_vgpr23_vgpr24_vgpr25_vgpr26_vgpr27_vgpr28_vgpr29_vgpr30_vgpr31_vgpr32_vgpr33
	s_and_saveexec_b32 s42, s1
	s_cbranch_execz .LBB17_4
; %bb.17:                               ;   in Loop: Header=BB17_5 Depth=1
	s_mul_u64 s[10:11], s[20:21], s[2:3]
	s_and_not1_b32 vcc_lo, exec_lo, s36
	v_lshl_add_u64 v[38:39], s[10:11], 2, v[36:37]
	s_mul_u64 s[10:11], s[8:9], s[2:3]
	s_mov_b32 s3, -1
                                        ; implicit-def: $vgpr18_vgpr19_vgpr20_vgpr21_vgpr22_vgpr23_vgpr24_vgpr25_vgpr26_vgpr27_vgpr28_vgpr29_vgpr30_vgpr31_vgpr32_vgpr33
	s_cbranch_vccnz .LBB17_39
; %bb.18:                               ;   in Loop: Header=BB17_5 Depth=1
	v_mov_b64_e32 v[32:33], v[16:17]
	v_add_nc_u64_e32 v[40:41], s[10:11], v[36:37]
	v_mov_b64_e32 v[30:31], v[14:15]
	v_mov_b64_e32 v[28:29], v[12:13]
	;; [unrolled: 1-line block ×7, first 2 shown]
	s_mov_b32 s3, 0
	s_mov_b32 s12, 0
.LBB17_19:                              ;   Parent Loop BB17_5 Depth=1
                                        ; =>  This Loop Header: Depth=2
                                        ;       Child Loop BB17_22 Depth 3
                                        ;         Child Loop BB17_23 Depth 4
                                        ;         Child Loop BB17_26 Depth 4
                                        ;           Child Loop BB17_27 Depth 5
                                        ;         Child Loop BB17_32 Depth 4
                                        ;           Child Loop BB17_34 Depth 5
	s_load_b32 s14, s[16:17], s3 offset:0x0 scale_offset
	s_wait_kmcnt 0x0
	s_add_co_i32 s43, s14, -1
	s_delay_alu instid0(SALU_CYCLE_1) | instskip(NEXT) | instid1(SALU_CYCLE_1)
	s_add_co_i32 s13, s43, s12
	s_cmp_ge_i32 s13, s33
	s_cbranch_scc1 .LBB17_36
; %bb.20:                               ;   in Loop: Header=BB17_19 Depth=2
	s_ashr_i32 s13, s12, 31
	s_ashr_i32 s15, s14, 31
	v_lshl_add_u64 v[42:43], s[12:13], 2, v[40:41]
	s_max_i32 s44, s14, 1
	s_lshl_b64 s[22:23], s[14:15], 2
	s_lshl_b32 s13, s12, 6
	s_lshl_b32 s15, s14, 6
	s_mul_i32 s45, s12, 0x44
	s_mul_i32 s46, s14, 0x44
	s_branch .LBB17_22
.LBB17_21:                              ;   in Loop: Header=BB17_22 Depth=3
	v_add_nc_u64_e32 v[42:43], s[22:23], v[42:43]
	s_add_co_i32 s12, s12, s14
	s_add_co_i32 s13, s13, s15
	;; [unrolled: 1-line block ×4, first 2 shown]
	s_cmp_ge_i32 s18, s33
	s_cbranch_scc1 .LBB17_36
.LBB17_22:                              ;   Parent Loop BB17_5 Depth=1
                                        ;     Parent Loop BB17_19 Depth=2
                                        ; =>    This Loop Header: Depth=3
                                        ;         Child Loop BB17_23 Depth 4
                                        ;         Child Loop BB17_26 Depth 4
                                        ;           Child Loop BB17_27 Depth 5
                                        ;         Child Loop BB17_32 Depth 4
                                        ;           Child Loop BB17_34 Depth 5
	s_wait_xcnt 0x0
	v_mov_b64_e32 v[44:45], v[42:43]
	s_mov_b64 s[24:25], 0
.LBB17_23:                              ;   Parent Loop BB17_5 Depth=1
                                        ;     Parent Loop BB17_19 Depth=2
                                        ;       Parent Loop BB17_22 Depth=3
                                        ; =>      This Inner Loop Header: Depth=4
	global_load_b32 v46, v[44:45], off
	s_wait_xcnt 0x0
	v_add_nc_u64_e32 v[44:45], 4, v[44:45]
	s_mov_b32 m0, s24
	s_add_nc_u64 s[24:25], s[24:25], 1
	s_delay_alu instid0(SALU_CYCLE_1) | instskip(SKIP_2) | instid1(VALU_DEP_1)
	s_cmp_eq_u32 s44, s24
	s_wait_loadcnt 0x0
	v_mul_f32_e32 v46, s31, v46
	v_movreld_b32_e32 v18, v46
	s_cbranch_scc0 .LBB17_23
; %bb.24:                               ;   in Loop: Header=BB17_22 Depth=3
	s_cmp_lt_i32 s12, 1
	s_cbranch_scc1 .LBB17_29
; %bb.25:                               ;   in Loop: Header=BB17_22 Depth=3
	s_mov_b32 s18, 0
	s_mov_b32 s26, s13
.LBB17_26:                              ;   Parent Loop BB17_5 Depth=1
                                        ;     Parent Loop BB17_19 Depth=2
                                        ;       Parent Loop BB17_22 Depth=3
                                        ; =>      This Loop Header: Depth=4
                                        ;           Child Loop BB17_27 Depth 5
	v_lshl_add_u64 v[44:45], s[18:19], 2, v[38:39]
	s_mov_b64 s[24:25], 0
	s_mov_b32 s27, s26
	global_load_b32 v44, v[44:45], off
.LBB17_27:                              ;   Parent Loop BB17_5 Depth=1
                                        ;     Parent Loop BB17_19 Depth=2
                                        ;       Parent Loop BB17_22 Depth=3
                                        ;         Parent Loop BB17_26 Depth=4
                                        ; =>        This Inner Loop Header: Depth=5
	s_wait_xcnt 0x0
	v_mov_b32_e32 v45, s27
	s_mov_b32 m0, s24
	s_add_nc_u64 s[24:25], s[24:25], 1
	v_movrels_b32_e32 v46, v18
	s_add_co_i32 s27, s27, 64
	ds_load_b32 v45, v45
	s_cmp_eq_u32 s44, s24
	s_wait_loadcnt_dscnt 0x0
	v_fma_f32 v45, -v44, v45, v46
	s_delay_alu instid0(VALU_DEP_1)
	v_movreld_b32_e32 v18, v45
	s_cbranch_scc0 .LBB17_27
; %bb.28:                               ;   in Loop: Header=BB17_26 Depth=4
	s_add_co_i32 s18, s18, 1
	s_add_co_i32 s26, s26, 4
	s_cmp_eq_u32 s18, s12
	s_cbranch_scc0 .LBB17_26
.LBB17_29:                              ;   in Loop: Header=BB17_22 Depth=3
	s_mov_b64 s[24:25], 0
	s_mov_b32 s18, s45
	s_branch .LBB17_32
.LBB17_30:                              ;   in Loop: Header=BB17_32 Depth=4
	s_mov_b32 s26, s12
	s_mov_b64 s[28:29], 0
.LBB17_31:                              ;   in Loop: Header=BB17_32 Depth=4
	s_mul_i32 s27, s26, 0x44
	s_mov_b32 m0, s28
	s_wait_xcnt 0x0
	v_mov_b32_e32 v44, s27
	v_movrels_b32_e32 v45, v18
	s_ashr_i32 s27, s26, 31
	s_add_nc_u64 s[24:25], s[24:25], 1
	s_add_co_i32 s18, s18, 64
	ds_load_b32 v44, v44
	s_cmp_eq_u32 s24, s44
	s_wait_dscnt 0x0
	v_mul_f32_e32 v46, v45, v44
	v_lshl_add_u64 v[44:45], s[26:27], 2, v[38:39]
	s_delay_alu instid0(VALU_DEP_2)
	v_movreld_b32_e32 v18, v46
	global_store_b32 v[44:45], v46, off
	s_cbranch_scc1 .LBB17_21
.LBB17_32:                              ;   Parent Loop BB17_5 Depth=1
                                        ;     Parent Loop BB17_19 Depth=2
                                        ;       Parent Loop BB17_22 Depth=3
                                        ; =>      This Loop Header: Depth=4
                                        ;           Child Loop BB17_34 Depth 5
	s_cmp_eq_u32 s24, 0
	s_cbranch_scc1 .LBB17_30
; %bb.33:                               ;   in Loop: Header=BB17_32 Depth=4
	s_add_co_i32 s26, s24, s12
	s_mov_b64 s[28:29], 0
	s_mov_b32 s27, s18
.LBB17_34:                              ;   Parent Loop BB17_5 Depth=1
                                        ;     Parent Loop BB17_19 Depth=2
                                        ;       Parent Loop BB17_22 Depth=3
                                        ;         Parent Loop BB17_32 Depth=4
                                        ; =>        This Inner Loop Header: Depth=5
	s_wait_xcnt 0x0
	v_mov_b32_e32 v44, s27
	s_mov_b32 m0, s28
	s_add_nc_u64 s[28:29], s[28:29], 1
	v_movrels_b32_e32 v45, v18
	s_mov_b32 m0, s24
	ds_load_b32 v44, v44
	v_movrels_b32_e32 v46, v18
	s_add_co_i32 s27, s27, 4
	s_cmp_eq_u32 s24, s28
	s_wait_dscnt 0x0
	s_delay_alu instid0(VALU_DEP_1) | instskip(NEXT) | instid1(VALU_DEP_1)
	v_fma_f32 v44, -v45, v44, v46
	v_movreld_b32_e32 v18, v44
	s_cbranch_scc0 .LBB17_34
; %bb.35:                               ;   in Loop: Header=BB17_32 Depth=4
	s_mov_b64 s[28:29], s[24:25]
	s_branch .LBB17_31
.LBB17_36:                              ;   in Loop: Header=BB17_19 Depth=2
	s_cmp_lt_i32 s12, s33
	s_cselect_b32 s14, -1, 0
	s_add_co_i32 s13, s3, 1
	s_cmp_lt_u32 s3, 2
	s_wait_xcnt 0x0
	s_cselect_b32 s3, -1, 0
	s_delay_alu instid0(SALU_CYCLE_1) | instskip(NEXT) | instid1(SALU_CYCLE_1)
	s_and_b32 s3, s14, s3
	s_and_b32 vcc_lo, exec_lo, s3
	s_cbranch_vccz .LBB17_38
; %bb.37:                               ;   in Loop: Header=BB17_19 Depth=2
	s_mov_b32 s3, s13
	s_branch .LBB17_19
.LBB17_38:                              ;   in Loop: Header=BB17_5 Depth=1
	s_mov_b32 s3, 0
.LBB17_39:                              ;   in Loop: Header=BB17_5 Depth=1
	s_delay_alu instid0(SALU_CYCLE_1)
	s_and_b32 vcc_lo, exec_lo, s3
	s_cbranch_vccz .LBB17_3
; %bb.40:                               ;   in Loop: Header=BB17_5 Depth=1
	v_add_nc_u64_e32 v[18:19], s[10:11], v[36:37]
	s_mov_b32 s3, 0
	s_mov_b32 s10, s34
	s_load_b32 s18, s[16:17], s3 offset:0x0 scale_offset
	s_wait_kmcnt 0x0
	s_add_co_i32 s26, s18, -1
	s_delay_alu instid0(SALU_CYCLE_1)
	s_cmp_lt_i32 s10, s26
	s_cbranch_scc1 .LBB17_56
.LBB17_41:                              ;   in Loop: Header=BB17_5 Depth=1
	s_lshl_b32 s11, s10, 2
	s_lshl_b32 s12, s18, 2
	s_max_i32 s27, s18, 1
	s_add_co_i32 s28, s40, s11
	s_sub_co_i32 s29, 0, s12
	s_mul_i32 s43, s10, 0x44
	s_mul_i32 s44, s18, 0xffffffbc
	s_branch .LBB17_43
.LBB17_42:                              ;   in Loop: Header=BB17_43 Depth=2
	s_sub_co_i32 s10, s10, s18
	s_add_co_i32 s28, s28, s29
	s_add_co_i32 s43, s43, s44
	s_cmp_lt_i32 s10, s26
	s_cbranch_scc1 .LBB17_56
.LBB17_43:                              ;   Parent Loop BB17_5 Depth=1
                                        ; =>  This Loop Header: Depth=2
                                        ;       Child Loop BB17_44 Depth 3
                                        ;       Child Loop BB17_46 Depth 3
                                        ;         Child Loop BB17_47 Depth 4
                                        ;       Child Loop BB17_52 Depth 3
                                        ;         Child Loop BB17_54 Depth 4
	s_ashr_i32 s11, s10, 31
	s_mov_b64 s[12:13], 0
	s_wait_xcnt 0x0
	v_lshl_add_u64 v[20:21], s[10:11], 2, v[18:19]
.LBB17_44:                              ;   Parent Loop BB17_5 Depth=1
                                        ;     Parent Loop BB17_43 Depth=2
                                        ; =>    This Inner Loop Header: Depth=3
	global_load_b32 v22, v[20:21], off
	s_wait_xcnt 0x0
	v_add_nc_u64_e32 v[20:21], -4, v[20:21]
	s_mov_b32 m0, s12
	s_add_nc_u64 s[12:13], s[12:13], 1
	s_delay_alu instid0(SALU_CYCLE_1) | instskip(SKIP_2) | instid1(VALU_DEP_1)
	s_cmp_eq_u32 s27, s12
	s_wait_loadcnt 0x0
	v_mul_f32_e32 v22, s31, v22
	v_movreld_b32_e32 v2, v22
	s_cbranch_scc0 .LBB17_44
; %bb.45:                               ;   in Loop: Header=BB17_43 Depth=2
	s_cmp_le_i32 s34, s10
	s_mov_b32 s22, s28
	s_mov_b32 s12, s34
	s_cbranch_scc1 .LBB17_49
.LBB17_46:                              ;   Parent Loop BB17_5 Depth=1
                                        ;     Parent Loop BB17_43 Depth=2
                                        ; =>    This Loop Header: Depth=3
                                        ;         Child Loop BB17_47 Depth 4
	s_ashr_i32 s13, s12, 31
	s_mov_b64 s[14:15], 0
	v_lshl_add_u64 v[20:21], s[12:13], 2, v[38:39]
	s_mov_b32 s13, s22
	global_load_b32 v20, v[20:21], off
.LBB17_47:                              ;   Parent Loop BB17_5 Depth=1
                                        ;     Parent Loop BB17_43 Depth=2
                                        ;       Parent Loop BB17_46 Depth=3
                                        ; =>      This Inner Loop Header: Depth=4
	s_wait_xcnt 0x0
	v_mov_b32_e32 v21, s13
	s_mov_b32 m0, s14
	s_add_nc_u64 s[14:15], s[14:15], 1
	v_movrels_b32_e32 v22, v2
	s_add_co_i32 s13, s13, -4
	ds_load_b32 v21, v21
	s_cmp_eq_u32 s27, s14
	s_wait_loadcnt_dscnt 0x0
	v_fma_f32 v21, -v20, v21, v22
	s_delay_alu instid0(VALU_DEP_1)
	v_movreld_b32_e32 v2, v21
	s_cbranch_scc0 .LBB17_47
; %bb.48:                               ;   in Loop: Header=BB17_46 Depth=3
	s_add_co_i32 s12, s12, -1
	s_sub_co_i32 s22, s22, 64
	s_cmp_le_i32 s12, s10
	s_cbranch_scc0 .LBB17_46
.LBB17_49:                              ;   in Loop: Header=BB17_43 Depth=2
	s_mov_b64 s[12:13], 0
	s_mov_b32 s45, s43
	s_branch .LBB17_52
.LBB17_50:                              ;   in Loop: Header=BB17_52 Depth=3
	s_mov_b32 s14, s10
	s_mov_b64 s[24:25], 0
	s_mov_b64 s[22:23], s[10:11]
.LBB17_51:                              ;   in Loop: Header=BB17_52 Depth=3
	s_mulk_i32 s14, 0x44
	s_mov_b32 m0, s24
	s_wait_xcnt 0x0
	v_mov_b32_e32 v20, s14
	v_movrels_b32_e32 v21, v2
	s_add_nc_u64 s[12:13], s[12:13], 1
	s_add_co_i32 s45, s45, -4
	s_cmp_eq_u32 s12, s27
	ds_load_b32 v20, v20
	s_wait_dscnt 0x0
	v_mul_f32_e32 v22, v21, v20
	v_lshl_add_u64 v[20:21], s[22:23], 2, v[38:39]
	s_delay_alu instid0(VALU_DEP_2)
	v_movreld_b32_e32 v2, v22
	global_store_b32 v[20:21], v22, off
	s_cbranch_scc1 .LBB17_42
.LBB17_52:                              ;   Parent Loop BB17_5 Depth=1
                                        ;     Parent Loop BB17_43 Depth=2
                                        ; =>    This Loop Header: Depth=3
                                        ;         Child Loop BB17_54 Depth 4
	s_cmp_eq_u32 s12, 0
	s_cbranch_scc1 .LBB17_50
; %bb.53:                               ;   in Loop: Header=BB17_52 Depth=3
	s_mov_b64 s[14:15], 0
	s_mov_b32 s22, s45
.LBB17_54:                              ;   Parent Loop BB17_5 Depth=1
                                        ;     Parent Loop BB17_43 Depth=2
                                        ;       Parent Loop BB17_52 Depth=3
                                        ; =>      This Inner Loop Header: Depth=4
	s_wait_xcnt 0x0
	v_mov_b32_e32 v20, s22
	s_mov_b32 m0, s14
	s_add_nc_u64 s[14:15], s[14:15], 1
	v_movrels_b32_e32 v21, v2
	s_mov_b32 m0, s12
	ds_load_b32 v20, v20
	v_movrels_b32_e32 v22, v2
	s_sub_co_i32 s22, s22, 64
	s_cmp_eq_u32 s12, s14
	s_wait_dscnt 0x0
	s_delay_alu instid0(VALU_DEP_1) | instskip(NEXT) | instid1(VALU_DEP_1)
	v_fma_f32 v20, -v21, v20, v22
	v_movreld_b32_e32 v2, v20
	s_cbranch_scc0 .LBB17_54
; %bb.55:                               ;   in Loop: Header=BB17_52 Depth=3
	s_sub_co_i32 s14, s10, s12
	s_mov_b64 s[24:25], s[12:13]
	s_ashr_i32 s15, s14, 31
	s_delay_alu instid0(SALU_CYCLE_1)
	s_mov_b64 s[22:23], s[14:15]
	s_branch .LBB17_51
.LBB17_56:                              ;   Parent Loop BB17_5 Depth=1
                                        ; =>  This Inner Loop Header: Depth=2
	s_cmp_gt_i32 s10, -1
	s_cselect_b32 s12, -1, 0
	s_add_co_i32 s11, s3, 1
	s_cmp_lt_u32 s3, 2
	s_cselect_b32 s3, -1, 0
	s_delay_alu instid0(SALU_CYCLE_1) | instskip(NEXT) | instid1(SALU_CYCLE_1)
	s_and_b32 s3, s12, s3
	s_and_not1_b32 vcc_lo, exec_lo, s3
	s_cbranch_vccnz .LBB17_2
; %bb.57:                               ;   in Loop: Header=BB17_56 Depth=2
	s_mov_b32 s3, s11
	s_load_b32 s18, s[16:17], s3 offset:0x0 scale_offset
	s_wait_kmcnt 0x0
	s_add_co_i32 s26, s18, -1
	s_delay_alu instid0(SALU_CYCLE_1)
	s_cmp_lt_i32 s10, s26
	s_cbranch_scc0 .LBB17_41
	s_branch .LBB17_56
.LBB17_58:
	s_endpgm
	.section	.rodata,"a",@progbits
	.p2align	6, 0x0
	.amdhsa_kernel _ZL30rocblas_trsm_small_left_deviceILi16ELi16ELb0EffPKfPfEv13rocblas_fill_18rocblas_operation_17rocblas_diagonal_iiT3_T4_lilT5_lili
		.amdhsa_group_segment_fixed_size 1024
		.amdhsa_private_segment_fixed_size 0
		.amdhsa_kernarg_size 352
		.amdhsa_user_sgpr_count 2
		.amdhsa_user_sgpr_dispatch_ptr 0
		.amdhsa_user_sgpr_queue_ptr 0
		.amdhsa_user_sgpr_kernarg_segment_ptr 1
		.amdhsa_user_sgpr_dispatch_id 0
		.amdhsa_user_sgpr_kernarg_preload_length 0
		.amdhsa_user_sgpr_kernarg_preload_offset 0
		.amdhsa_user_sgpr_private_segment_size 0
		.amdhsa_wavefront_size32 1
		.amdhsa_uses_dynamic_stack 0
		.amdhsa_enable_private_segment 0
		.amdhsa_system_sgpr_workgroup_id_x 1
		.amdhsa_system_sgpr_workgroup_id_y 0
		.amdhsa_system_sgpr_workgroup_id_z 1
		.amdhsa_system_sgpr_workgroup_info 0
		.amdhsa_system_vgpr_workitem_id 0
		.amdhsa_next_free_vgpr 47
		.amdhsa_next_free_sgpr 47
		.amdhsa_named_barrier_count 0
		.amdhsa_reserve_vcc 1
		.amdhsa_float_round_mode_32 0
		.amdhsa_float_round_mode_16_64 0
		.amdhsa_float_denorm_mode_32 3
		.amdhsa_float_denorm_mode_16_64 3
		.amdhsa_fp16_overflow 0
		.amdhsa_memory_ordered 1
		.amdhsa_forward_progress 1
		.amdhsa_inst_pref_size 18
		.amdhsa_round_robin_scheduling 0
		.amdhsa_exception_fp_ieee_invalid_op 0
		.amdhsa_exception_fp_denorm_src 0
		.amdhsa_exception_fp_ieee_div_zero 0
		.amdhsa_exception_fp_ieee_overflow 0
		.amdhsa_exception_fp_ieee_underflow 0
		.amdhsa_exception_fp_ieee_inexact 0
		.amdhsa_exception_int_div_zero 0
	.end_amdhsa_kernel
	.section	.text._ZL30rocblas_trsm_small_left_deviceILi16ELi16ELb0EffPKfPfEv13rocblas_fill_18rocblas_operation_17rocblas_diagonal_iiT3_T4_lilT5_lili,"axG",@progbits,_ZL30rocblas_trsm_small_left_deviceILi16ELi16ELb0EffPKfPfEv13rocblas_fill_18rocblas_operation_17rocblas_diagonal_iiT3_T4_lilT5_lili,comdat
.Lfunc_end17:
	.size	_ZL30rocblas_trsm_small_left_deviceILi16ELi16ELb0EffPKfPfEv13rocblas_fill_18rocblas_operation_17rocblas_diagonal_iiT3_T4_lilT5_lili, .Lfunc_end17-_ZL30rocblas_trsm_small_left_deviceILi16ELi16ELb0EffPKfPfEv13rocblas_fill_18rocblas_operation_17rocblas_diagonal_iiT3_T4_lilT5_lili
                                        ; -- End function
	.set _ZL30rocblas_trsm_small_left_deviceILi16ELi16ELb0EffPKfPfEv13rocblas_fill_18rocblas_operation_17rocblas_diagonal_iiT3_T4_lilT5_lili.num_vgpr, 47
	.set _ZL30rocblas_trsm_small_left_deviceILi16ELi16ELb0EffPKfPfEv13rocblas_fill_18rocblas_operation_17rocblas_diagonal_iiT3_T4_lilT5_lili.num_agpr, 0
	.set _ZL30rocblas_trsm_small_left_deviceILi16ELi16ELb0EffPKfPfEv13rocblas_fill_18rocblas_operation_17rocblas_diagonal_iiT3_T4_lilT5_lili.numbered_sgpr, 47
	.set _ZL30rocblas_trsm_small_left_deviceILi16ELi16ELb0EffPKfPfEv13rocblas_fill_18rocblas_operation_17rocblas_diagonal_iiT3_T4_lilT5_lili.num_named_barrier, 0
	.set _ZL30rocblas_trsm_small_left_deviceILi16ELi16ELb0EffPKfPfEv13rocblas_fill_18rocblas_operation_17rocblas_diagonal_iiT3_T4_lilT5_lili.private_seg_size, 0
	.set _ZL30rocblas_trsm_small_left_deviceILi16ELi16ELb0EffPKfPfEv13rocblas_fill_18rocblas_operation_17rocblas_diagonal_iiT3_T4_lilT5_lili.uses_vcc, 1
	.set _ZL30rocblas_trsm_small_left_deviceILi16ELi16ELb0EffPKfPfEv13rocblas_fill_18rocblas_operation_17rocblas_diagonal_iiT3_T4_lilT5_lili.uses_flat_scratch, 0
	.set _ZL30rocblas_trsm_small_left_deviceILi16ELi16ELb0EffPKfPfEv13rocblas_fill_18rocblas_operation_17rocblas_diagonal_iiT3_T4_lilT5_lili.has_dyn_sized_stack, 0
	.set _ZL30rocblas_trsm_small_left_deviceILi16ELi16ELb0EffPKfPfEv13rocblas_fill_18rocblas_operation_17rocblas_diagonal_iiT3_T4_lilT5_lili.has_recursion, 0
	.set _ZL30rocblas_trsm_small_left_deviceILi16ELi16ELb0EffPKfPfEv13rocblas_fill_18rocblas_operation_17rocblas_diagonal_iiT3_T4_lilT5_lili.has_indirect_call, 0
	.section	.AMDGPU.csdata,"",@progbits
; Kernel info:
; codeLenInByte = 2180
; TotalNumSgprs: 49
; NumVgprs: 47
; ScratchSize: 0
; MemoryBound: 0
; FloatMode: 240
; IeeeMode: 1
; LDSByteSize: 1024 bytes/workgroup (compile time only)
; SGPRBlocks: 0
; VGPRBlocks: 2
; NumSGPRsForWavesPerEU: 49
; NumVGPRsForWavesPerEU: 47
; NamedBarCnt: 0
; Occupancy: 16
; WaveLimiterHint : 0
; COMPUTE_PGM_RSRC2:SCRATCH_EN: 0
; COMPUTE_PGM_RSRC2:USER_SGPR: 2
; COMPUTE_PGM_RSRC2:TRAP_HANDLER: 0
; COMPUTE_PGM_RSRC2:TGID_X_EN: 1
; COMPUTE_PGM_RSRC2:TGID_Y_EN: 0
; COMPUTE_PGM_RSRC2:TGID_Z_EN: 1
; COMPUTE_PGM_RSRC2:TIDIG_COMP_CNT: 0
	.section	.text._ZL38rocblas_trsm_small_left_device_sharedBILi16ELi16ELb1EffPKfPfEv13rocblas_fill_18rocblas_operation_17rocblas_diagonal_iiT3_T4_lilT5_lili,"axG",@progbits,_ZL38rocblas_trsm_small_left_device_sharedBILi16ELi16ELb1EffPKfPfEv13rocblas_fill_18rocblas_operation_17rocblas_diagonal_iiT3_T4_lilT5_lili,comdat
	.globl	_ZL38rocblas_trsm_small_left_device_sharedBILi16ELi16ELb1EffPKfPfEv13rocblas_fill_18rocblas_operation_17rocblas_diagonal_iiT3_T4_lilT5_lili ; -- Begin function _ZL38rocblas_trsm_small_left_device_sharedBILi16ELi16ELb1EffPKfPfEv13rocblas_fill_18rocblas_operation_17rocblas_diagonal_iiT3_T4_lilT5_lili
	.p2align	8
	.type	_ZL38rocblas_trsm_small_left_device_sharedBILi16ELi16ELb1EffPKfPfEv13rocblas_fill_18rocblas_operation_17rocblas_diagonal_iiT3_T4_lilT5_lili,@function
_ZL38rocblas_trsm_small_left_device_sharedBILi16ELi16ELb1EffPKfPfEv13rocblas_fill_18rocblas_operation_17rocblas_diagonal_iiT3_T4_lilT5_lili: ; @_ZL38rocblas_trsm_small_left_device_sharedBILi16ELi16ELb1EffPKfPfEv13rocblas_fill_18rocblas_operation_17rocblas_diagonal_iiT3_T4_lilT5_lili
; %bb.0:
	s_load_b32 s20, s[0:1], 0x58
	s_bfe_u32 s2, ttmp6, 0x40014
	s_lshr_b32 s3, ttmp7, 16
	s_add_co_i32 s2, s2, 1
	s_bfe_u32 s4, ttmp6, 0x40008
	s_mul_i32 s2, s3, s2
	s_getreg_b32 s8, hwreg(HW_REG_IB_STS2, 6, 4)
	s_add_co_i32 s4, s4, s2
	s_cmp_eq_u32 s8, 0
	s_cselect_b32 s2, s3, s4
	s_mov_b32 s3, 0
	s_wait_kmcnt 0x0
	s_cmp_ge_u32 s2, s20
	s_cbranch_scc1 .LBB18_71
; %bb.1:
	s_clause 0x3
	s_load_b32 s18, s[0:1], 0x28
	s_load_b96 s[12:14], s[0:1], 0x40
	s_load_b128 s[4:7], s[0:1], 0x4
	s_load_b32 s9, s[0:1], 0x60
	v_dual_mov_b32 v35, 0 :: v_dual_lshlrev_b32 v34, 2, v0
	s_clause 0x1
	s_load_b32 s16, s[0:1], 0x14
	s_load_b128 s[36:39], s[0:1], 0x18
	v_lshlrev_b32_e32 v18, 6, v0
	v_or_b32_e32 v40, 0x400, v34
	v_dual_mov_b32 v2, v35 :: v_dual_mov_b32 v3, v35
	v_dual_mov_b32 v4, v35 :: v_dual_mov_b32 v5, v35
	;; [unrolled: 1-line block ×5, first 2 shown]
	s_wait_kmcnt 0x0
	s_ashr_i32 s19, s18, 31
	v_dual_mov_b32 v12, v35 :: v_dual_mov_b32 v13, v35
	s_cmp_eq_u64 s[18:19], 1
	v_dual_mov_b32 v16, v35 :: v_dual_mov_b32 v17, v35
	s_cselect_b32 s15, -1, 0
	s_bfe_u32 s10, ttmp6, 0x4000c
	s_min_i32 s21, s6, 16
	s_add_co_i32 s10, s10, 1
	s_and_b32 s11, ttmp6, 15
	s_mul_i32 s10, ttmp9, s10
	s_ashr_i32 s33, s14, 31
	s_add_co_i32 s9, s9, -1
	s_add_co_i32 s22, s21, -1
	s_add_co_i32 s11, s11, s10
	s_cmp_eq_u32 s8, 0
	s_mov_b32 s17, s16
	s_cselect_b32 s8, ttmp9, s11
	s_delay_alu instid0(SALU_CYCLE_1) | instskip(NEXT) | instid1(SALU_CYCLE_1)
	s_lshl_b32 s34, s8, 4
	s_sub_co_i32 s7, s7, s34
	s_cmp_ge_u32 s8, s9
	s_load_b128 s[8:11], s[0:1], 0x30
	s_cselect_b32 s7, s7, 16
	s_ashr_i32 s35, s34, 31
	s_cmp_lg_u32 s5, 0x84
	v_cmp_gt_i32_e32 vcc_lo, s7, v0
	s_cselect_b32 s23, -1, 0
	s_cmp_gt_i32 s6, 0
	s_cselect_b32 s5, -1, 0
	s_cmp_lg_u32 s4, 0x6f
	s_cselect_b32 s24, -1, 0
	s_and_b32 s25, vcc_lo, s5
	s_cmp_gt_u32 s21, 1
	s_cselect_b32 s4, -1, 0
	s_and_b32 s26, s21, -2
	s_and_b32 s27, s4, s15
	s_cmp_lg_u32 s21, s26
	s_cselect_b32 s28, -1, 0
	s_cmp_gt_i32 s6, 1
	s_cselect_b32 s29, -1, 0
	s_and_b32 s30, s21, 30
	s_delay_alu instid0(SALU_CYCLE_1)
	s_cmp_lg_u32 s21, s30
	s_cselect_b32 s31, -1, 0
	s_lshl_b64 s[4:5], s[34:35], 2
	s_load_b64 s[34:35], s[0:1], 0x50
	v_or_b32_e32 v14, s4, v34
	s_wait_xcnt 0x0
	s_lshl_b64 s[0:1], s[12:13], 2
	s_lshl_b64 s[6:7], s[38:39], 2
	s_wait_kmcnt 0x0
	s_add_nc_u64 s[0:1], s[10:11], s[0:1]
	s_delay_alu instid0(SALU_CYCLE_1) | instskip(SKIP_2) | instid1(SALU_CYCLE_1)
	v_mad_nc_u64_u32 v[36:37], v14, s14, s[0:1]
	v_cmp_gt_i32_e64 s0, s21, v0
	s_lshl_b32 s1, s21, 2
	s_add_co_i32 s1, s1, -4
	v_mad_u32 v15, s5, s14, v37
	s_lshl_b64 s[4:5], s[8:9], 2
	s_add_nc_u64 s[8:9], s[36:37], s[6:7]
	s_lshl_b64 s[6:7], s[18:19], 2
	v_add_nc_u64_e32 v[0:1], s[8:9], v[34:35]
	s_lshl_b64 s[10:11], s[34:35], 2
	s_get_pc_i64 s[8:9]
	s_add_nc_u64 s[8:9], s[8:9], __const._ZL38rocblas_trsm_small_left_device_sharedBILi16ELi16ELb1EffPKfPfEv13rocblas_fill_18rocblas_operation_17rocblas_diagonal_iiT3_T4_lilT5_lili.step_sizes@rel64+4
	s_delay_alu instid0(VALU_DEP_2)
	v_mad_u32 v37, v14, s33, v15
	v_dual_mov_b32 v14, v35 :: v_dual_mov_b32 v15, v35
	v_add_nc_u32_e32 v35, v34, v18
	s_branch .LBB18_3
.LBB18_2:                               ;   in Loop: Header=BB18_3 Depth=1
	s_or_b32 exec_lo, exec_lo, s14
	s_add_co_i32 s2, s2, 0x10000
	s_delay_alu instid0(SALU_CYCLE_1)
	s_cmp_lt_u32 s2, s20
	s_cbranch_scc0 .LBB18_71
.LBB18_3:                               ; =>This Loop Header: Depth=1
                                        ;     Child Loop BB18_6 Depth 2
                                        ;     Child Loop BB18_10 Depth 2
	;; [unrolled: 1-line block ×5, first 2 shown]
                                        ;       Child Loop BB18_27 Depth 3
                                        ;       Child Loop BB18_29 Depth 3
                                        ;         Child Loop BB18_30 Depth 4
                                        ;       Child Loop BB18_35 Depth 3
                                        ;         Child Loop BB18_37 Depth 4
                                        ;     Child Loop BB18_39 Depth 2
                                        ;     Child Loop BB18_44 Depth 2
                                        ;       Child Loop BB18_47 Depth 3
                                        ;         Child Loop BB18_48 Depth 4
                                        ;         Child Loop BB18_51 Depth 4
                                        ;           Child Loop BB18_52 Depth 5
                                        ;         Child Loop BB18_57 Depth 4
                                        ;           Child Loop BB18_59 Depth 5
                                        ;     Child Loop BB18_66 Depth 2
                                        ;     Child Loop BB18_70 Depth 2
	s_and_saveexec_b32 s18, s0
	s_cbranch_execz .LBB18_14
; %bb.4:                                ;   in Loop: Header=BB18_3 Depth=1
	s_and_not1_b32 vcc_lo, exec_lo, s27
	s_mul_u64 s[12:13], s[4:5], s[2:3]
	s_cbranch_vccnz .LBB18_8
; %bb.5:                                ;   in Loop: Header=BB18_3 Depth=1
	v_add_nc_u64_e32 v[18:19], s[12:13], v[0:1]
	s_mov_b32 s15, 1
	s_mov_b32 s19, 0
	;; [unrolled: 1-line block ×3, first 2 shown]
.LBB18_6:                               ;   Parent Loop BB18_3 Depth=1
                                        ; =>  This Inner Loop Header: Depth=2
	global_load_b64 v[20:21], v[18:19], off
	s_wait_xcnt 0x0
	v_add_nc_u64_e32 v[18:19], 8, v[18:19]
	v_lshl_or_b32 v22, s19, 6, v34
	v_lshl_or_b32 v23, s15, 6, v34
	s_add_co_i32 s33, s33, -2
	s_add_co_i32 s19, s19, 2
	s_add_co_i32 s15, s15, 2
	s_mov_b32 s14, s26
	s_mov_b32 s34, s28
	s_cmp_lg_u32 s33, 0
	s_wait_loadcnt 0x0
	ds_store_b32 v22, v20
	ds_store_b32 v23, v21
	s_cbranch_scc1 .LBB18_6
; %bb.7:                                ;   in Loop: Header=BB18_3 Depth=1
	s_and_b32 vcc_lo, exec_lo, s34
	s_cbranch_vccnz .LBB18_9
	s_branch .LBB18_11
.LBB18_8:                               ;   in Loop: Header=BB18_3 Depth=1
	s_wait_xcnt 0x0
	s_mov_b32 s14, 0
	s_cbranch_execz .LBB18_11
.LBB18_9:                               ;   in Loop: Header=BB18_3 Depth=1
	s_mov_b32 s15, s3
	v_lshl_or_b32 v20, s14, 6, v34
	s_mul_u64 s[34:35], s[6:7], s[14:15]
	s_delay_alu instid0(SALU_CYCLE_1) | instskip(NEXT) | instid1(SALU_CYCLE_1)
	s_add_nc_u64 s[12:13], s[34:35], s[12:13]
	v_add_nc_u64_e32 v[18:19], s[12:13], v[0:1]
	s_sub_co_i32 s12, s21, s14
.LBB18_10:                              ;   Parent Loop BB18_3 Depth=1
                                        ; =>  This Inner Loop Header: Depth=2
	global_load_b32 v21, v[18:19], off
	s_wait_xcnt 0x0
	v_add_nc_u64_e32 v[18:19], s[6:7], v[18:19]
	s_add_co_i32 s12, s12, -1
	s_delay_alu instid0(SALU_CYCLE_1)
	s_cmp_eq_u32 s12, 0
	s_wait_loadcnt 0x0
	ds_store_b32 v20, v21
	v_add_nc_u32_e32 v20, 64, v20
	s_cbranch_scc0 .LBB18_10
.LBB18_11:                              ;   in Loop: Header=BB18_3 Depth=1
	v_mov_b32_e32 v18, 1.0
	s_and_b32 vcc_lo, exec_lo, s23
	s_cbranch_vccz .LBB18_13
; %bb.12:                               ;   in Loop: Header=BB18_3 Depth=1
	ds_load_b32 v18, v35
	s_wait_dscnt 0x0
	v_div_scale_f32 v19, null, v18, v18, 1.0
	s_delay_alu instid0(VALU_DEP_1) | instskip(SKIP_1) | instid1(TRANS32_DEP_1)
	v_rcp_f32_e32 v20, v19
	v_nop
	v_fma_f32 v21, -v19, v20, 1.0
	s_delay_alu instid0(VALU_DEP_1) | instskip(SKIP_1) | instid1(VALU_DEP_1)
	v_fmac_f32_e32 v20, v21, v20
	v_div_scale_f32 v21, vcc_lo, 1.0, v18, 1.0
	v_mul_f32_e32 v22, v21, v20
	s_delay_alu instid0(VALU_DEP_1) | instskip(NEXT) | instid1(VALU_DEP_1)
	v_fma_f32 v23, -v19, v22, v21
	v_fmac_f32_e32 v22, v23, v20
	s_delay_alu instid0(VALU_DEP_1) | instskip(NEXT) | instid1(VALU_DEP_1)
	v_fma_f32 v19, -v19, v22, v21
	v_div_fmas_f32 v19, v19, v20, v22
	s_delay_alu instid0(VALU_DEP_1)
	v_div_fixup_f32 v18, v19, v18, 1.0
.LBB18_13:                              ;   in Loop: Header=BB18_3 Depth=1
	ds_store_b32 v35, v18
.LBB18_14:                              ;   in Loop: Header=BB18_3 Depth=1
	s_or_b32 exec_lo, exec_lo, s18
	s_mul_u64 s[12:13], s[10:11], s[2:3]
	s_delay_alu instid0(VALU_DEP_3) | instid1(SALU_CYCLE_1)
	v_add_nc_u64_e32 v[38:39], s[12:13], v[36:37]
	s_and_saveexec_b32 s14, s25
	s_cbranch_execz .LBB18_22
; %bb.15:                               ;   in Loop: Header=BB18_3 Depth=1
	s_and_not1_b32 vcc_lo, exec_lo, s29
	s_cbranch_vccnz .LBB18_19
; %bb.16:                               ;   in Loop: Header=BB18_3 Depth=1
	s_delay_alu instid0(VALU_DEP_1)
	v_mov_b64_e32 v[18:19], v[38:39]
	s_mov_b32 s15, 1
	s_mov_b32 s18, 0
	;; [unrolled: 1-line block ×3, first 2 shown]
.LBB18_17:                              ;   Parent Loop BB18_3 Depth=1
                                        ; =>  This Inner Loop Header: Depth=2
	global_load_b64 v[20:21], v[18:19], off
	v_mov_b64_e32 v[22:23], s[16:17]
	s_wait_xcnt 0x0
	v_add_nc_u64_e32 v[18:19], 8, v[18:19]
	v_lshl_add_u32 v24, s18, 6, v40
	v_lshl_add_u32 v25, s15, 6, v40
	s_add_co_i32 s19, s19, -2
	s_add_co_i32 s18, s18, 2
	s_add_co_i32 s15, s15, 2
	s_mov_b32 s33, s30
	s_mov_b32 s34, s31
	s_cmp_lg_u32 s19, 0
	s_wait_loadcnt 0x0
	v_pk_mul_f32 v[20:21], v[22:23], v[20:21]
	ds_store_b32 v24, v20
	ds_store_b32 v25, v21
	s_cbranch_scc1 .LBB18_17
; %bb.18:                               ;   in Loop: Header=BB18_3 Depth=1
	s_and_b32 vcc_lo, exec_lo, s34
	s_cbranch_vccnz .LBB18_20
	s_branch .LBB18_22
.LBB18_19:                              ;   in Loop: Header=BB18_3 Depth=1
	s_wait_xcnt 0x0
	s_mov_b32 s33, 0
	s_cbranch_execz .LBB18_22
.LBB18_20:                              ;   in Loop: Header=BB18_3 Depth=1
	s_lshl_b32 s18, s33, 2
	s_mov_b32 s19, s3
	v_lshl_add_u32 v20, s33, 6, v40
	s_add_nc_u64 s[18:19], s[12:13], s[18:19]
	s_sub_co_i32 s15, s21, s33
	v_add_nc_u64_e32 v[18:19], s[18:19], v[36:37]
.LBB18_21:                              ;   Parent Loop BB18_3 Depth=1
                                        ; =>  This Inner Loop Header: Depth=2
	global_load_b32 v21, v[18:19], off
	s_wait_xcnt 0x0
	v_add_nc_u64_e32 v[18:19], 4, v[18:19]
	s_add_co_i32 s15, s15, -1
	s_delay_alu instid0(SALU_CYCLE_1)
	s_cmp_lg_u32 s15, 0
	s_wait_loadcnt 0x0
	v_mul_f32_e32 v21, s16, v21
	ds_store_b32 v20, v21
	v_add_nc_u32_e32 v20, 64, v20
	s_cbranch_scc1 .LBB18_21
.LBB18_22:                              ;   in Loop: Header=BB18_3 Depth=1
	s_or_b32 exec_lo, exec_lo, s14
	s_delay_alu instid0(SALU_CYCLE_1)
	s_and_not1_b32 vcc_lo, exec_lo, s24
	s_mov_b32 s14, -1
	s_wait_dscnt 0x0
	; wave barrier
                                        ; implicit-def: $vgpr18_vgpr19_vgpr20_vgpr21_vgpr22_vgpr23_vgpr24_vgpr25_vgpr26_vgpr27_vgpr28_vgpr29_vgpr30_vgpr31_vgpr32_vgpr33
	s_cbranch_vccnz .LBB18_42
; %bb.23:                               ;   in Loop: Header=BB18_3 Depth=1
	v_mov_b64_e32 v[32:33], v[16:17]
	v_mov_b64_e32 v[30:31], v[14:15]
	;; [unrolled: 1-line block ×8, first 2 shown]
	s_wait_xcnt 0x0
	s_mov_b32 s34, 0
	s_mov_b32 s33, s22
	s_load_b32 s35, s[8:9], s34 offset:0x0 scale_offset
	s_wait_kmcnt 0x0
	s_add_co_i32 s36, s35, -1
	s_delay_alu instid0(SALU_CYCLE_1)
	s_cmp_lt_i32 s33, s36
	s_cbranch_scc1 .LBB18_39
.LBB18_24:                              ;   in Loop: Header=BB18_3 Depth=1
	s_lshl_b32 s14, s33, 6
	s_lshl_b32 s15, s35, 6
	v_add_nc_u32_e32 v41, s14, v40
	s_max_i32 s37, s35, 1
	s_sub_co_i32 s38, 0, s15
	s_add_co_i32 s39, s1, s14
	s_mul_i32 s40, s33, 0x44
	s_mul_i32 s41, s35, 0xffffffbc
	s_branch .LBB18_26
.LBB18_25:                              ;   in Loop: Header=BB18_26 Depth=2
	v_add_nc_u32_e32 v41, s38, v41
	s_sub_co_i32 s33, s33, s35
	s_add_co_i32 s39, s39, s38
	s_add_co_i32 s40, s40, s41
	s_cmp_lt_i32 s33, s36
	s_cbranch_scc1 .LBB18_39
.LBB18_26:                              ;   Parent Loop BB18_3 Depth=1
                                        ; =>  This Loop Header: Depth=2
                                        ;       Child Loop BB18_27 Depth 3
                                        ;       Child Loop BB18_29 Depth 3
                                        ;         Child Loop BB18_30 Depth 4
                                        ;       Child Loop BB18_35 Depth 3
                                        ;         Child Loop BB18_37 Depth 4
	v_mov_b32_e32 v42, v41
	s_mov_b64 s[14:15], 0
.LBB18_27:                              ;   Parent Loop BB18_3 Depth=1
                                        ;     Parent Loop BB18_26 Depth=2
                                        ; =>    This Inner Loop Header: Depth=3
	ds_load_b32 v43, v42
	v_subrev_nc_u32_e32 v42, 64, v42
	s_mov_b32 m0, s14
	s_add_nc_u64 s[14:15], s[14:15], 1
	s_delay_alu instid0(SALU_CYCLE_1)
	s_cmp_eq_u32 s37, s14
	s_wait_dscnt 0x0
	v_movreld_b32_e32 v18, v43
	s_cbranch_scc0 .LBB18_27
; %bb.28:                               ;   in Loop: Header=BB18_26 Depth=2
	s_cmp_le_i32 s22, s33
	s_mov_b32 s18, s39
	s_mov_b32 s19, s22
	s_cbranch_scc1 .LBB18_32
.LBB18_29:                              ;   Parent Loop BB18_3 Depth=1
                                        ;     Parent Loop BB18_26 Depth=2
                                        ; =>    This Loop Header: Depth=3
                                        ;         Child Loop BB18_30 Depth 4
	v_lshl_add_u32 v42, s19, 6, v40
	s_mov_b64 s[14:15], 0
	s_mov_b32 s42, s18
	ds_load_b32 v42, v42
.LBB18_30:                              ;   Parent Loop BB18_3 Depth=1
                                        ;     Parent Loop BB18_26 Depth=2
                                        ;       Parent Loop BB18_29 Depth=3
                                        ; =>      This Inner Loop Header: Depth=4
	v_mov_b32_e32 v43, s42
	s_mov_b32 m0, s14
	s_add_nc_u64 s[14:15], s[14:15], 1
	v_movrels_b32_e32 v44, v18
	s_sub_co_i32 s42, s42, 64
	ds_load_b32 v43, v43
	s_cmp_eq_u32 s37, s14
	s_wait_dscnt 0x0
	v_fma_f32 v43, -v42, v43, v44
	s_delay_alu instid0(VALU_DEP_1)
	v_movreld_b32_e32 v18, v43
	s_cbranch_scc0 .LBB18_30
; %bb.31:                               ;   in Loop: Header=BB18_29 Depth=3
	s_add_co_i32 s19, s19, -1
	s_add_co_i32 s18, s18, -4
	s_cmp_le_i32 s19, s33
	s_cbranch_scc0 .LBB18_29
.LBB18_32:                              ;   in Loop: Header=BB18_26 Depth=2
	s_lshl_b32 s42, s33, 6
	s_mov_b64 s[14:15], 0
	s_mov_b32 s43, s40
	s_branch .LBB18_35
.LBB18_33:                              ;   in Loop: Header=BB18_35 Depth=3
	s_mov_b32 s45, s33
	s_mov_b64 s[18:19], 0
	s_mov_b32 s44, s42
.LBB18_34:                              ;   in Loop: Header=BB18_35 Depth=3
	s_mov_b32 m0, s18
	s_mul_i32 s18, s45, 0x44
	v_movrels_b32_e32 v43, v18
	v_mov_b32_e32 v42, s18
	s_add_nc_u64 s[14:15], s[14:15], 1
	s_sub_co_i32 s43, s43, 64
	s_cmp_eq_u32 s14, s37
	ds_load_b32 v42, v42
	s_wait_dscnt 0x0
	v_dual_mul_f32 v42, v43, v42 :: v_dual_add_nc_u32 v43, s44, v40
	s_delay_alu instid0(VALU_DEP_1)
	v_movreld_b32_e32 v18, v42
	ds_store_b32 v43, v42
	s_cbranch_scc1 .LBB18_25
.LBB18_35:                              ;   Parent Loop BB18_3 Depth=1
                                        ;     Parent Loop BB18_26 Depth=2
                                        ; =>    This Loop Header: Depth=3
                                        ;         Child Loop BB18_37 Depth 4
	s_cmp_eq_u32 s14, 0
	s_cbranch_scc1 .LBB18_33
; %bb.36:                               ;   in Loop: Header=BB18_35 Depth=3
	s_sub_co_i32 s45, s33, s14
	s_mov_b64 s[18:19], 0
	s_lshl_b32 s44, s45, 6
	s_mov_b32 s46, s43
.LBB18_37:                              ;   Parent Loop BB18_3 Depth=1
                                        ;     Parent Loop BB18_26 Depth=2
                                        ;       Parent Loop BB18_35 Depth=3
                                        ; =>      This Inner Loop Header: Depth=4
	s_delay_alu instid0(SALU_CYCLE_1)
	v_mov_b32_e32 v42, s46
	s_mov_b32 m0, s18
	s_add_nc_u64 s[18:19], s[18:19], 1
	v_movrels_b32_e32 v43, v18
	s_mov_b32 m0, s14
	ds_load_b32 v42, v42
	v_movrels_b32_e32 v44, v18
	s_add_co_i32 s46, s46, -4
	s_cmp_eq_u32 s14, s18
	s_wait_dscnt 0x0
	s_delay_alu instid0(VALU_DEP_1) | instskip(NEXT) | instid1(VALU_DEP_1)
	v_fma_f32 v42, -v43, v42, v44
	v_movreld_b32_e32 v18, v42
	s_cbranch_scc0 .LBB18_37
; %bb.38:                               ;   in Loop: Header=BB18_35 Depth=3
	s_mov_b64 s[18:19], s[14:15]
	s_branch .LBB18_34
.LBB18_39:                              ;   Parent Loop BB18_3 Depth=1
                                        ; =>  This Inner Loop Header: Depth=2
	s_cmp_gt_i32 s33, -1
	s_cselect_b32 s15, -1, 0
	s_add_co_i32 s14, s34, 1
	s_cmp_lt_u32 s34, 2
	s_cselect_b32 s18, -1, 0
	s_delay_alu instid0(SALU_CYCLE_1) | instskip(NEXT) | instid1(SALU_CYCLE_1)
	s_and_b32 s15, s15, s18
	s_and_b32 vcc_lo, exec_lo, s15
	s_cbranch_vccz .LBB18_41
; %bb.40:                               ;   in Loop: Header=BB18_39 Depth=2
	s_wait_xcnt 0x0
	s_mov_b32 s34, s14
	s_load_b32 s35, s[8:9], s34 offset:0x0 scale_offset
	s_wait_kmcnt 0x0
	s_add_co_i32 s36, s35, -1
	s_delay_alu instid0(SALU_CYCLE_1)
	s_cmp_lt_i32 s33, s36
	s_cbranch_scc0 .LBB18_24
	s_branch .LBB18_39
.LBB18_41:                              ;   in Loop: Header=BB18_3 Depth=1
	s_mov_b32 s14, 0
.LBB18_42:                              ;   in Loop: Header=BB18_3 Depth=1
	s_delay_alu instid0(SALU_CYCLE_1)
	s_and_b32 vcc_lo, exec_lo, s14
	s_cbranch_vccz .LBB18_63
; %bb.43:                               ;   in Loop: Header=BB18_3 Depth=1
	s_mov_b32 s33, 0
	s_wait_xcnt 0x0
	s_mov_b32 s34, 0
.LBB18_44:                              ;   Parent Loop BB18_3 Depth=1
                                        ; =>  This Loop Header: Depth=2
                                        ;       Child Loop BB18_47 Depth 3
                                        ;         Child Loop BB18_48 Depth 4
                                        ;         Child Loop BB18_51 Depth 4
                                        ;           Child Loop BB18_52 Depth 5
                                        ;         Child Loop BB18_57 Depth 4
                                        ;           Child Loop BB18_59 Depth 5
	s_load_b32 s35, s[8:9], s34 offset:0x0 scale_offset
	s_wait_kmcnt 0x0
	s_add_co_i32 s36, s35, -1
	s_delay_alu instid0(SALU_CYCLE_1) | instskip(NEXT) | instid1(SALU_CYCLE_1)
	s_add_co_i32 s14, s36, s33
	s_cmp_ge_i32 s14, s21
	s_cbranch_scc1 .LBB18_60
; %bb.45:                               ;   in Loop: Header=BB18_44 Depth=2
	v_lshl_add_u32 v18, s33, 6, v40
	s_max_i32 s37, s35, 1
	s_lshl_b32 s38, s35, 6
	s_lshl_b32 s39, s33, 2
	s_lshl_b32 s40, s35, 2
	s_mul_i32 s41, s33, 0x44
	s_mul_i32 s42, s35, 0x44
	s_branch .LBB18_47
.LBB18_46:                              ;   in Loop: Header=BB18_47 Depth=3
	s_add_co_i32 s33, s33, s35
	v_add_nc_u32_e32 v18, s38, v18
	s_add_co_i32 s14, s36, s33
	s_add_co_i32 s39, s39, s40
	;; [unrolled: 1-line block ×3, first 2 shown]
	s_cmp_ge_i32 s14, s21
	s_cbranch_scc1 .LBB18_60
.LBB18_47:                              ;   Parent Loop BB18_3 Depth=1
                                        ;     Parent Loop BB18_44 Depth=2
                                        ; =>    This Loop Header: Depth=3
                                        ;         Child Loop BB18_48 Depth 4
                                        ;         Child Loop BB18_51 Depth 4
                                        ;           Child Loop BB18_52 Depth 5
                                        ;         Child Loop BB18_57 Depth 4
                                        ;           Child Loop BB18_59 Depth 5
	v_mov_b32_e32 v19, v18
	s_mov_b64 s[14:15], 0
.LBB18_48:                              ;   Parent Loop BB18_3 Depth=1
                                        ;     Parent Loop BB18_44 Depth=2
                                        ;       Parent Loop BB18_47 Depth=3
                                        ; =>      This Inner Loop Header: Depth=4
	ds_load_b32 v20, v19
	v_add_nc_u32_e32 v19, 64, v19
	s_mov_b32 m0, s14
	s_add_nc_u64 s[14:15], s[14:15], 1
	s_delay_alu instid0(SALU_CYCLE_1)
	s_cmp_eq_u32 s37, s14
	s_wait_dscnt 0x0
	v_movreld_b32_e32 v2, v20
	s_cbranch_scc0 .LBB18_48
; %bb.49:                               ;   in Loop: Header=BB18_47 Depth=3
	s_cmp_lt_i32 s33, 1
	s_cbranch_scc1 .LBB18_54
; %bb.50:                               ;   in Loop: Header=BB18_47 Depth=3
	s_mov_b32 s18, 0
	s_mov_b32 s19, s39
.LBB18_51:                              ;   Parent Loop BB18_3 Depth=1
                                        ;     Parent Loop BB18_44 Depth=2
                                        ;       Parent Loop BB18_47 Depth=3
                                        ; =>      This Loop Header: Depth=4
                                        ;           Child Loop BB18_52 Depth 5
	v_lshl_add_u32 v19, s18, 6, v40
	s_mov_b64 s[14:15], 0
	s_mov_b32 s43, s19
	ds_load_b32 v19, v19
.LBB18_52:                              ;   Parent Loop BB18_3 Depth=1
                                        ;     Parent Loop BB18_44 Depth=2
                                        ;       Parent Loop BB18_47 Depth=3
                                        ;         Parent Loop BB18_51 Depth=4
                                        ; =>        This Inner Loop Header: Depth=5
	v_mov_b32_e32 v20, s43
	s_mov_b32 m0, s14
	s_add_nc_u64 s[14:15], s[14:15], 1
	v_movrels_b32_e32 v21, v2
	s_add_co_i32 s43, s43, 4
	ds_load_b32 v20, v20
	s_cmp_eq_u32 s37, s14
	s_wait_dscnt 0x0
	v_fma_f32 v20, -v19, v20, v21
	s_delay_alu instid0(VALU_DEP_1)
	v_movreld_b32_e32 v2, v20
	s_cbranch_scc0 .LBB18_52
; %bb.53:                               ;   in Loop: Header=BB18_51 Depth=4
	s_add_co_i32 s18, s18, 1
	s_add_co_i32 s19, s19, 64
	s_cmp_eq_u32 s18, s33
	s_cbranch_scc0 .LBB18_51
.LBB18_54:                              ;   in Loop: Header=BB18_47 Depth=3
	s_mov_b64 s[14:15], 0
	s_mov_b32 s43, s41
	s_branch .LBB18_57
.LBB18_55:                              ;   in Loop: Header=BB18_57 Depth=4
	s_mov_b64 s[18:19], s[14:15]
.LBB18_56:                              ;   in Loop: Header=BB18_57 Depth=4
	s_delay_alu instid0(SALU_CYCLE_1)
	s_mov_b32 m0, s18
	s_add_co_i32 s18, s14, s33
	v_movrels_b32_e32 v20, v2
	s_mul_i32 s19, s18, 0x44
	s_add_nc_u64 s[14:15], s[14:15], 1
	v_mov_b32_e32 v19, s19
	s_add_co_i32 s43, s43, 4
	s_cmp_eq_u32 s14, s37
	ds_load_b32 v19, v19
	s_wait_dscnt 0x0
	v_mul_f32_e32 v19, v20, v19
	v_lshl_add_u32 v20, s18, 6, v40
	s_delay_alu instid0(VALU_DEP_2)
	v_movreld_b32_e32 v2, v19
	ds_store_b32 v20, v19
	s_cbranch_scc1 .LBB18_46
.LBB18_57:                              ;   Parent Loop BB18_3 Depth=1
                                        ;     Parent Loop BB18_44 Depth=2
                                        ;       Parent Loop BB18_47 Depth=3
                                        ; =>      This Loop Header: Depth=4
                                        ;           Child Loop BB18_59 Depth 5
	s_mov_b64 s[18:19], 0
	s_cmp_eq_u32 s14, 0
	s_cbranch_scc1 .LBB18_56
; %bb.58:                               ;   in Loop: Header=BB18_57 Depth=4
	s_mov_b32 s44, s43
.LBB18_59:                              ;   Parent Loop BB18_3 Depth=1
                                        ;     Parent Loop BB18_44 Depth=2
                                        ;       Parent Loop BB18_47 Depth=3
                                        ;         Parent Loop BB18_57 Depth=4
                                        ; =>        This Inner Loop Header: Depth=5
	s_delay_alu instid0(SALU_CYCLE_1)
	v_mov_b32_e32 v19, s44
	s_mov_b32 m0, s18
	s_add_nc_u64 s[18:19], s[18:19], 1
	v_movrels_b32_e32 v20, v2
	s_mov_b32 m0, s14
	ds_load_b32 v19, v19
	v_movrels_b32_e32 v21, v2
	s_add_co_i32 s44, s44, 64
	s_cmp_eq_u32 s14, s18
	s_wait_dscnt 0x0
	s_delay_alu instid0(VALU_DEP_1) | instskip(NEXT) | instid1(VALU_DEP_1)
	v_fma_f32 v19, -v20, v19, v21
	v_movreld_b32_e32 v2, v19
	s_cbranch_scc0 .LBB18_59
	s_branch .LBB18_55
.LBB18_60:                              ;   in Loop: Header=BB18_44 Depth=2
	s_cmp_lt_i32 s33, s21
	s_cselect_b32 s15, -1, 0
	s_add_co_i32 s14, s34, 1
	s_cmp_lt_u32 s34, 2
	s_cselect_b32 s18, -1, 0
	s_delay_alu instid0(SALU_CYCLE_1) | instskip(NEXT) | instid1(SALU_CYCLE_1)
	s_and_b32 s15, s15, s18
	s_and_not1_b32 vcc_lo, exec_lo, s15
	s_cbranch_vccnz .LBB18_62
; %bb.61:                               ;   in Loop: Header=BB18_44 Depth=2
	s_wait_xcnt 0x0
	s_mov_b32 s34, s14
	s_branch .LBB18_44
.LBB18_62:                              ;   in Loop: Header=BB18_3 Depth=1
	v_mov_b64_e32 v[32:33], v[16:17]
	v_mov_b64_e32 v[30:31], v[14:15]
	;; [unrolled: 1-line block ×8, first 2 shown]
.LBB18_63:                              ;   in Loop: Header=BB18_3 Depth=1
	s_delay_alu instid0(VALU_DEP_1) | instskip(NEXT) | instid1(VALU_DEP_3)
	v_mov_b64_e32 v[2:3], v[18:19]
	v_mov_b64_e32 v[4:5], v[20:21]
	;; [unrolled: 1-line block ×8, first 2 shown]
	s_wait_dscnt 0x0
	; wave barrier
	s_and_saveexec_b32 s14, s25
	s_cbranch_execz .LBB18_2
; %bb.64:                               ;   in Loop: Header=BB18_3 Depth=1
	s_and_not1_b32 vcc_lo, exec_lo, s29
	s_cbranch_vccnz .LBB18_68
; %bb.65:                               ;   in Loop: Header=BB18_3 Depth=1
	s_mov_b32 s15, 1
	s_mov_b32 s18, 0
	;; [unrolled: 1-line block ×3, first 2 shown]
.LBB18_66:                              ;   Parent Loop BB18_3 Depth=1
                                        ; =>  This Inner Loop Header: Depth=2
	v_lshl_add_u32 v18, s18, 6, v40
	v_lshl_add_u32 v19, s15, 6, v40
	s_add_co_i32 s19, s19, -2
	s_add_co_i32 s18, s18, 2
	s_add_co_i32 s15, s15, 2
	ds_load_b32 v18, v18
	ds_load_b32 v19, v19
	s_mov_b32 s33, s30
	s_cmp_lg_u32 s19, 0
	s_wait_xcnt 0x0
	s_mov_b32 s34, s31
	s_wait_dscnt 0x0
	global_store_b64 v[38:39], v[18:19], off
	s_wait_xcnt 0x0
	v_add_nc_u64_e32 v[38:39], 8, v[38:39]
	s_cbranch_scc1 .LBB18_66
; %bb.67:                               ;   in Loop: Header=BB18_3 Depth=1
	s_and_b32 vcc_lo, exec_lo, s34
	s_cbranch_vccz .LBB18_2
	s_branch .LBB18_69
.LBB18_68:                              ;   in Loop: Header=BB18_3 Depth=1
	s_wait_xcnt 0x0
	s_mov_b32 s33, 0
	s_cbranch_execz .LBB18_2
.LBB18_69:                              ;   in Loop: Header=BB18_3 Depth=1
	s_lshl_b32 s18, s33, 2
	s_mov_b32 s19, s3
	v_lshl_add_u32 v20, s33, 6, v40
	s_add_nc_u64 s[12:13], s[12:13], s[18:19]
	s_delay_alu instid0(SALU_CYCLE_1)
	v_add_nc_u64_e32 v[18:19], s[12:13], v[36:37]
	s_sub_co_i32 s12, s21, s33
.LBB18_70:                              ;   Parent Loop BB18_3 Depth=1
                                        ; =>  This Inner Loop Header: Depth=2
	ds_load_b32 v21, v20
	v_add_nc_u32_e32 v20, 64, v20
	s_add_co_i32 s12, s12, -1
	s_delay_alu instid0(SALU_CYCLE_1)
	s_cmp_lg_u32 s12, 0
	s_wait_dscnt 0x0
	global_store_b32 v[18:19], v21, off
	s_wait_xcnt 0x0
	v_add_nc_u64_e32 v[18:19], 4, v[18:19]
	s_cbranch_scc1 .LBB18_70
	s_branch .LBB18_2
.LBB18_71:
	s_endpgm
	.section	.rodata,"a",@progbits
	.p2align	6, 0x0
	.amdhsa_kernel _ZL38rocblas_trsm_small_left_device_sharedBILi16ELi16ELb1EffPKfPfEv13rocblas_fill_18rocblas_operation_17rocblas_diagonal_iiT3_T4_lilT5_lili
		.amdhsa_group_segment_fixed_size 2048
		.amdhsa_private_segment_fixed_size 0
		.amdhsa_kernarg_size 352
		.amdhsa_user_sgpr_count 2
		.amdhsa_user_sgpr_dispatch_ptr 0
		.amdhsa_user_sgpr_queue_ptr 0
		.amdhsa_user_sgpr_kernarg_segment_ptr 1
		.amdhsa_user_sgpr_dispatch_id 0
		.amdhsa_user_sgpr_kernarg_preload_length 0
		.amdhsa_user_sgpr_kernarg_preload_offset 0
		.amdhsa_user_sgpr_private_segment_size 0
		.amdhsa_wavefront_size32 1
		.amdhsa_uses_dynamic_stack 0
		.amdhsa_enable_private_segment 0
		.amdhsa_system_sgpr_workgroup_id_x 1
		.amdhsa_system_sgpr_workgroup_id_y 0
		.amdhsa_system_sgpr_workgroup_id_z 1
		.amdhsa_system_sgpr_workgroup_info 0
		.amdhsa_system_vgpr_workitem_id 0
		.amdhsa_next_free_vgpr 45
		.amdhsa_next_free_sgpr 47
		.amdhsa_named_barrier_count 0
		.amdhsa_reserve_vcc 1
		.amdhsa_float_round_mode_32 0
		.amdhsa_float_round_mode_16_64 0
		.amdhsa_float_denorm_mode_32 3
		.amdhsa_float_denorm_mode_16_64 3
		.amdhsa_fp16_overflow 0
		.amdhsa_memory_ordered 1
		.amdhsa_forward_progress 1
		.amdhsa_inst_pref_size 21
		.amdhsa_round_robin_scheduling 0
		.amdhsa_exception_fp_ieee_invalid_op 0
		.amdhsa_exception_fp_denorm_src 0
		.amdhsa_exception_fp_ieee_div_zero 0
		.amdhsa_exception_fp_ieee_overflow 0
		.amdhsa_exception_fp_ieee_underflow 0
		.amdhsa_exception_fp_ieee_inexact 0
		.amdhsa_exception_int_div_zero 0
	.end_amdhsa_kernel
	.section	.text._ZL38rocblas_trsm_small_left_device_sharedBILi16ELi16ELb1EffPKfPfEv13rocblas_fill_18rocblas_operation_17rocblas_diagonal_iiT3_T4_lilT5_lili,"axG",@progbits,_ZL38rocblas_trsm_small_left_device_sharedBILi16ELi16ELb1EffPKfPfEv13rocblas_fill_18rocblas_operation_17rocblas_diagonal_iiT3_T4_lilT5_lili,comdat
.Lfunc_end18:
	.size	_ZL38rocblas_trsm_small_left_device_sharedBILi16ELi16ELb1EffPKfPfEv13rocblas_fill_18rocblas_operation_17rocblas_diagonal_iiT3_T4_lilT5_lili, .Lfunc_end18-_ZL38rocblas_trsm_small_left_device_sharedBILi16ELi16ELb1EffPKfPfEv13rocblas_fill_18rocblas_operation_17rocblas_diagonal_iiT3_T4_lilT5_lili
                                        ; -- End function
	.set _ZL38rocblas_trsm_small_left_device_sharedBILi16ELi16ELb1EffPKfPfEv13rocblas_fill_18rocblas_operation_17rocblas_diagonal_iiT3_T4_lilT5_lili.num_vgpr, 45
	.set _ZL38rocblas_trsm_small_left_device_sharedBILi16ELi16ELb1EffPKfPfEv13rocblas_fill_18rocblas_operation_17rocblas_diagonal_iiT3_T4_lilT5_lili.num_agpr, 0
	.set _ZL38rocblas_trsm_small_left_device_sharedBILi16ELi16ELb1EffPKfPfEv13rocblas_fill_18rocblas_operation_17rocblas_diagonal_iiT3_T4_lilT5_lili.numbered_sgpr, 47
	.set _ZL38rocblas_trsm_small_left_device_sharedBILi16ELi16ELb1EffPKfPfEv13rocblas_fill_18rocblas_operation_17rocblas_diagonal_iiT3_T4_lilT5_lili.num_named_barrier, 0
	.set _ZL38rocblas_trsm_small_left_device_sharedBILi16ELi16ELb1EffPKfPfEv13rocblas_fill_18rocblas_operation_17rocblas_diagonal_iiT3_T4_lilT5_lili.private_seg_size, 0
	.set _ZL38rocblas_trsm_small_left_device_sharedBILi16ELi16ELb1EffPKfPfEv13rocblas_fill_18rocblas_operation_17rocblas_diagonal_iiT3_T4_lilT5_lili.uses_vcc, 1
	.set _ZL38rocblas_trsm_small_left_device_sharedBILi16ELi16ELb1EffPKfPfEv13rocblas_fill_18rocblas_operation_17rocblas_diagonal_iiT3_T4_lilT5_lili.uses_flat_scratch, 0
	.set _ZL38rocblas_trsm_small_left_device_sharedBILi16ELi16ELb1EffPKfPfEv13rocblas_fill_18rocblas_operation_17rocblas_diagonal_iiT3_T4_lilT5_lili.has_dyn_sized_stack, 0
	.set _ZL38rocblas_trsm_small_left_device_sharedBILi16ELi16ELb1EffPKfPfEv13rocblas_fill_18rocblas_operation_17rocblas_diagonal_iiT3_T4_lilT5_lili.has_recursion, 0
	.set _ZL38rocblas_trsm_small_left_device_sharedBILi16ELi16ELb1EffPKfPfEv13rocblas_fill_18rocblas_operation_17rocblas_diagonal_iiT3_T4_lilT5_lili.has_indirect_call, 0
	.section	.AMDGPU.csdata,"",@progbits
; Kernel info:
; codeLenInByte = 2592
; TotalNumSgprs: 49
; NumVgprs: 45
; ScratchSize: 0
; MemoryBound: 0
; FloatMode: 240
; IeeeMode: 1
; LDSByteSize: 2048 bytes/workgroup (compile time only)
; SGPRBlocks: 0
; VGPRBlocks: 2
; NumSGPRsForWavesPerEU: 49
; NumVGPRsForWavesPerEU: 45
; NamedBarCnt: 0
; Occupancy: 16
; WaveLimiterHint : 0
; COMPUTE_PGM_RSRC2:SCRATCH_EN: 0
; COMPUTE_PGM_RSRC2:USER_SGPR: 2
; COMPUTE_PGM_RSRC2:TRAP_HANDLER: 0
; COMPUTE_PGM_RSRC2:TGID_X_EN: 1
; COMPUTE_PGM_RSRC2:TGID_Y_EN: 0
; COMPUTE_PGM_RSRC2:TGID_Z_EN: 1
; COMPUTE_PGM_RSRC2:TIDIG_COMP_CNT: 0
	.section	.text._ZL30rocblas_trsm_small_left_deviceILi16ELi16ELb1EffPKfPfEv13rocblas_fill_18rocblas_operation_17rocblas_diagonal_iiT3_T4_lilT5_lili,"axG",@progbits,_ZL30rocblas_trsm_small_left_deviceILi16ELi16ELb1EffPKfPfEv13rocblas_fill_18rocblas_operation_17rocblas_diagonal_iiT3_T4_lilT5_lili,comdat
	.globl	_ZL30rocblas_trsm_small_left_deviceILi16ELi16ELb1EffPKfPfEv13rocblas_fill_18rocblas_operation_17rocblas_diagonal_iiT3_T4_lilT5_lili ; -- Begin function _ZL30rocblas_trsm_small_left_deviceILi16ELi16ELb1EffPKfPfEv13rocblas_fill_18rocblas_operation_17rocblas_diagonal_iiT3_T4_lilT5_lili
	.p2align	8
	.type	_ZL30rocblas_trsm_small_left_deviceILi16ELi16ELb1EffPKfPfEv13rocblas_fill_18rocblas_operation_17rocblas_diagonal_iiT3_T4_lilT5_lili,@function
_ZL30rocblas_trsm_small_left_deviceILi16ELi16ELb1EffPKfPfEv13rocblas_fill_18rocblas_operation_17rocblas_diagonal_iiT3_T4_lilT5_lili: ; @_ZL30rocblas_trsm_small_left_deviceILi16ELi16ELb1EffPKfPfEv13rocblas_fill_18rocblas_operation_17rocblas_diagonal_iiT3_T4_lilT5_lili
; %bb.0:
	s_load_b32 s28, s[0:1], 0x58
	s_bfe_u32 s2, ttmp6, 0x40014
	s_lshr_b32 s4, ttmp7, 16
	s_add_co_i32 s2, s2, 1
	s_bfe_u32 s5, ttmp6, 0x40008
	s_mul_i32 s2, s4, s2
	s_getreg_b32 s3, hwreg(HW_REG_IB_STS2, 6, 4)
	s_add_co_i32 s5, s5, s2
	s_cmp_eq_u32 s3, 0
	s_mov_b32 s19, 0
	s_cselect_b32 s2, s4, s5
	s_wait_kmcnt 0x0
	s_cmp_ge_u32 s2, s28
	s_cbranch_scc1 .LBB19_57
; %bb.1:
	s_clause 0x7
	s_load_b32 s22, s[0:1], 0x28
	s_load_b96 s[16:18], s[0:1], 0x40
	s_load_b128 s[4:7], s[0:1], 0x4
	s_load_b32 s26, s[0:1], 0x60
	s_load_b128 s[8:11], s[0:1], 0x18
	s_load_b128 s[12:15], s[0:1], 0x30
	s_load_b64 s[20:21], s[0:1], 0x50
	s_load_b32 s29, s[0:1], 0x14
	v_dual_mov_b32 v35, 0 :: v_dual_lshlrev_b32 v34, 2, v0
	v_lshlrev_b32_e32 v20, 6, v0
	s_mov_b32 s39, 0
	s_delay_alu instid0(VALU_DEP_2)
	v_dual_mov_b32 v2, v35 :: v_dual_mov_b32 v4, v35
	v_dual_mov_b32 v5, v35 :: v_dual_mov_b32 v7, v35
	v_dual_mov_b32 v8, v35 :: v_dual_mov_b32 v9, v35
	s_wait_kmcnt 0x0
	s_ashr_i32 s23, s22, 31
	v_dual_mov_b32 v13, v35 :: v_dual_mov_b32 v14, v35
	s_cmp_eq_u64 s[22:23], 1
	v_dual_mov_b32 v15, v35 :: v_dual_mov_b32 v16, v35
	s_cselect_b32 s27, -1, 0
	s_bfe_u32 s0, ttmp6, 0x4000c
	s_min_i32 s30, s6, 16
	s_add_co_i32 s0, s0, 1
	s_and_b32 s6, ttmp6, 15
	s_mul_i32 s0, ttmp9, s0
	s_ashr_i32 s1, s18, 31
	s_lshl_b64 s[24:25], s[16:17], 2
	s_add_co_i32 s26, s26, -1
	s_add_co_i32 s31, s30, -1
	s_add_co_i32 s6, s6, s0
	s_cmp_eq_u32 s3, 0
	v_mov_b32_e32 v3, v35
	s_cselect_b32 s3, ttmp9, s6
	s_mov_b32 s0, s18
	s_lshl_b32 s6, s3, 4
	s_add_nc_u64 s[14:15], s[14:15], s[24:25]
	v_dual_mov_b32 v6, v35 :: v_dual_bitop2_b32 v10, s6, v0 bitop3:0x54
	v_mov_b32_e32 v17, v35
	s_get_pc_i64 s[16:17]
	s_add_nc_u64 s[16:17], s[16:17], __const._ZL30rocblas_trsm_small_left_deviceILi16ELi16ELb1EffPKfPfEv13rocblas_fill_18rocblas_operation_17rocblas_diagonal_iiT3_T4_lilT5_lili.step_sizes@rel64+4
	s_delay_alu instid0(VALU_DEP_2) | instskip(NEXT) | instid1(VALU_DEP_1)
	v_dual_mov_b32 v12, v35 :: v_dual_ashrrev_i32 v11, 31, v10
	v_mul_u64_e32 v[18:19], s[0:1], v[10:11]
	s_sub_co_i32 s0, s7, s6
	s_cmp_ge_u32 s3, s26
	v_mov_b32_e32 v10, v35
	s_cselect_b32 s1, s0, 16
	s_cmp_lg_u32 s5, 0x84
	v_cmp_gt_i32_e64 s0, s30, v0
	s_cselect_b32 s33, -1, 0
	s_cmp_lg_u32 s4, 0x6f
	v_cmp_gt_i32_e64 s1, s1, v0
	s_cselect_b32 s34, -1, 0
	s_cmp_gt_u32 s30, 1
	v_mov_b32_e32 v11, v35
	s_cselect_b32 s3, -1, 0
	s_and_b32 s35, s30, -2
	s_and_b32 s36, s3, s27
	s_cmp_lg_u32 s30, s35
	s_cselect_b32 s37, -1, 0
	s_lshl_b64 s[10:11], s[10:11], 2
	s_lshl_b32 s38, s30, 2
	s_add_nc_u64 s[8:9], s[8:9], s[10:11]
	s_lshl_b64 s[4:5], s[12:13], 2
	v_add_nc_u64_e32 v[0:1], s[8:9], v[34:35]
	v_add_nc_u32_e32 v35, v34, v20
	s_lshl_b64 s[6:7], s[22:23], 2
	s_lshl_b64 s[8:9], s[20:21], 2
	s_add_co_i32 s38, s38, -4
	v_lshl_add_u64 v[36:37], v[18:19], 2, s[14:15]
	s_branch .LBB19_5
.LBB19_2:                               ;   in Loop: Header=BB19_5 Depth=1
	s_wait_xcnt 0x0
	v_mov_b64_e32 v[32:33], v[16:17]
	v_mov_b64_e32 v[30:31], v[14:15]
	;; [unrolled: 1-line block ×8, first 2 shown]
.LBB19_3:                               ;   in Loop: Header=BB19_5 Depth=1
	s_add_co_i32 s2, s2, 0x10000
	s_delay_alu instid0(SALU_CYCLE_1) | instskip(SKIP_1) | instid1(SALU_CYCLE_1)
	s_cmp_ge_u32 s2, s28
	s_cselect_b32 s3, -1, 0
	s_or_not1_b32 s10, s3, exec_lo
.LBB19_4:                               ;   in Loop: Header=BB19_5 Depth=1
	s_wait_xcnt 0x0
	s_or_b32 exec_lo, exec_lo, s40
	v_mov_b64_e32 v[2:3], v[18:19]
	v_mov_b64_e32 v[4:5], v[20:21]
	;; [unrolled: 1-line block ×8, first 2 shown]
	s_and_b32 s3, exec_lo, s10
	s_delay_alu instid0(SALU_CYCLE_1) | instskip(NEXT) | instid1(SALU_CYCLE_1)
	s_or_b32 s39, s3, s39
	s_and_not1_b32 exec_lo, exec_lo, s39
	s_cbranch_execz .LBB19_57
.LBB19_5:                               ; =>This Loop Header: Depth=1
                                        ;     Child Loop BB19_8 Depth 2
                                        ;     Child Loop BB19_12 Depth 2
	;; [unrolled: 1-line block ×3, first 2 shown]
                                        ;       Child Loop BB19_22 Depth 3
                                        ;       Child Loop BB19_24 Depth 3
                                        ;         Child Loop BB19_25 Depth 4
                                        ;       Child Loop BB19_30 Depth 3
                                        ;         Child Loop BB19_32 Depth 4
                                        ;     Child Loop BB19_34 Depth 2
                                        ;     Child Loop BB19_39 Depth 2
                                        ;       Child Loop BB19_42 Depth 3
                                        ;         Child Loop BB19_43 Depth 4
                                        ;         Child Loop BB19_46 Depth 4
                                        ;           Child Loop BB19_47 Depth 5
                                        ;         Child Loop BB19_52 Depth 4
                                        ;           Child Loop BB19_54 Depth 5
	s_mov_b32 s3, s19
	s_and_saveexec_b32 s12, s0
	s_cbranch_execz .LBB19_16
; %bb.6:                                ;   in Loop: Header=BB19_5 Depth=1
	s_and_not1_b32 vcc_lo, exec_lo, s36
	s_mul_u64 s[10:11], s[4:5], s[2:3]
	s_cbranch_vccnz .LBB19_10
; %bb.7:                                ;   in Loop: Header=BB19_5 Depth=1
	v_add_nc_u64_e32 v[18:19], s[10:11], v[0:1]
	s_mov_b32 s13, 1
	s_mov_b32 s14, 0
	;; [unrolled: 1-line block ×3, first 2 shown]
.LBB19_8:                               ;   Parent Loop BB19_5 Depth=1
                                        ; =>  This Inner Loop Header: Depth=2
	global_load_b64 v[20:21], v[18:19], off
	s_wait_xcnt 0x0
	v_add_nc_u64_e32 v[18:19], 8, v[18:19]
	v_lshl_or_b32 v22, s14, 6, v34
	v_lshl_or_b32 v23, s13, 6, v34
	s_add_co_i32 s15, s15, -2
	s_add_co_i32 s14, s14, 2
	s_add_co_i32 s13, s13, 2
	s_mov_b32 s18, s35
	s_mov_b32 s22, s37
	s_cmp_lg_u32 s15, 0
	s_wait_loadcnt 0x0
	ds_store_b32 v22, v20
	ds_store_b32 v23, v21
	s_cbranch_scc1 .LBB19_8
; %bb.9:                                ;   in Loop: Header=BB19_5 Depth=1
	s_and_b32 vcc_lo, exec_lo, s22
	s_cbranch_vccnz .LBB19_11
	s_branch .LBB19_13
.LBB19_10:                              ;   in Loop: Header=BB19_5 Depth=1
	s_mov_b32 s18, 0
	s_cbranch_execz .LBB19_13
.LBB19_11:                              ;   in Loop: Header=BB19_5 Depth=1
	s_mul_u64 s[14:15], s[6:7], s[18:19]
	v_lshl_or_b32 v20, s18, 6, v34
	s_add_nc_u64 s[10:11], s[14:15], s[10:11]
	s_delay_alu instid0(SALU_CYCLE_1)
	v_add_nc_u64_e32 v[18:19], s[10:11], v[0:1]
	s_sub_co_i32 s10, s30, s18
.LBB19_12:                              ;   Parent Loop BB19_5 Depth=1
                                        ; =>  This Inner Loop Header: Depth=2
	global_load_b32 v21, v[18:19], off
	s_wait_xcnt 0x0
	v_add_nc_u64_e32 v[18:19], s[6:7], v[18:19]
	s_add_co_i32 s10, s10, -1
	s_delay_alu instid0(SALU_CYCLE_1)
	s_cmp_eq_u32 s10, 0
	s_wait_loadcnt 0x0
	ds_store_b32 v20, v21
	v_add_nc_u32_e32 v20, 64, v20
	s_cbranch_scc0 .LBB19_12
.LBB19_13:                              ;   in Loop: Header=BB19_5 Depth=1
	v_mov_b32_e32 v18, 1.0
	s_and_b32 vcc_lo, exec_lo, s33
	s_cbranch_vccz .LBB19_15
; %bb.14:                               ;   in Loop: Header=BB19_5 Depth=1
	ds_load_b32 v18, v35
	s_wait_dscnt 0x0
	v_div_scale_f32 v19, null, v18, v18, 1.0
	s_delay_alu instid0(VALU_DEP_1) | instskip(SKIP_1) | instid1(TRANS32_DEP_1)
	v_rcp_f32_e32 v20, v19
	v_nop
	v_fma_f32 v21, -v19, v20, 1.0
	s_delay_alu instid0(VALU_DEP_1) | instskip(SKIP_1) | instid1(VALU_DEP_1)
	v_fmac_f32_e32 v20, v21, v20
	v_div_scale_f32 v21, vcc_lo, 1.0, v18, 1.0
	v_mul_f32_e32 v22, v21, v20
	s_delay_alu instid0(VALU_DEP_1) | instskip(NEXT) | instid1(VALU_DEP_1)
	v_fma_f32 v23, -v19, v22, v21
	v_fmac_f32_e32 v22, v23, v20
	s_delay_alu instid0(VALU_DEP_1) | instskip(NEXT) | instid1(VALU_DEP_1)
	v_fma_f32 v19, -v19, v22, v21
	v_div_fmas_f32 v19, v19, v20, v22
	s_delay_alu instid0(VALU_DEP_1)
	v_div_fixup_f32 v18, v19, v18, 1.0
.LBB19_15:                              ;   in Loop: Header=BB19_5 Depth=1
	ds_store_b32 v35, v18
.LBB19_16:                              ;   in Loop: Header=BB19_5 Depth=1
	s_or_b32 exec_lo, exec_lo, s12
	s_mov_b32 s10, -1
	s_wait_dscnt 0x0
	; wave barrier
                                        ; implicit-def: $vgpr18_vgpr19_vgpr20_vgpr21_vgpr22_vgpr23_vgpr24_vgpr25_vgpr26_vgpr27_vgpr28_vgpr29_vgpr30_vgpr31_vgpr32_vgpr33
	s_and_saveexec_b32 s40, s1
	s_cbranch_execz .LBB19_4
; %bb.17:                               ;   in Loop: Header=BB19_5 Depth=1
	s_mul_u64 s[10:11], s[20:21], s[2:3]
	s_and_not1_b32 vcc_lo, exec_lo, s34
	v_lshl_add_u64 v[38:39], s[10:11], 2, v[36:37]
	s_mul_u64 s[10:11], s[8:9], s[2:3]
	s_mov_b32 s3, -1
                                        ; implicit-def: $vgpr18_vgpr19_vgpr20_vgpr21_vgpr22_vgpr23_vgpr24_vgpr25_vgpr26_vgpr27_vgpr28_vgpr29_vgpr30_vgpr31_vgpr32_vgpr33
	s_cbranch_vccnz .LBB19_37
; %bb.18:                               ;   in Loop: Header=BB19_5 Depth=1
	v_mov_b64_e32 v[32:33], v[16:17]
	v_add_nc_u64_e32 v[40:41], s[10:11], v[36:37]
	v_mov_b64_e32 v[30:31], v[14:15]
	v_mov_b64_e32 v[28:29], v[12:13]
	;; [unrolled: 1-line block ×7, first 2 shown]
	s_mov_b32 s3, 0
	s_mov_b32 s12, s31
	s_load_b32 s18, s[16:17], s3 offset:0x0 scale_offset
	s_wait_kmcnt 0x0
	s_add_co_i32 s41, s18, -1
	s_delay_alu instid0(SALU_CYCLE_1)
	s_cmp_lt_i32 s12, s41
	s_cbranch_scc1 .LBB19_34
.LBB19_19:                              ;   in Loop: Header=BB19_5 Depth=1
	s_lshl_b32 s13, s12, 6
	s_lshl_b32 s14, s18, 6
	s_max_i32 s42, s18, 1
	s_add_co_i32 s43, s38, s13
	s_sub_co_i32 s44, 0, s14
	s_mul_i32 s45, s12, 0x44
	s_mul_i32 s46, s18, 0xffffffbc
	s_branch .LBB19_21
.LBB19_20:                              ;   in Loop: Header=BB19_21 Depth=2
	s_sub_co_i32 s12, s12, s18
	s_add_co_i32 s43, s43, s44
	s_add_co_i32 s45, s45, s46
	s_cmp_lt_i32 s12, s41
	s_cbranch_scc1 .LBB19_34
.LBB19_21:                              ;   Parent Loop BB19_5 Depth=1
                                        ; =>  This Loop Header: Depth=2
                                        ;       Child Loop BB19_22 Depth 3
                                        ;       Child Loop BB19_24 Depth 3
                                        ;         Child Loop BB19_25 Depth 4
                                        ;       Child Loop BB19_30 Depth 3
                                        ;         Child Loop BB19_32 Depth 4
	s_ashr_i32 s13, s12, 31
	s_mov_b64 s[14:15], 0
	s_wait_xcnt 0x0
	v_lshl_add_u64 v[42:43], s[12:13], 2, v[40:41]
.LBB19_22:                              ;   Parent Loop BB19_5 Depth=1
                                        ;     Parent Loop BB19_21 Depth=2
                                        ; =>    This Inner Loop Header: Depth=3
	global_load_b32 v44, v[42:43], off
	s_wait_xcnt 0x0
	v_add_nc_u64_e32 v[42:43], -4, v[42:43]
	s_mov_b32 m0, s14
	s_add_nc_u64 s[14:15], s[14:15], 1
	s_delay_alu instid0(SALU_CYCLE_1) | instskip(SKIP_2) | instid1(VALU_DEP_1)
	s_cmp_eq_u32 s42, s14
	s_wait_loadcnt 0x0
	v_mul_f32_e32 v44, s29, v44
	v_movreld_b32_e32 v18, v44
	s_cbranch_scc0 .LBB19_22
; %bb.23:                               ;   in Loop: Header=BB19_21 Depth=2
	s_cmp_le_i32 s31, s12
	s_mov_b32 s24, s43
	s_mov_b32 s14, s31
	s_cbranch_scc1 .LBB19_27
.LBB19_24:                              ;   Parent Loop BB19_5 Depth=1
                                        ;     Parent Loop BB19_21 Depth=2
                                        ; =>    This Loop Header: Depth=3
                                        ;         Child Loop BB19_25 Depth 4
	s_ashr_i32 s15, s14, 31
	s_mov_b64 s[22:23], 0
	v_lshl_add_u64 v[42:43], s[14:15], 2, v[38:39]
	s_mov_b32 s15, s24
	global_load_b32 v42, v[42:43], off
.LBB19_25:                              ;   Parent Loop BB19_5 Depth=1
                                        ;     Parent Loop BB19_21 Depth=2
                                        ;       Parent Loop BB19_24 Depth=3
                                        ; =>      This Inner Loop Header: Depth=4
	s_wait_xcnt 0x0
	v_mov_b32_e32 v43, s15
	s_mov_b32 m0, s22
	s_add_nc_u64 s[22:23], s[22:23], 1
	v_movrels_b32_e32 v44, v18
	s_sub_co_i32 s15, s15, 64
	ds_load_b32 v43, v43
	s_cmp_eq_u32 s42, s22
	s_wait_loadcnt_dscnt 0x0
	v_fma_f32 v43, -v42, v43, v44
	s_delay_alu instid0(VALU_DEP_1)
	v_movreld_b32_e32 v18, v43
	s_cbranch_scc0 .LBB19_25
; %bb.26:                               ;   in Loop: Header=BB19_24 Depth=3
	s_add_co_i32 s14, s14, -1
	s_add_co_i32 s24, s24, -4
	s_cmp_le_i32 s14, s12
	s_cbranch_scc0 .LBB19_24
.LBB19_27:                              ;   in Loop: Header=BB19_21 Depth=2
	s_mov_b64 s[14:15], 0
	s_mov_b32 s47, s45
	s_branch .LBB19_30
.LBB19_28:                              ;   in Loop: Header=BB19_30 Depth=3
	s_mov_b32 s22, s12
	s_mov_b64 s[26:27], 0
	s_mov_b64 s[24:25], s[12:13]
.LBB19_29:                              ;   in Loop: Header=BB19_30 Depth=3
	s_mulk_i32 s22, 0x44
	s_mov_b32 m0, s26
	s_wait_xcnt 0x0
	v_mov_b32_e32 v42, s22
	v_movrels_b32_e32 v43, v18
	s_add_nc_u64 s[14:15], s[14:15], 1
	s_sub_co_i32 s47, s47, 64
	s_cmp_eq_u32 s14, s42
	ds_load_b32 v42, v42
	s_wait_dscnt 0x0
	v_mul_f32_e32 v44, v43, v42
	v_lshl_add_u64 v[42:43], s[24:25], 2, v[38:39]
	s_delay_alu instid0(VALU_DEP_2)
	v_movreld_b32_e32 v18, v44
	global_store_b32 v[42:43], v44, off
	s_cbranch_scc1 .LBB19_20
.LBB19_30:                              ;   Parent Loop BB19_5 Depth=1
                                        ;     Parent Loop BB19_21 Depth=2
                                        ; =>    This Loop Header: Depth=3
                                        ;         Child Loop BB19_32 Depth 4
	s_cmp_eq_u32 s14, 0
	s_cbranch_scc1 .LBB19_28
; %bb.31:                               ;   in Loop: Header=BB19_30 Depth=3
	s_mov_b64 s[22:23], 0
	s_mov_b32 s24, s47
.LBB19_32:                              ;   Parent Loop BB19_5 Depth=1
                                        ;     Parent Loop BB19_21 Depth=2
                                        ;       Parent Loop BB19_30 Depth=3
                                        ; =>      This Inner Loop Header: Depth=4
	s_wait_xcnt 0x0
	v_mov_b32_e32 v42, s24
	s_mov_b32 m0, s22
	s_add_nc_u64 s[22:23], s[22:23], 1
	v_movrels_b32_e32 v43, v18
	s_mov_b32 m0, s14
	ds_load_b32 v42, v42
	v_movrels_b32_e32 v44, v18
	s_add_co_i32 s24, s24, -4
	s_cmp_eq_u32 s14, s22
	s_wait_dscnt 0x0
	s_delay_alu instid0(VALU_DEP_1) | instskip(NEXT) | instid1(VALU_DEP_1)
	v_fma_f32 v42, -v43, v42, v44
	v_movreld_b32_e32 v18, v42
	s_cbranch_scc0 .LBB19_32
; %bb.33:                               ;   in Loop: Header=BB19_30 Depth=3
	s_sub_co_i32 s22, s12, s14
	s_mov_b64 s[26:27], s[14:15]
	s_ashr_i32 s23, s22, 31
	s_delay_alu instid0(SALU_CYCLE_1)
	s_mov_b64 s[24:25], s[22:23]
	s_branch .LBB19_29
.LBB19_34:                              ;   Parent Loop BB19_5 Depth=1
                                        ; =>  This Inner Loop Header: Depth=2
	s_cmp_gt_i32 s12, -1
	s_cselect_b32 s14, -1, 0
	s_add_co_i32 s13, s3, 1
	s_cmp_lt_u32 s3, 2
	s_wait_xcnt 0x0
	s_cselect_b32 s3, -1, 0
	s_delay_alu instid0(SALU_CYCLE_1) | instskip(NEXT) | instid1(SALU_CYCLE_1)
	s_and_b32 s3, s14, s3
	s_and_b32 vcc_lo, exec_lo, s3
	s_cbranch_vccz .LBB19_36
; %bb.35:                               ;   in Loop: Header=BB19_34 Depth=2
	s_mov_b32 s3, s13
	s_load_b32 s18, s[16:17], s3 offset:0x0 scale_offset
	s_wait_kmcnt 0x0
	s_add_co_i32 s41, s18, -1
	s_delay_alu instid0(SALU_CYCLE_1)
	s_cmp_lt_i32 s12, s41
	s_cbranch_scc0 .LBB19_19
	s_branch .LBB19_34
.LBB19_36:                              ;   in Loop: Header=BB19_5 Depth=1
	s_mov_b32 s3, 0
.LBB19_37:                              ;   in Loop: Header=BB19_5 Depth=1
	s_delay_alu instid0(SALU_CYCLE_1)
	s_and_b32 vcc_lo, exec_lo, s3
	s_cbranch_vccz .LBB19_3
; %bb.38:                               ;   in Loop: Header=BB19_5 Depth=1
	v_add_nc_u64_e32 v[18:19], s[10:11], v[36:37]
	s_mov_b32 s10, 0
	s_mov_b32 s3, 0
.LBB19_39:                              ;   Parent Loop BB19_5 Depth=1
                                        ; =>  This Loop Header: Depth=2
                                        ;       Child Loop BB19_42 Depth 3
                                        ;         Child Loop BB19_43 Depth 4
                                        ;         Child Loop BB19_46 Depth 4
                                        ;           Child Loop BB19_47 Depth 5
                                        ;         Child Loop BB19_52 Depth 4
                                        ;           Child Loop BB19_54 Depth 5
	s_load_b32 s12, s[16:17], s3 offset:0x0 scale_offset
	s_wait_kmcnt 0x0
	s_add_co_i32 s26, s12, -1
	s_delay_alu instid0(SALU_CYCLE_1) | instskip(NEXT) | instid1(SALU_CYCLE_1)
	s_add_co_i32 s11, s26, s10
	s_cmp_ge_i32 s11, s30
	s_cbranch_scc1 .LBB19_55
; %bb.40:                               ;   in Loop: Header=BB19_39 Depth=2
	s_ashr_i32 s11, s10, 31
	s_ashr_i32 s13, s12, 31
	v_lshl_add_u64 v[20:21], s[10:11], 2, v[18:19]
	s_max_i32 s27, s12, 1
	s_lshl_b64 s[14:15], s[12:13], 2
	s_lshl_b32 s11, s10, 2
	s_lshl_b32 s13, s12, 2
	s_mul_i32 s41, s10, 0x44
	s_mul_i32 s42, s12, 0x44
	s_branch .LBB19_42
.LBB19_41:                              ;   in Loop: Header=BB19_42 Depth=3
	v_add_nc_u64_e32 v[20:21], s[14:15], v[20:21]
	s_add_co_i32 s10, s10, s12
	s_add_co_i32 s11, s11, s13
	s_add_co_i32 s18, s26, s10
	s_add_co_i32 s41, s41, s42
	s_cmp_ge_i32 s18, s30
	s_cbranch_scc1 .LBB19_55
.LBB19_42:                              ;   Parent Loop BB19_5 Depth=1
                                        ;     Parent Loop BB19_39 Depth=2
                                        ; =>    This Loop Header: Depth=3
                                        ;         Child Loop BB19_43 Depth 4
                                        ;         Child Loop BB19_46 Depth 4
                                        ;           Child Loop BB19_47 Depth 5
                                        ;         Child Loop BB19_52 Depth 4
                                        ;           Child Loop BB19_54 Depth 5
	s_wait_xcnt 0x0
	v_mov_b64_e32 v[22:23], v[20:21]
	s_mov_b64 s[22:23], 0
.LBB19_43:                              ;   Parent Loop BB19_5 Depth=1
                                        ;     Parent Loop BB19_39 Depth=2
                                        ;       Parent Loop BB19_42 Depth=3
                                        ; =>      This Inner Loop Header: Depth=4
	global_load_b32 v24, v[22:23], off
	s_wait_xcnt 0x0
	v_add_nc_u64_e32 v[22:23], 4, v[22:23]
	s_mov_b32 m0, s22
	s_add_nc_u64 s[22:23], s[22:23], 1
	s_delay_alu instid0(SALU_CYCLE_1) | instskip(SKIP_2) | instid1(VALU_DEP_1)
	s_cmp_eq_u32 s27, s22
	s_wait_loadcnt 0x0
	v_mul_f32_e32 v24, s29, v24
	v_movreld_b32_e32 v2, v24
	s_cbranch_scc0 .LBB19_43
; %bb.44:                               ;   in Loop: Header=BB19_42 Depth=3
	s_cmp_lt_i32 s10, 1
	s_cbranch_scc1 .LBB19_49
; %bb.45:                               ;   in Loop: Header=BB19_42 Depth=3
	s_mov_b32 s18, 0
	s_mov_b32 s24, s11
.LBB19_46:                              ;   Parent Loop BB19_5 Depth=1
                                        ;     Parent Loop BB19_39 Depth=2
                                        ;       Parent Loop BB19_42 Depth=3
                                        ; =>      This Loop Header: Depth=4
                                        ;           Child Loop BB19_47 Depth 5
	v_lshl_add_u64 v[22:23], s[18:19], 2, v[38:39]
	s_mov_b64 s[22:23], 0
	s_mov_b32 s25, s24
	global_load_b32 v22, v[22:23], off
.LBB19_47:                              ;   Parent Loop BB19_5 Depth=1
                                        ;     Parent Loop BB19_39 Depth=2
                                        ;       Parent Loop BB19_42 Depth=3
                                        ;         Parent Loop BB19_46 Depth=4
                                        ; =>        This Inner Loop Header: Depth=5
	s_wait_xcnt 0x0
	v_mov_b32_e32 v23, s25
	s_mov_b32 m0, s22
	s_add_nc_u64 s[22:23], s[22:23], 1
	v_movrels_b32_e32 v24, v2
	s_add_co_i32 s25, s25, 4
	ds_load_b32 v23, v23
	s_cmp_eq_u32 s27, s22
	s_wait_loadcnt_dscnt 0x0
	v_fma_f32 v23, -v22, v23, v24
	s_delay_alu instid0(VALU_DEP_1)
	v_movreld_b32_e32 v2, v23
	s_cbranch_scc0 .LBB19_47
; %bb.48:                               ;   in Loop: Header=BB19_46 Depth=4
	s_add_co_i32 s18, s18, 1
	s_add_co_i32 s24, s24, 64
	s_cmp_eq_u32 s18, s10
	s_cbranch_scc0 .LBB19_46
.LBB19_49:                              ;   in Loop: Header=BB19_42 Depth=3
	s_mov_b64 s[22:23], 0
	s_mov_b32 s18, s41
	s_branch .LBB19_52
.LBB19_50:                              ;   in Loop: Header=BB19_52 Depth=4
	s_mov_b64 s[24:25], s[22:23]
.LBB19_51:                              ;   in Loop: Header=BB19_52 Depth=4
	s_delay_alu instid0(SALU_CYCLE_1)
	s_mov_b32 m0, s24
	s_add_co_i32 s24, s22, s10
	s_wait_xcnt 0x0
	v_movrels_b32_e32 v23, v2
	s_mul_i32 s25, s24, 0x44
	s_add_nc_u64 s[22:23], s[22:23], 1
	v_mov_b32_e32 v22, s25
	s_ashr_i32 s25, s24, 31
	s_add_co_i32 s18, s18, 4
	s_cmp_eq_u32 s22, s27
	ds_load_b32 v22, v22
	s_wait_dscnt 0x0
	v_mul_f32_e32 v24, v23, v22
	v_lshl_add_u64 v[22:23], s[24:25], 2, v[38:39]
	s_delay_alu instid0(VALU_DEP_2)
	v_movreld_b32_e32 v2, v24
	global_store_b32 v[22:23], v24, off
	s_cbranch_scc1 .LBB19_41
.LBB19_52:                              ;   Parent Loop BB19_5 Depth=1
                                        ;     Parent Loop BB19_39 Depth=2
                                        ;       Parent Loop BB19_42 Depth=3
                                        ; =>      This Loop Header: Depth=4
                                        ;           Child Loop BB19_54 Depth 5
	s_mov_b64 s[24:25], 0
	s_cmp_eq_u32 s22, 0
	s_cbranch_scc1 .LBB19_51
; %bb.53:                               ;   in Loop: Header=BB19_52 Depth=4
	s_mov_b32 s43, s18
.LBB19_54:                              ;   Parent Loop BB19_5 Depth=1
                                        ;     Parent Loop BB19_39 Depth=2
                                        ;       Parent Loop BB19_42 Depth=3
                                        ;         Parent Loop BB19_52 Depth=4
                                        ; =>        This Inner Loop Header: Depth=5
	s_wait_xcnt 0x0
	v_mov_b32_e32 v22, s43
	s_mov_b32 m0, s24
	s_add_nc_u64 s[24:25], s[24:25], 1
	v_movrels_b32_e32 v23, v2
	s_mov_b32 m0, s22
	ds_load_b32 v22, v22
	v_movrels_b32_e32 v24, v2
	s_add_co_i32 s43, s43, 64
	s_cmp_eq_u32 s22, s24
	s_wait_dscnt 0x0
	s_delay_alu instid0(VALU_DEP_1) | instskip(NEXT) | instid1(VALU_DEP_1)
	v_fma_f32 v22, -v23, v22, v24
	v_movreld_b32_e32 v2, v22
	s_cbranch_scc0 .LBB19_54
	s_branch .LBB19_50
.LBB19_55:                              ;   in Loop: Header=BB19_39 Depth=2
	s_cmp_lt_i32 s10, s30
	s_cselect_b32 s12, -1, 0
	s_add_co_i32 s11, s3, 1
	s_cmp_lt_u32 s3, 2
	s_wait_xcnt 0x0
	s_cselect_b32 s3, -1, 0
	s_delay_alu instid0(SALU_CYCLE_1) | instskip(NEXT) | instid1(SALU_CYCLE_1)
	s_and_b32 s3, s12, s3
	s_and_not1_b32 vcc_lo, exec_lo, s3
	s_cbranch_vccnz .LBB19_2
; %bb.56:                               ;   in Loop: Header=BB19_39 Depth=2
	s_mov_b32 s3, s11
	s_branch .LBB19_39
.LBB19_57:
	s_endpgm
	.section	.rodata,"a",@progbits
	.p2align	6, 0x0
	.amdhsa_kernel _ZL30rocblas_trsm_small_left_deviceILi16ELi16ELb1EffPKfPfEv13rocblas_fill_18rocblas_operation_17rocblas_diagonal_iiT3_T4_lilT5_lili
		.amdhsa_group_segment_fixed_size 1024
		.amdhsa_private_segment_fixed_size 0
		.amdhsa_kernarg_size 352
		.amdhsa_user_sgpr_count 2
		.amdhsa_user_sgpr_dispatch_ptr 0
		.amdhsa_user_sgpr_queue_ptr 0
		.amdhsa_user_sgpr_kernarg_segment_ptr 1
		.amdhsa_user_sgpr_dispatch_id 0
		.amdhsa_user_sgpr_kernarg_preload_length 0
		.amdhsa_user_sgpr_kernarg_preload_offset 0
		.amdhsa_user_sgpr_private_segment_size 0
		.amdhsa_wavefront_size32 1
		.amdhsa_uses_dynamic_stack 0
		.amdhsa_enable_private_segment 0
		.amdhsa_system_sgpr_workgroup_id_x 1
		.amdhsa_system_sgpr_workgroup_id_y 0
		.amdhsa_system_sgpr_workgroup_id_z 1
		.amdhsa_system_sgpr_workgroup_info 0
		.amdhsa_system_vgpr_workitem_id 0
		.amdhsa_next_free_vgpr 45
		.amdhsa_next_free_sgpr 48
		.amdhsa_named_barrier_count 0
		.amdhsa_reserve_vcc 1
		.amdhsa_float_round_mode_32 0
		.amdhsa_float_round_mode_16_64 0
		.amdhsa_float_denorm_mode_32 3
		.amdhsa_float_denorm_mode_16_64 3
		.amdhsa_fp16_overflow 0
		.amdhsa_memory_ordered 1
		.amdhsa_forward_progress 1
		.amdhsa_inst_pref_size 18
		.amdhsa_round_robin_scheduling 0
		.amdhsa_exception_fp_ieee_invalid_op 0
		.amdhsa_exception_fp_denorm_src 0
		.amdhsa_exception_fp_ieee_div_zero 0
		.amdhsa_exception_fp_ieee_overflow 0
		.amdhsa_exception_fp_ieee_underflow 0
		.amdhsa_exception_fp_ieee_inexact 0
		.amdhsa_exception_int_div_zero 0
	.end_amdhsa_kernel
	.section	.text._ZL30rocblas_trsm_small_left_deviceILi16ELi16ELb1EffPKfPfEv13rocblas_fill_18rocblas_operation_17rocblas_diagonal_iiT3_T4_lilT5_lili,"axG",@progbits,_ZL30rocblas_trsm_small_left_deviceILi16ELi16ELb1EffPKfPfEv13rocblas_fill_18rocblas_operation_17rocblas_diagonal_iiT3_T4_lilT5_lili,comdat
.Lfunc_end19:
	.size	_ZL30rocblas_trsm_small_left_deviceILi16ELi16ELb1EffPKfPfEv13rocblas_fill_18rocblas_operation_17rocblas_diagonal_iiT3_T4_lilT5_lili, .Lfunc_end19-_ZL30rocblas_trsm_small_left_deviceILi16ELi16ELb1EffPKfPfEv13rocblas_fill_18rocblas_operation_17rocblas_diagonal_iiT3_T4_lilT5_lili
                                        ; -- End function
	.set _ZL30rocblas_trsm_small_left_deviceILi16ELi16ELb1EffPKfPfEv13rocblas_fill_18rocblas_operation_17rocblas_diagonal_iiT3_T4_lilT5_lili.num_vgpr, 45
	.set _ZL30rocblas_trsm_small_left_deviceILi16ELi16ELb1EffPKfPfEv13rocblas_fill_18rocblas_operation_17rocblas_diagonal_iiT3_T4_lilT5_lili.num_agpr, 0
	.set _ZL30rocblas_trsm_small_left_deviceILi16ELi16ELb1EffPKfPfEv13rocblas_fill_18rocblas_operation_17rocblas_diagonal_iiT3_T4_lilT5_lili.numbered_sgpr, 48
	.set _ZL30rocblas_trsm_small_left_deviceILi16ELi16ELb1EffPKfPfEv13rocblas_fill_18rocblas_operation_17rocblas_diagonal_iiT3_T4_lilT5_lili.num_named_barrier, 0
	.set _ZL30rocblas_trsm_small_left_deviceILi16ELi16ELb1EffPKfPfEv13rocblas_fill_18rocblas_operation_17rocblas_diagonal_iiT3_T4_lilT5_lili.private_seg_size, 0
	.set _ZL30rocblas_trsm_small_left_deviceILi16ELi16ELb1EffPKfPfEv13rocblas_fill_18rocblas_operation_17rocblas_diagonal_iiT3_T4_lilT5_lili.uses_vcc, 1
	.set _ZL30rocblas_trsm_small_left_deviceILi16ELi16ELb1EffPKfPfEv13rocblas_fill_18rocblas_operation_17rocblas_diagonal_iiT3_T4_lilT5_lili.uses_flat_scratch, 0
	.set _ZL30rocblas_trsm_small_left_deviceILi16ELi16ELb1EffPKfPfEv13rocblas_fill_18rocblas_operation_17rocblas_diagonal_iiT3_T4_lilT5_lili.has_dyn_sized_stack, 0
	.set _ZL30rocblas_trsm_small_left_deviceILi16ELi16ELb1EffPKfPfEv13rocblas_fill_18rocblas_operation_17rocblas_diagonal_iiT3_T4_lilT5_lili.has_recursion, 0
	.set _ZL30rocblas_trsm_small_left_deviceILi16ELi16ELb1EffPKfPfEv13rocblas_fill_18rocblas_operation_17rocblas_diagonal_iiT3_T4_lilT5_lili.has_indirect_call, 0
	.section	.AMDGPU.csdata,"",@progbits
; Kernel info:
; codeLenInByte = 2180
; TotalNumSgprs: 50
; NumVgprs: 45
; ScratchSize: 0
; MemoryBound: 0
; FloatMode: 240
; IeeeMode: 1
; LDSByteSize: 1024 bytes/workgroup (compile time only)
; SGPRBlocks: 0
; VGPRBlocks: 2
; NumSGPRsForWavesPerEU: 50
; NumVGPRsForWavesPerEU: 45
; NamedBarCnt: 0
; Occupancy: 16
; WaveLimiterHint : 0
; COMPUTE_PGM_RSRC2:SCRATCH_EN: 0
; COMPUTE_PGM_RSRC2:USER_SGPR: 2
; COMPUTE_PGM_RSRC2:TRAP_HANDLER: 0
; COMPUTE_PGM_RSRC2:TGID_X_EN: 1
; COMPUTE_PGM_RSRC2:TGID_Y_EN: 0
; COMPUTE_PGM_RSRC2:TGID_Z_EN: 1
; COMPUTE_PGM_RSRC2:TIDIG_COMP_CNT: 0
	.section	.text._ZL31rocblas_trsm_small_right_deviceIffPKfPfLi16EEv13rocblas_fill_18rocblas_operation_17rocblas_diagonal_iiT0_T1_lilT2_lili,"axG",@progbits,_ZL31rocblas_trsm_small_right_deviceIffPKfPfLi16EEv13rocblas_fill_18rocblas_operation_17rocblas_diagonal_iiT0_T1_lilT2_lili,comdat
	.globl	_ZL31rocblas_trsm_small_right_deviceIffPKfPfLi16EEv13rocblas_fill_18rocblas_operation_17rocblas_diagonal_iiT0_T1_lilT2_lili ; -- Begin function _ZL31rocblas_trsm_small_right_deviceIffPKfPfLi16EEv13rocblas_fill_18rocblas_operation_17rocblas_diagonal_iiT0_T1_lilT2_lili
	.p2align	8
	.type	_ZL31rocblas_trsm_small_right_deviceIffPKfPfLi16EEv13rocblas_fill_18rocblas_operation_17rocblas_diagonal_iiT0_T1_lilT2_lili,@function
_ZL31rocblas_trsm_small_right_deviceIffPKfPfLi16EEv13rocblas_fill_18rocblas_operation_17rocblas_diagonal_iiT0_T1_lilT2_lili: ; @_ZL31rocblas_trsm_small_right_deviceIffPKfPfLi16EEv13rocblas_fill_18rocblas_operation_17rocblas_diagonal_iiT0_T1_lilT2_lili
; %bb.0:
	s_load_b32 s19, s[0:1], 0x58
	s_bfe_u32 s2, ttmp6, 0x40014
	s_lshr_b32 s3, ttmp7, 16
	s_add_co_i32 s2, s2, 1
	s_bfe_u32 s5, ttmp6, 0x40008
	s_mul_i32 s2, s3, s2
	s_getreg_b32 s4, hwreg(HW_REG_IB_STS2, 6, 4)
	s_add_co_i32 s5, s5, s2
	s_cmp_eq_u32 s4, 0
	s_cselect_b32 s2, s3, s5
	s_mov_b32 s3, 0
	s_wait_kmcnt 0x0
	s_cmp_ge_u32 s2, s19
	s_cbranch_scc1 .LBB20_98
; %bb.1:
	s_clause 0x6
	s_load_b32 s22, s[0:1], 0x28
	s_load_b96 s[16:18], s[0:1], 0x40
	s_load_b128 s[12:15], s[0:1], 0x0
	s_load_b64 s[20:21], s[0:1], 0x10
	s_load_b32 s5, s[0:1], 0x60
	s_load_b128 s[8:11], s[0:1], 0x18
	s_load_b64 s[38:39], s[0:1], 0x50
	v_dual_lshlrev_b32 v2, 2, v0 :: v_dual_lshlrev_b32 v6, 6, v0
	v_mov_b32_e32 v17, 1.0
	s_delay_alu instid0(VALU_DEP_2) | instskip(NEXT) | instid1(VALU_DEP_3)
	v_or_b32_e32 v15, 0x400, v2
	v_add_nc_u32_e32 v16, v2, v6
	s_wait_kmcnt 0x0
	s_ashr_i32 s23, s22, 31
	s_mov_b32 s24, s18
	s_cmp_eq_u64 s[22:23], 1
	s_cselect_b32 s33, -1, 0
	s_ashr_i32 s25, s18, 31
	s_delay_alu instid0(SALU_CYCLE_1)
	s_cmp_eq_u64 s[24:25], 1
	s_cselect_b32 s36, -1, 0
	s_cmp_lg_u32 s12, 0x7a
	s_cselect_b32 s27, -1, 0
	s_bfe_u32 s6, ttmp6, 0x4000c
	s_min_i32 s18, s20, 16
	s_add_co_i32 s6, s6, 1
	s_and_b32 s7, ttmp6, 15
	s_mul_i32 s6, ttmp9, s6
	s_add_co_i32 s5, s5, -1
	s_add_co_i32 s26, s18, -1
	s_add_co_i32 s7, s7, s6
	s_cmp_eq_u32 s4, 0
	s_mul_i32 s46, s18, 0x44
	s_cselect_b32 s28, ttmp9, s7
	s_delay_alu instid0(SALU_CYCLE_1) | instskip(NEXT) | instid1(SALU_CYCLE_1)
	s_lshl_b32 s4, s28, 4
	s_sub_co_i32 s15, s15, s4
	s_cmp_ge_u32 s28, s5
	s_load_b128 s[4:7], s[0:1], 0x30
	s_cselect_b32 s15, s15, 16
	s_ashr_i32 s29, s28, 31
	v_cmp_gt_i32_e32 vcc_lo, s15, v0
	s_lshl_b64 s[40:41], s[28:29], 6
	s_cmp_eq_u32 s14, 0x84
	s_wait_xcnt 0x0
	s_cselect_b32 s1, -1, 0
	s_cmp_gt_i32 s20, 0
	s_cselect_b32 s0, -1, 0
	s_cmp_lg_u32 s13, 0x6f
	s_cselect_b32 s13, -1, 0
	s_cmp_lg_u32 s12, 0x79
	s_cselect_b32 s12, -1, 0
	s_or_b32 s27, s27, s13
	s_or_b32 s28, s12, s13
	s_cmp_gt_i32 s20, 3
	v_cndmask_b32_e64 v14, 0, 1, s12
	s_cselect_b32 s29, -1, 0
	s_and_b32 s30, vcc_lo, s0
	s_cmp_gt_u32 s18, 1
	s_mov_b32 s12, s21
	s_cselect_b32 s0, -1, 0
	s_and_b32 s31, s18, -2
	s_and_b32 s33, s0, s33
	s_cmp_lg_u32 s18, s31
	v_cmp_gt_i32_e64 s0, s18, v0
	s_cselect_b32 s34, -1, 0
	s_cmp_gt_u32 s20, 1
	s_mov_b32 s13, s21
	s_cselect_b32 s14, -1, 0
	s_and_b32 s35, s20, 0x7ffffffe
	s_and_b32 s36, s14, s36
	s_cmp_lg_u32 s20, s35
	s_cselect_b32 s37, -1, 0
	s_lshl_b64 s[44:45], s[16:17], 2
	s_lshl_b64 s[16:17], s[24:25], 2
	s_lshl_b32 s24, s18, 6
	s_delay_alu instid0(SALU_CYCLE_1)
	v_dual_mov_b32 v3, 0 :: v_dual_bitop2_b32 v7, s24, v2 bitop3:0x54
	s_lshl_b64 s[42:43], s[10:11], 2
	s_lshl_b64 s[14:15], s[38:39], 2
	s_add_nc_u64 s[38:39], s[40:41], s[44:45]
	s_add_nc_u64 s[8:9], s[8:9], s[42:43]
	s_wait_kmcnt 0x0
	s_add_nc_u64 s[6:7], s[6:7], s[38:39]
	v_add_nc_u64_e32 v[0:1], s[8:9], v[2:3]
	v_add_nc_u64_e32 v[4:5], s[6:7], v[2:3]
	v_add_nc_u32_e32 v3, 0x3c0, v7
	s_lshl_b32 s39, s18, 2
	s_lshl_b64 s[4:5], s[4:5], 2
	s_lshl_b64 s[10:11], s[22:23], 2
	s_add_co_i32 s22, s46, 0xffffffb0
	s_sub_co_i32 s23, s24, 64
	s_addk_co_i32 s24, 0xffbc
	s_add_co_i32 s25, s46, 0xfffffefc
	s_add_co_i32 s38, s39, -4
	s_addk_co_i32 s39, 0xffbc
	s_branch .LBB20_3
.LBB20_2:                               ;   in Loop: Header=BB20_3 Depth=1
	s_or_b32 exec_lo, exec_lo, s40
	s_add_co_i32 s2, s2, 0x10000
	s_delay_alu instid0(SALU_CYCLE_1)
	s_cmp_lt_u32 s2, s19
	s_cbranch_scc0 .LBB20_98
.LBB20_3:                               ; =>This Loop Header: Depth=1
                                        ;     Child Loop BB20_6 Depth 2
                                        ;     Child Loop BB20_10 Depth 2
	;; [unrolled: 1-line block ×5, first 2 shown]
                                        ;       Child Loop BB20_27 Depth 3
                                        ;     Child Loop BB20_34 Depth 2
                                        ;       Child Loop BB20_35 Depth 3
                                        ;     Child Loop BB20_39 Depth 2
	;; [unrolled: 2-line block ×3, first 2 shown]
                                        ;     Child Loop BB20_52 Depth 2
                                        ;       Child Loop BB20_53 Depth 3
                                        ;       Child Loop BB20_55 Depth 3
                                        ;     Child Loop BB20_59 Depth 2
                                        ;       Child Loop BB20_60 Depth 3
                                        ;     Child Loop BB20_68 Depth 2
                                        ;     Child Loop BB20_73 Depth 2
                                        ;       Child Loop BB20_74 Depth 3
                                        ;       Child Loop BB20_76 Depth 3
                                        ;     Child Loop BB20_81 Depth 2
                                        ;       Child Loop BB20_82 Depth 3
                                        ;     Child Loop BB20_88 Depth 2
	;; [unrolled: 2-line block ×3, first 2 shown]
                                        ;     Child Loop BB20_97 Depth 2
	s_and_saveexec_b32 s40, s0
	s_cbranch_execz .LBB20_13
; %bb.4:                                ;   in Loop: Header=BB20_3 Depth=1
	s_and_not1_b32 vcc_lo, exec_lo, s33
	s_mul_u64 s[6:7], s[4:5], s[2:3]
	s_cbranch_vccnz .LBB20_8
; %bb.5:                                ;   in Loop: Header=BB20_3 Depth=1
	v_add_nc_u64_e32 v[6:7], s[6:7], v[0:1]
	s_mov_b32 s9, 1
	s_mov_b32 s41, 0
	;; [unrolled: 1-line block ×3, first 2 shown]
.LBB20_6:                               ;   Parent Loop BB20_3 Depth=1
                                        ; =>  This Inner Loop Header: Depth=2
	global_load_b64 v[8:9], v[6:7], off
	s_wait_xcnt 0x0
	v_add_nc_u64_e32 v[6:7], 8, v[6:7]
	v_lshl_or_b32 v10, s41, 6, v2
	v_lshl_or_b32 v11, s9, 6, v2
	s_add_co_i32 s42, s42, -2
	s_add_co_i32 s41, s41, 2
	s_add_co_i32 s9, s9, 2
	s_mov_b32 s8, s31
	s_mov_b32 s43, s34
	s_cmp_lg_u32 s42, 0
	s_wait_loadcnt 0x0
	ds_store_b32 v10, v8
	ds_store_b32 v11, v9
	s_cbranch_scc1 .LBB20_6
; %bb.7:                                ;   in Loop: Header=BB20_3 Depth=1
	s_and_b32 vcc_lo, exec_lo, s43
	s_cbranch_vccnz .LBB20_9
	s_branch .LBB20_11
.LBB20_8:                               ;   in Loop: Header=BB20_3 Depth=1
	s_mov_b32 s8, 0
	s_cbranch_execz .LBB20_11
.LBB20_9:                               ;   in Loop: Header=BB20_3 Depth=1
	s_mov_b32 s9, s3
	v_lshl_or_b32 v8, s8, 6, v2
	s_mul_u64 s[42:43], s[10:11], s[8:9]
	s_delay_alu instid0(SALU_CYCLE_1) | instskip(NEXT) | instid1(SALU_CYCLE_1)
	s_add_nc_u64 s[6:7], s[42:43], s[6:7]
	v_add_nc_u64_e32 v[6:7], s[6:7], v[0:1]
	s_sub_co_i32 s6, s18, s8
.LBB20_10:                              ;   Parent Loop BB20_3 Depth=1
                                        ; =>  This Inner Loop Header: Depth=2
	global_load_b32 v9, v[6:7], off
	s_wait_xcnt 0x0
	v_add_nc_u64_e32 v[6:7], s[10:11], v[6:7]
	s_add_co_i32 s6, s6, -1
	s_delay_alu instid0(SALU_CYCLE_1)
	s_cmp_eq_u32 s6, 0
	s_wait_loadcnt 0x0
	ds_store_b32 v8, v9
	v_add_nc_u32_e32 v8, 64, v8
	s_cbranch_scc0 .LBB20_10
.LBB20_11:                              ;   in Loop: Header=BB20_3 Depth=1
	s_and_b32 vcc_lo, exec_lo, s1
	s_cbranch_vccz .LBB20_13
; %bb.12:                               ;   in Loop: Header=BB20_3 Depth=1
	ds_store_b32 v16, v17
.LBB20_13:                              ;   in Loop: Header=BB20_3 Depth=1
	s_or_b32 exec_lo, exec_lo, s40
	s_mul_u64 s[6:7], s[14:15], s[2:3]
	s_delay_alu instid0(SALU_CYCLE_1)
	v_add_nc_u64_e32 v[6:7], s[6:7], v[4:5]
	s_and_saveexec_b32 s40, s30
	s_cbranch_execz .LBB20_21
; %bb.14:                               ;   in Loop: Header=BB20_3 Depth=1
	s_and_not1_b32 vcc_lo, exec_lo, s36
	s_cbranch_vccnz .LBB20_18
; %bb.15:                               ;   in Loop: Header=BB20_3 Depth=1
	s_delay_alu instid0(VALU_DEP_1)
	v_mov_b64_e32 v[8:9], v[6:7]
	s_mov_b32 s9, 1
	s_mov_b32 s41, 0
	;; [unrolled: 1-line block ×3, first 2 shown]
.LBB20_16:                              ;   Parent Loop BB20_3 Depth=1
                                        ; =>  This Inner Loop Header: Depth=2
	global_load_b64 v[10:11], v[8:9], off
	v_mov_b64_e32 v[12:13], s[12:13]
	s_wait_xcnt 0x0
	v_add_nc_u64_e32 v[8:9], 8, v[8:9]
	v_lshl_add_u32 v18, s41, 6, v15
	v_lshl_add_u32 v19, s9, 6, v15
	s_add_co_i32 s42, s42, -2
	s_add_co_i32 s41, s41, 2
	s_add_co_i32 s9, s9, 2
	s_mov_b32 s8, s35
	s_mov_b32 s43, s37
	s_cmp_lg_u32 s42, 0
	s_wait_loadcnt 0x0
	v_pk_mul_f32 v[10:11], v[12:13], v[10:11]
	ds_store_b32 v18, v10
	ds_store_b32 v19, v11
	s_cbranch_scc1 .LBB20_16
; %bb.17:                               ;   in Loop: Header=BB20_3 Depth=1
	s_and_b32 vcc_lo, exec_lo, s43
	s_cbranch_vccnz .LBB20_19
	s_branch .LBB20_21
.LBB20_18:                              ;   in Loop: Header=BB20_3 Depth=1
	s_mov_b32 s8, 0
	s_cbranch_execz .LBB20_21
.LBB20_19:                              ;   in Loop: Header=BB20_3 Depth=1
	s_mov_b32 s9, s3
	v_lshl_add_u32 v10, s8, 6, v15
	s_mul_u64 s[42:43], s[16:17], s[8:9]
	s_sub_co_i32 s8, s20, s8
	s_add_nc_u64 s[42:43], s[42:43], s[6:7]
	s_delay_alu instid0(SALU_CYCLE_1)
	v_add_nc_u64_e32 v[8:9], s[42:43], v[4:5]
.LBB20_20:                              ;   Parent Loop BB20_3 Depth=1
                                        ; =>  This Inner Loop Header: Depth=2
	global_load_b32 v11, v[8:9], off
	s_wait_xcnt 0x0
	v_add_nc_u64_e32 v[8:9], s[16:17], v[8:9]
	s_add_co_i32 s8, s8, -1
	s_delay_alu instid0(SALU_CYCLE_1)
	s_cmp_lg_u32 s8, 0
	s_wait_loadcnt 0x0
	v_mul_f32_e32 v11, s21, v11
	ds_store_b32 v10, v11
	v_add_nc_u32_e32 v10, 64, v10
	s_cbranch_scc1 .LBB20_20
.LBB20_21:                              ;   in Loop: Header=BB20_3 Depth=1
	s_or_b32 exec_lo, exec_lo, s40
	s_delay_alu instid0(SALU_CYCLE_1)
	s_and_b32 vcc_lo, exec_lo, s28
	s_mov_b32 s8, -1
	s_wait_dscnt 0x0
	; wave barrier
	s_cbranch_vccz .LBB20_78
; %bb.22:                               ;   in Loop: Header=BB20_3 Depth=1
	s_and_b32 vcc_lo, exec_lo, s27
	s_cbranch_vccz .LBB20_57
; %bb.23:                               ;   in Loop: Header=BB20_3 Depth=1
	v_cmp_ne_u32_e32 vcc_lo, 1, v14
	s_cbranch_vccnz .LBB20_37
; %bb.24:                               ;   in Loop: Header=BB20_3 Depth=1
	s_and_not1_b32 vcc_lo, exec_lo, s29
	s_mov_b32 s40, 0
	s_cbranch_vccnz .LBB20_31
; %bb.25:                               ;   in Loop: Header=BB20_3 Depth=1
	s_mov_b32 s8, 0
	s_mov_b32 s9, 0
.LBB20_26:                              ;   Parent Loop BB20_3 Depth=1
                                        ; =>  This Loop Header: Depth=2
                                        ;       Child Loop BB20_27 Depth 3
	s_delay_alu instid0(SALU_CYCLE_1) | instskip(SKIP_2) | instid1(SALU_CYCLE_1)
	s_lshl_b32 s41, s9, 6
	s_or_b32 s40, s9, 1
	s_or_b32 s42, s41, 0xc0
	v_dual_add_nc_u32 v18, s41, v15 :: v_dual_add_nc_u32 v20, s42, v15
	v_lshl_add_u32 v19, s40, 6, v15
	s_cmp_eq_u32 s9, 0
	s_mov_b32 s42, s8
	ds_load_2addr_b32 v[12:13], v18 offset1:32
	ds_load_b32 v11, v19
	ds_load_b32 v9, v20
	v_mov_b32_e32 v21, v15
	s_mov_b32 s43, s9
	s_wait_dscnt 0x2
	v_dual_mov_b32 v10, v12 :: v_dual_mov_b32 v8, v13
	s_cbranch_scc1 .LBB20_29
.LBB20_27:                              ;   Parent Loop BB20_3 Depth=1
                                        ;     Parent Loop BB20_26 Depth=2
                                        ; =>    This Inner Loop Header: Depth=3
	v_mov_b32_e32 v13, s42
	s_add_co_i32 s43, s43, -1
	s_add_co_i32 s42, s42, 64
	s_cmp_eq_u32 s43, 0
	ds_load_b32 v12, v21
	ds_load_b128 v[22:25], v13
	v_add_nc_u32_e32 v21, 64, v21
	s_wait_dscnt 0x0
	v_pk_fma_f32 v[10:11], v[12:13], v[22:23], v[10:11] op_sel_hi:[0,1,1] neg_lo:[1,0,0] neg_hi:[1,0,0]
	v_pk_fma_f32 v[8:9], v[12:13], v[24:25], v[8:9] op_sel_hi:[0,1,1] neg_lo:[1,0,0] neg_hi:[1,0,0]
	s_cbranch_scc0 .LBB20_27
; %bb.28:                               ;   in Loop: Header=BB20_26 Depth=2
	s_delay_alu instid0(VALU_DEP_1)
	v_dual_mov_b32 v13, v8 :: v_dual_mov_b32 v12, v10
.LBB20_29:                              ;   in Loop: Header=BB20_26 Depth=2
	s_lshl_b32 s42, s9, 2
	s_lshl_b32 s40, s40, 2
	s_add_co_i32 s41, s42, s41
	s_delay_alu instid0(SALU_CYCLE_1)
	v_dual_mov_b32 v21, s41 :: v_dual_add_nc_u32 v8, 0x80, v18
	s_addk_co_i32 s41, 0x44
	s_add_co_i32 s8, s8, 16
	s_sub_co_i32 s40, s41, s40
	ds_load_b128 v[22:25], v21
	ds_load_2addr_b32 v[26:27], v21 offset0:17 offset1:18
	s_add_co_i32 s40, s40, s42
	s_wait_dscnt 0x1
	v_div_scale_f32 v10, null, v22, v22, v12
	v_div_scale_f32 v30, vcc_lo, v12, v22, v12
	s_delay_alu instid0(VALU_DEP_2) | instskip(SKIP_1) | instid1(TRANS32_DEP_1)
	v_rcp_f32_e32 v28, v10
	v_nop
	v_fma_f32 v29, -v10, v28, 1.0
	s_delay_alu instid0(VALU_DEP_1) | instskip(NEXT) | instid1(VALU_DEP_1)
	v_fmac_f32_e32 v28, v29, v28
	v_mul_f32_e32 v29, v30, v28
	s_delay_alu instid0(VALU_DEP_1) | instskip(NEXT) | instid1(VALU_DEP_1)
	v_fma_f32 v31, -v10, v29, v30
	v_fmac_f32_e32 v29, v31, v28
	s_delay_alu instid0(VALU_DEP_1) | instskip(NEXT) | instid1(VALU_DEP_1)
	v_fma_f32 v10, -v10, v29, v30
	v_div_fmas_f32 v10, v10, v28, v29
	s_delay_alu instid0(VALU_DEP_1) | instskip(NEXT) | instid1(VALU_DEP_1)
	v_div_fixup_f32 v12, v10, v22, v12
	v_dual_fma_f32 v22, -v12, v23, v11 :: v_dual_fma_f32 v13, -v12, v24, v13
	v_fma_f32 v9, -v12, v25, v9
	s_wait_dscnt 0x0
	s_delay_alu instid0(VALU_DEP_2) | instskip(SKIP_1) | instid1(VALU_DEP_2)
	v_div_scale_f32 v23, null, v26, v26, v22
	v_div_scale_f32 v29, vcc_lo, v22, v26, v22
	v_rcp_f32_e32 v28, v23
	v_nop
	s_delay_alu instid0(TRANS32_DEP_1) | instskip(NEXT) | instid1(VALU_DEP_1)
	v_fma_f32 v10, -v23, v28, 1.0
	v_fmac_f32_e32 v28, v10, v28
	s_delay_alu instid0(VALU_DEP_1) | instskip(NEXT) | instid1(VALU_DEP_1)
	v_mul_f32_e32 v30, v29, v28
	v_fma_f32 v10, -v23, v30, v29
	s_delay_alu instid0(VALU_DEP_1) | instskip(SKIP_3) | instid1(VALU_DEP_1)
	v_fmac_f32_e32 v30, v10, v28
	ds_load_b64 v[10:11], v21 offset:136
	ds_load_b32 v21, v21 offset:204
	v_fma_f32 v23, -v23, v30, v29
	v_div_fmas_f32 v23, v23, v28, v30
	s_delay_alu instid0(VALU_DEP_1) | instskip(NEXT) | instid1(VALU_DEP_1)
	v_div_fixup_f32 v22, v23, v26, v22
	v_fma_f32 v13, -v22, v27, v13
	s_wait_dscnt 0x1
	s_delay_alu instid0(VALU_DEP_1) | instskip(SKIP_1) | instid1(VALU_DEP_2)
	v_div_scale_f32 v23, null, v10, v10, v13
	v_div_scale_f32 v27, vcc_lo, v13, v10, v13
	v_rcp_f32_e32 v24, v23
	v_nop
	s_delay_alu instid0(TRANS32_DEP_1) | instskip(NEXT) | instid1(VALU_DEP_1)
	v_fma_f32 v26, -v23, v24, 1.0
	v_dual_fmac_f32 v24, v26, v24 :: v_dual_mov_b32 v26, s40
	s_add_co_i32 s40, s9, 4
	s_add_co_i32 s9, s9, 7
	s_delay_alu instid0(VALU_DEP_1) | instskip(SKIP_3) | instid1(VALU_DEP_1)
	v_mul_f32_e32 v28, v27, v24
	ds_load_b32 v26, v26 offset:12
	s_cmp_ge_i32 s9, s18
	v_fma_f32 v29, -v23, v28, v27
	v_fmac_f32_e32 v28, v29, v24
	s_delay_alu instid0(VALU_DEP_1) | instskip(NEXT) | instid1(VALU_DEP_1)
	v_fma_f32 v23, -v23, v28, v27
	v_div_fmas_f32 v23, v23, v24, v28
	s_wait_dscnt 0x0
	v_fma_f32 v9, -v22, v26, v9
	s_delay_alu instid0(VALU_DEP_2) | instskip(NEXT) | instid1(VALU_DEP_1)
	v_div_fixup_f32 v10, v23, v10, v13
	v_fma_f32 v9, -v10, v11, v9
	s_delay_alu instid0(VALU_DEP_1) | instskip(SKIP_1) | instid1(VALU_DEP_2)
	v_div_scale_f32 v11, null, v21, v21, v9
	v_div_scale_f32 v24, vcc_lo, v9, v21, v9
	v_rcp_f32_e32 v13, v11
	v_nop
	s_delay_alu instid0(TRANS32_DEP_1) | instskip(NEXT) | instid1(VALU_DEP_1)
	v_fma_f32 v23, -v11, v13, 1.0
	v_fmac_f32_e32 v13, v23, v13
	s_delay_alu instid0(VALU_DEP_1) | instskip(NEXT) | instid1(VALU_DEP_1)
	v_mul_f32_e32 v23, v24, v13
	v_fma_f32 v25, -v11, v23, v24
	s_delay_alu instid0(VALU_DEP_1) | instskip(NEXT) | instid1(VALU_DEP_1)
	v_fmac_f32_e32 v23, v25, v13
	v_fma_f32 v11, -v11, v23, v24
	s_delay_alu instid0(VALU_DEP_1) | instskip(NEXT) | instid1(VALU_DEP_1)
	v_div_fmas_f32 v11, v11, v13, v23
	v_div_fixup_f32 v9, v11, v21, v9
	ds_store_b32 v18, v12
	ds_store_b32 v19, v22
	;; [unrolled: 1-line block ×4, first 2 shown]
	s_cbranch_scc1 .LBB20_31
; %bb.30:                               ;   in Loop: Header=BB20_26 Depth=2
	s_mov_b32 s9, s40
	s_branch .LBB20_26
.LBB20_31:                              ;   in Loop: Header=BB20_3 Depth=1
	s_cmp_ge_i32 s40, s18
	s_cbranch_scc1 .LBB20_36
; %bb.32:                               ;   in Loop: Header=BB20_3 Depth=1
	s_lshl_b32 s8, s40, 2
	s_branch .LBB20_34
.LBB20_33:                              ;   in Loop: Header=BB20_34 Depth=2
	s_lshl_b32 s41, s40, 2
	s_add_co_i32 s40, s40, 1
	s_add_co_i32 s9, s41, s9
	;; [unrolled: 1-line block ×3, first 2 shown]
	v_mov_b32_e32 v10, s9
	s_cmp_ge_i32 s40, s18
	ds_load_b32 v10, v10
	s_wait_dscnt 0x0
	v_div_scale_f32 v11, null, v10, v10, v9
	s_delay_alu instid0(VALU_DEP_1) | instskip(SKIP_1) | instid1(TRANS32_DEP_1)
	v_rcp_f32_e32 v12, v11
	v_nop
	v_fma_f32 v13, -v11, v12, 1.0
	s_delay_alu instid0(VALU_DEP_1) | instskip(SKIP_1) | instid1(VALU_DEP_1)
	v_fmac_f32_e32 v12, v13, v12
	v_div_scale_f32 v13, vcc_lo, v9, v10, v9
	v_mul_f32_e32 v18, v13, v12
	s_delay_alu instid0(VALU_DEP_1) | instskip(NEXT) | instid1(VALU_DEP_1)
	v_fma_f32 v19, -v11, v18, v13
	v_fmac_f32_e32 v18, v19, v12
	s_delay_alu instid0(VALU_DEP_1) | instskip(NEXT) | instid1(VALU_DEP_1)
	v_fma_f32 v11, -v11, v18, v13
	v_div_fmas_f32 v11, v11, v12, v18
	s_delay_alu instid0(VALU_DEP_1)
	v_div_fixup_f32 v9, v11, v10, v9
	ds_store_b32 v8, v9
	s_cbranch_scc1 .LBB20_36
.LBB20_34:                              ;   Parent Loop BB20_3 Depth=1
                                        ; =>  This Loop Header: Depth=2
                                        ;       Child Loop BB20_35 Depth 3
	s_lshl_b32 s9, s40, 6
	s_cmp_eq_u32 s40, 0
	v_dual_add_nc_u32 v8, s9, v15 :: v_dual_mov_b32 v10, v15
	s_mov_b32 s41, s8
	s_mov_b32 s42, s40
	ds_load_b32 v9, v8
	s_cbranch_scc1 .LBB20_33
.LBB20_35:                              ;   Parent Loop BB20_3 Depth=1
                                        ;     Parent Loop BB20_34 Depth=2
                                        ; =>    This Inner Loop Header: Depth=3
	v_mov_b32_e32 v11, s41
	s_add_co_i32 s42, s42, -1
	s_add_co_i32 s41, s41, 64
	s_cmp_eq_u32 s42, 0
	ds_load_b32 v12, v10
	ds_load_b32 v11, v11
	s_wait_dscnt 0x0
	v_dual_add_nc_u32 v10, 64, v10 :: v_dual_fma_f32 v9, -v12, v11, v9
	s_cbranch_scc0 .LBB20_35
	s_branch .LBB20_33
.LBB20_36:                              ;   in Loop: Header=BB20_3 Depth=1
	s_mov_b32 s8, 0
.LBB20_37:                              ;   in Loop: Header=BB20_3 Depth=1
	s_delay_alu instid0(SALU_CYCLE_1)
	s_and_b32 vcc_lo, exec_lo, s8
	s_cbranch_vccz .LBB20_56
; %bb.38:                               ;   in Loop: Header=BB20_3 Depth=1
	s_mov_b32 s40, s26
	s_and_not1_b32 vcc_lo, exec_lo, s29
	s_mov_b32 s8, s22
	s_mov_b32 s9, s26
	s_cbranch_vccnz .LBB20_43
.LBB20_39:                              ;   Parent Loop BB20_3 Depth=1
                                        ; =>  This Loop Header: Depth=2
                                        ;       Child Loop BB20_40 Depth 3
	s_add_co_i32 s42, s9, -1
	s_add_co_i32 s43, s9, -3
	v_lshl_add_u32 v12, s9, 6, v15
	s_add_co_i32 s41, s9, -2
	v_lshl_add_u32 v13, s42, 6, v15
	s_lshl_b32 s40, s43, 6
	v_lshl_add_u32 v18, s41, 6, v15
	v_dual_mov_b32 v20, v3 :: v_dual_add_nc_u32 v19, s40, v15
	ds_load_b32 v11, v12
	ds_load_b32 v10, v13
	ds_load_b32 v9, v18
	ds_load_b32 v8, v19
	s_cmp_le_i32 s26, s9
	s_mov_b32 s44, s8
	s_mov_b32 s45, s26
	s_cbranch_scc1 .LBB20_41
.LBB20_40:                              ;   Parent Loop BB20_3 Depth=1
                                        ;     Parent Loop BB20_39 Depth=2
                                        ; =>    This Inner Loop Header: Depth=3
	v_mov_b32_e32 v21, s44
	s_add_co_i32 s45, s45, -1
	s_sub_co_i32 s44, s44, 64
	s_cmp_le_i32 s45, s9
	ds_load_b32 v22, v20
	ds_load_2addr_b32 v[24:25], v21 offset0:2 offset1:3
	ds_load_2addr_b32 v[26:27], v21 offset1:1
	v_subrev_nc_u32_e32 v20, 64, v20
	s_wait_dscnt 0x1
	v_pk_fma_f32 v[10:11], v[22:23], v[24:25], v[10:11] op_sel_hi:[0,1,1] neg_lo:[1,0,0] neg_hi:[1,0,0]
	s_wait_dscnt 0x0
	v_pk_fma_f32 v[8:9], v[22:23], v[26:27], v[8:9] op_sel_hi:[0,1,1] neg_lo:[1,0,0] neg_hi:[1,0,0]
	s_cbranch_scc0 .LBB20_40
.LBB20_41:                              ;   in Loop: Header=BB20_39 Depth=2
	s_mul_i32 s44, s9, 0x44
	s_lshl_b32 s41, s41, 2
	s_add_co_i32 s45, s44, -4
	s_lshl_b32 s43, s43, 2
	v_mov_b32_e32 v20, s45
	s_lshl_b32 s45, s42, 2
	s_lshl_b32 s42, s42, 6
	s_add_co_i32 s44, s44, -12
	s_add_co_i32 s45, s45, s42
	s_add_co_i32 s42, s43, s42
	v_mov_b32_e32 v22, s45
	ds_load_2addr_b32 v[20:21], v20 offset1:1
	s_sub_co_i32 s41, s45, s41
	v_dual_mov_b32 v23, s44 :: v_dual_mov_b32 v24, s42
	s_add_co_i32 s41, s41, s43
	ds_load_b32 v26, v22
	ds_load_2addr_b32 v[22:23], v23 offset1:1
	ds_load_2addr_b32 v[24:25], v24 offset1:1
	s_addk_co_i32 s41, 0xffbc
	s_add_co_i32 s40, s43, s40
	s_add_co_i32 s8, s8, -16
	s_wait_dscnt 0x3
	v_div_scale_f32 v27, null, v21, v21, v11
	v_div_scale_f32 v30, vcc_lo, v11, v21, v11
	s_delay_alu instid0(VALU_DEP_2) | instskip(SKIP_1) | instid1(TRANS32_DEP_1)
	v_rcp_f32_e32 v28, v27
	v_nop
	v_fma_f32 v29, -v27, v28, 1.0
	s_delay_alu instid0(VALU_DEP_1) | instskip(NEXT) | instid1(VALU_DEP_1)
	v_fmac_f32_e32 v28, v29, v28
	v_mul_f32_e32 v29, v30, v28
	s_delay_alu instid0(VALU_DEP_1) | instskip(NEXT) | instid1(VALU_DEP_1)
	v_fma_f32 v31, -v27, v29, v30
	v_fmac_f32_e32 v29, v31, v28
	s_delay_alu instid0(VALU_DEP_1) | instskip(NEXT) | instid1(VALU_DEP_1)
	v_fma_f32 v27, -v27, v29, v30
	v_div_fmas_f32 v27, v27, v28, v29
	s_delay_alu instid0(VALU_DEP_1) | instskip(NEXT) | instid1(VALU_DEP_1)
	v_div_fixup_f32 v21, v27, v21, v11
	v_dual_mov_b32 v11, s41 :: v_dual_fma_f32 v20, -v21, v20, v10
	s_wait_dscnt 0x1
	v_dual_fma_f32 v8, -v21, v22, v8 :: v_dual_fma_f32 v9, -v21, v23, v9
	v_mov_b32_e32 v23, s40
	s_add_co_i32 s40, s9, -4
	v_div_scale_f32 v27, null, v26, v26, v20
	v_div_scale_f32 v29, vcc_lo, v20, v26, v20
	s_cmp_lt_i32 s9, 7
	v_rcp_f32_e32 v28, v27
	ds_load_b32 v23, v23
	v_nop
	v_fma_f32 v10, -v27, v28, 1.0
	s_delay_alu instid0(VALU_DEP_1) | instskip(NEXT) | instid1(VALU_DEP_1)
	v_fmac_f32_e32 v28, v10, v28
	v_mul_f32_e32 v30, v29, v28
	s_delay_alu instid0(VALU_DEP_1) | instskip(NEXT) | instid1(VALU_DEP_1)
	v_fma_f32 v10, -v27, v30, v29
	v_fmac_f32_e32 v30, v10, v28
	ds_load_2addr_b32 v[10:11], v11 offset1:1
	v_fma_f32 v27, -v27, v30, v29
	s_delay_alu instid0(VALU_DEP_1) | instskip(NEXT) | instid1(VALU_DEP_1)
	v_div_fmas_f32 v27, v27, v28, v30
	v_div_fixup_f32 v20, v27, v26, v20
	s_wait_dscnt 0x2
	s_delay_alu instid0(VALU_DEP_1) | instskip(SKIP_1) | instid1(VALU_DEP_1)
	v_dual_fma_f32 v9, -v20, v25, v9 :: v_dual_fma_f32 v8, -v20, v24, v8
	s_wait_dscnt 0x0
	v_div_scale_f32 v25, null, v11, v11, v9
	s_delay_alu instid0(VALU_DEP_1) | instskip(SKIP_1) | instid1(TRANS32_DEP_1)
	v_rcp_f32_e32 v26, v25
	v_nop
	v_fma_f32 v27, -v25, v26, 1.0
	s_delay_alu instid0(VALU_DEP_1) | instskip(SKIP_1) | instid1(VALU_DEP_1)
	v_fmac_f32_e32 v26, v27, v26
	v_div_scale_f32 v28, vcc_lo, v9, v11, v9
	v_mul_f32_e32 v27, v28, v26
	s_delay_alu instid0(VALU_DEP_1) | instskip(NEXT) | instid1(VALU_DEP_1)
	v_fma_f32 v29, -v25, v27, v28
	v_fmac_f32_e32 v27, v29, v26
	s_delay_alu instid0(VALU_DEP_1) | instskip(NEXT) | instid1(VALU_DEP_1)
	v_fma_f32 v25, -v25, v27, v28
	v_div_fmas_f32 v22, v25, v26, v27
	s_delay_alu instid0(VALU_DEP_1) | instskip(NEXT) | instid1(VALU_DEP_1)
	v_div_fixup_f32 v9, v22, v11, v9
	v_fma_f32 v8, -v9, v10, v8
	s_delay_alu instid0(VALU_DEP_1) | instskip(SKIP_1) | instid1(VALU_DEP_2)
	v_div_scale_f32 v10, null, v23, v23, v8
	v_div_scale_f32 v24, vcc_lo, v8, v23, v8
	v_rcp_f32_e32 v11, v10
	v_nop
	s_delay_alu instid0(TRANS32_DEP_1) | instskip(NEXT) | instid1(VALU_DEP_1)
	v_fma_f32 v22, -v10, v11, 1.0
	v_fmac_f32_e32 v11, v22, v11
	s_delay_alu instid0(VALU_DEP_1) | instskip(NEXT) | instid1(VALU_DEP_1)
	v_mul_f32_e32 v22, v24, v11
	v_fma_f32 v25, -v10, v22, v24
	s_delay_alu instid0(VALU_DEP_1) | instskip(NEXT) | instid1(VALU_DEP_1)
	v_fmac_f32_e32 v22, v25, v11
	v_fma_f32 v10, -v10, v22, v24
	s_delay_alu instid0(VALU_DEP_1) | instskip(NEXT) | instid1(VALU_DEP_1)
	v_div_fmas_f32 v10, v10, v11, v22
	v_div_fixup_f32 v8, v10, v23, v8
	ds_store_b32 v12, v21
	ds_store_b32 v13, v20
	;; [unrolled: 1-line block ×4, first 2 shown]
	s_cbranch_scc1 .LBB20_43
; %bb.42:                               ;   in Loop: Header=BB20_39 Depth=2
	s_mov_b32 s9, s40
	s_branch .LBB20_39
.LBB20_43:                              ;   in Loop: Header=BB20_3 Depth=1
	s_cmp_lt_i32 s40, 0
	s_cbranch_scc1 .LBB20_56
; %bb.44:                               ;   in Loop: Header=BB20_3 Depth=1
	s_bitcmp1_b32 s40, 0
	s_cselect_b32 s8, -1, 0
	s_delay_alu instid0(SALU_CYCLE_1)
	s_and_b32 vcc_lo, exec_lo, s8
	s_mov_b32 s8, s40
	s_cbranch_vccnz .LBB20_49
; %bb.45:                               ;   in Loop: Header=BB20_3 Depth=1
	s_lshl_b32 s8, s40, 6
	s_cmp_le_i32 s26, s40
	v_add_nc_u32_e32 v8, s8, v15
	ds_load_b32 v9, v8
	s_cbranch_scc1 .LBB20_48
; %bb.46:                               ;   in Loop: Header=BB20_3 Depth=1
	v_mov_b32_e32 v10, v3
	s_lshl_b32 s9, s40, 2
	s_mov_b32 s41, s26
	s_add_co_i32 s9, s23, s9
.LBB20_47:                              ;   Parent Loop BB20_3 Depth=1
                                        ; =>  This Inner Loop Header: Depth=2
	s_delay_alu instid0(SALU_CYCLE_1)
	v_mov_b32_e32 v11, s9
	s_add_co_i32 s41, s41, -1
	s_sub_co_i32 s9, s9, 64
	s_cmp_gt_i32 s41, s40
	ds_load_b32 v12, v10
	ds_load_b32 v11, v11
	v_subrev_nc_u32_e32 v10, 64, v10
	s_wait_dscnt 0x0
	v_fma_f32 v9, -v12, v11, v9
	s_cbranch_scc1 .LBB20_47
.LBB20_48:                              ;   in Loop: Header=BB20_3 Depth=1
	s_lshl_b32 s9, s40, 2
	s_delay_alu instid0(SALU_CYCLE_1) | instskip(NEXT) | instid1(SALU_CYCLE_1)
	s_add_co_i32 s8, s9, s8
	v_mov_b32_e32 v10, s8
	s_add_co_i32 s8, s40, -1
	ds_load_b32 v10, v10
	s_wait_dscnt 0x0
	v_div_scale_f32 v11, null, v10, v10, v9
	s_delay_alu instid0(VALU_DEP_1) | instskip(SKIP_1) | instid1(TRANS32_DEP_1)
	v_rcp_f32_e32 v12, v11
	v_nop
	v_fma_f32 v13, -v11, v12, 1.0
	s_delay_alu instid0(VALU_DEP_1) | instskip(SKIP_1) | instid1(VALU_DEP_1)
	v_fmac_f32_e32 v12, v13, v12
	v_div_scale_f32 v13, vcc_lo, v9, v10, v9
	v_mul_f32_e32 v18, v13, v12
	s_delay_alu instid0(VALU_DEP_1) | instskip(NEXT) | instid1(VALU_DEP_1)
	v_fma_f32 v19, -v11, v18, v13
	v_fmac_f32_e32 v18, v19, v12
	s_delay_alu instid0(VALU_DEP_1) | instskip(NEXT) | instid1(VALU_DEP_1)
	v_fma_f32 v11, -v11, v18, v13
	v_div_fmas_f32 v11, v11, v12, v18
	s_delay_alu instid0(VALU_DEP_1)
	v_div_fixup_f32 v9, v11, v10, v9
	ds_store_b32 v8, v9
.LBB20_49:                              ;   in Loop: Header=BB20_3 Depth=1
	s_cmp_eq_u32 s40, 0
	s_cbranch_scc1 .LBB20_56
; %bb.50:                               ;   in Loop: Header=BB20_3 Depth=1
	s_lshl_b32 s40, s8, 2
	s_delay_alu instid0(SALU_CYCLE_1)
	s_add_co_i32 s9, s23, s40
	s_add_co_i32 s40, s24, s40
	s_branch .LBB20_52
.LBB20_51:                              ;   in Loop: Header=BB20_52 Depth=2
	s_add_co_i32 s41, s41, s42
	s_add_co_i32 s9, s9, -8
	s_add_co_i32 s41, s41, -4
	;; [unrolled: 1-line block ×3, first 2 shown]
	v_mov_b32_e32 v8, s41
	s_add_co_i32 s41, s8, -2
	s_cmp_lt_i32 s8, 2
	s_mov_b32 s8, s41
	ds_load_b32 v8, v8
	s_wait_dscnt 0x0
	v_div_scale_f32 v10, null, v8, v8, v11
	v_div_scale_f32 v18, vcc_lo, v11, v8, v11
	s_delay_alu instid0(VALU_DEP_2) | instskip(SKIP_1) | instid1(TRANS32_DEP_1)
	v_rcp_f32_e32 v12, v10
	v_nop
	v_fma_f32 v13, -v10, v12, 1.0
	s_delay_alu instid0(VALU_DEP_1) | instskip(NEXT) | instid1(VALU_DEP_1)
	v_fmac_f32_e32 v12, v13, v12
	v_mul_f32_e32 v13, v18, v12
	s_delay_alu instid0(VALU_DEP_1) | instskip(NEXT) | instid1(VALU_DEP_1)
	v_fma_f32 v19, -v10, v13, v18
	v_fmac_f32_e32 v13, v19, v12
	s_delay_alu instid0(VALU_DEP_1) | instskip(NEXT) | instid1(VALU_DEP_1)
	v_fma_f32 v10, -v10, v13, v18
	v_div_fmas_f32 v10, v10, v12, v13
	s_delay_alu instid0(VALU_DEP_1)
	v_div_fixup_f32 v8, v10, v8, v11
	ds_store_b32 v9, v8
	s_cbranch_scc1 .LBB20_56
.LBB20_52:                              ;   Parent Loop BB20_3 Depth=1
                                        ; =>  This Loop Header: Depth=2
                                        ;       Child Loop BB20_53 Depth 3
                                        ;       Child Loop BB20_55 Depth 3
	s_lshl_b32 s42, s8, 6
	s_cmp_le_i32 s26, s8
	v_dual_mov_b32 v9, v3 :: v_dual_add_nc_u32 v8, s42, v15
	s_mov_b32 s41, s9
	s_mov_b32 s43, s26
	ds_load_b32 v10, v8
	s_cbranch_scc1 .LBB20_54
.LBB20_53:                              ;   Parent Loop BB20_3 Depth=1
                                        ;     Parent Loop BB20_52 Depth=2
                                        ; =>    This Inner Loop Header: Depth=3
	v_mov_b32_e32 v11, s41
	s_add_co_i32 s43, s43, -1
	s_sub_co_i32 s41, s41, 64
	s_cmp_le_i32 s43, s8
	ds_load_b32 v12, v9
	ds_load_b32 v11, v11
	v_subrev_nc_u32_e32 v9, 64, v9
	s_wait_dscnt 0x0
	v_fma_f32 v10, -v12, v11, v10
	s_cbranch_scc0 .LBB20_53
.LBB20_54:                              ;   in Loop: Header=BB20_52 Depth=2
	s_lshl_b32 s41, s8, 2
	s_mov_b32 s44, s18
	s_add_co_i32 s43, s41, s42
	s_sub_co_i32 s42, s42, 64
	v_mov_b32_e32 v9, s43
	s_cmp_le_i32 s18, s8
	s_mov_b32 s43, s40
	ds_load_b32 v12, v9
	s_wait_dscnt 0x0
	v_div_scale_f32 v13, null, v12, v12, v10
	s_delay_alu instid0(VALU_DEP_1) | instskip(SKIP_1) | instid1(TRANS32_DEP_1)
	v_rcp_f32_e32 v18, v13
	v_nop
	v_fma_f32 v19, -v13, v18, 1.0
	s_delay_alu instid0(VALU_DEP_1) | instskip(SKIP_1) | instid1(VALU_DEP_1)
	v_fmac_f32_e32 v18, v19, v18
	v_div_scale_f32 v19, vcc_lo, v10, v12, v10
	v_dual_mul_f32 v20, v19, v18 :: v_dual_add_nc_u32 v9, s42, v15
	ds_load_b32 v11, v9
	v_fma_f32 v21, -v13, v20, v19
	s_delay_alu instid0(VALU_DEP_1) | instskip(NEXT) | instid1(VALU_DEP_1)
	v_fmac_f32_e32 v20, v21, v18
	v_fma_f32 v13, -v13, v20, v19
	s_delay_alu instid0(VALU_DEP_1) | instskip(NEXT) | instid1(VALU_DEP_1)
	v_div_fmas_f32 v13, v13, v18, v20
	v_div_fixup_f32 v12, v13, v12, v10
	v_mov_b32_e32 v10, v3
	ds_store_b32 v8, v12
	s_cbranch_scc1 .LBB20_51
.LBB20_55:                              ;   Parent Loop BB20_3 Depth=1
                                        ;     Parent Loop BB20_52 Depth=2
                                        ; =>    This Inner Loop Header: Depth=3
	v_mov_b32_e32 v8, s43
	s_add_co_i32 s44, s44, -1
	s_sub_co_i32 s43, s43, 64
	s_cmp_gt_i32 s44, s8
	ds_load_b32 v12, v10
	ds_load_b32 v8, v8
	v_subrev_nc_u32_e32 v10, 64, v10
	s_wait_dscnt 0x0
	v_fma_f32 v11, -v12, v8, v11
	s_cbranch_scc1 .LBB20_55
	s_branch .LBB20_51
.LBB20_56:                              ;   in Loop: Header=BB20_3 Depth=1
	s_mov_b32 s8, 0
.LBB20_57:                              ;   in Loop: Header=BB20_3 Depth=1
	s_delay_alu instid0(SALU_CYCLE_1)
	s_and_not1_b32 vcc_lo, exec_lo, s8
	s_cbranch_vccnz .LBB20_77
; %bb.58:                               ;   in Loop: Header=BB20_3 Depth=1
	s_mov_b32 s40, s26
	s_and_not1_b32 vcc_lo, exec_lo, s29
	s_mov_b32 s8, s25
	s_mov_b32 s9, s26
	s_cbranch_vccnz .LBB20_64
.LBB20_59:                              ;   Parent Loop BB20_3 Depth=1
                                        ; =>  This Loop Header: Depth=2
                                        ;       Child Loop BB20_60 Depth 3
	s_add_co_i32 s42, s9, -1
	v_lshl_add_u32 v12, s9, 6, v15
	s_add_co_i32 s41, s9, -2
	v_lshl_add_u32 v13, s42, 6, v15
	;; [unrolled: 2-line block ×3, first 2 shown]
	v_lshl_add_u32 v19, s40, 6, v15
	ds_load_b32 v10, v12
	ds_load_b32 v11, v13
	;; [unrolled: 1-line block ×4, first 2 shown]
	v_mov_b32_e32 v20, v3
	s_cmp_le_i32 s26, s9
	s_mov_b32 s43, s8
	s_mov_b32 s44, s26
	s_cbranch_scc1 .LBB20_61
.LBB20_60:                              ;   Parent Loop BB20_3 Depth=1
                                        ;     Parent Loop BB20_59 Depth=2
                                        ; =>    This Inner Loop Header: Depth=3
	v_mov_b32_e32 v21, s43
	s_add_co_i32 s44, s44, -1
	s_add_co_i32 s43, s43, -4
	s_cmp_le_i32 s44, s9
	ds_load_2addr_b32 v[22:23], v21 offset0:32 offset1:48
	ds_load_2addr_b32 v[24:25], v21 offset1:16
	ds_load_b32 v26, v20
	v_subrev_nc_u32_e32 v20, 64, v20
	s_wait_dscnt 0x2
	v_dual_mov_b32 v28, v23 :: v_dual_mov_b32 v29, v22
	s_wait_dscnt 0x1
	v_dual_mov_b32 v22, v25 :: v_dual_mov_b32 v23, v24
	s_wait_dscnt 0x0
	s_delay_alu instid0(VALU_DEP_2) | instskip(NEXT) | instid1(VALU_DEP_2)
	v_pk_fma_f32 v[10:11], v[26:27], v[28:29], v[10:11] op_sel_hi:[0,1,1] neg_lo:[1,0,0] neg_hi:[1,0,0]
	v_pk_fma_f32 v[8:9], v[26:27], v[22:23], v[8:9] op_sel_hi:[0,1,1] neg_lo:[1,0,0] neg_hi:[1,0,0]
	s_cbranch_scc0 .LBB20_60
.LBB20_61:                              ;   in Loop: Header=BB20_59 Depth=2
	s_lshl_b32 s45, s42, 4
	s_lshl_b32 s44, s41, 4
	;; [unrolled: 1-line block ×3, first 2 shown]
; %bb.62:                               ;   in Loop: Header=BB20_59 Depth=2
	s_mul_i32 s46, s9, 0x44
	s_lshl_b32 s45, s45, 2
	v_mov_b32_e32 v20, s46
	s_lshl_b32 s42, s42, 2
	s_lshl_b32 s44, s44, 2
	;; [unrolled: 1-line block ×3, first 2 shown]
	s_add_co_i32 s42, s45, s42
	s_add_co_i32 s45, s44, s46
	s_lshl_b32 s41, s41, 2
	v_mov_b32_e32 v22, s45
	ds_load_b32 v24, v20
	s_add_co_i32 s41, s44, s41
	s_delay_alu instid0(SALU_CYCLE_1)
	v_dual_mov_b32 v20, s42 :: v_dual_mov_b32 v23, s41
	ds_load_2addr_b32 v[20:21], v20 offset1:1
	ds_load_b32 v25, v22
	ds_load_2addr_b32 v[22:23], v23 offset1:1
	s_lshl_b32 s41, s43, 2
	s_lshl_b32 s40, s40, 2
	s_add_co_i32 s42, s41, s46
	s_add_co_i32 s40, s41, s40
	s_add_co_i32 s42, s42, -4
	s_addk_co_i32 s8, 0xff00
	s_wait_dscnt 0x3
	v_div_scale_f32 v26, null, v24, v24, v10
	v_div_scale_f32 v29, vcc_lo, v10, v24, v10
	s_delay_alu instid0(VALU_DEP_2) | instskip(SKIP_1) | instid1(TRANS32_DEP_1)
	v_rcp_f32_e32 v27, v26
	v_nop
	v_fma_f32 v28, -v26, v27, 1.0
	s_delay_alu instid0(VALU_DEP_1) | instskip(NEXT) | instid1(VALU_DEP_1)
	v_fmac_f32_e32 v27, v28, v27
	v_mul_f32_e32 v28, v29, v27
	s_delay_alu instid0(VALU_DEP_1) | instskip(NEXT) | instid1(VALU_DEP_1)
	v_fma_f32 v30, -v26, v28, v29
	v_fmac_f32_e32 v28, v30, v27
	s_delay_alu instid0(VALU_DEP_1) | instskip(NEXT) | instid1(VALU_DEP_1)
	v_fma_f32 v26, -v26, v28, v29
	v_div_fmas_f32 v26, v26, v27, v28
	s_delay_alu instid0(VALU_DEP_1) | instskip(SKIP_1) | instid1(VALU_DEP_1)
	v_div_fixup_f32 v24, v26, v24, v10
	s_wait_dscnt 0x2
	v_fma_f32 v10, -v24, v21, v11
	s_wait_dscnt 0x1
	v_fma_f32 v8, -v24, v25, v8
	s_delay_alu instid0(VALU_DEP_2) | instskip(SKIP_1) | instid1(VALU_DEP_2)
	v_div_scale_f32 v11, null, v20, v20, v10
	v_div_scale_f32 v27, vcc_lo, v10, v20, v10
	v_rcp_f32_e32 v21, v11
	v_nop
	s_delay_alu instid0(TRANS32_DEP_1) | instskip(NEXT) | instid1(VALU_DEP_1)
	v_fma_f32 v26, -v11, v21, 1.0
	v_fmac_f32_e32 v21, v26, v21
	s_delay_alu instid0(VALU_DEP_1) | instskip(NEXT) | instid1(VALU_DEP_1)
	v_mul_f32_e32 v26, v27, v21
	v_fma_f32 v28, -v11, v26, v27
	s_delay_alu instid0(VALU_DEP_1) | instskip(NEXT) | instid1(VALU_DEP_1)
	v_fmac_f32_e32 v26, v28, v21
	v_fma_f32 v11, -v11, v26, v27
	s_delay_alu instid0(VALU_DEP_1) | instskip(NEXT) | instid1(VALU_DEP_1)
	v_div_fmas_f32 v11, v11, v21, v26
	v_div_fixup_f32 v25, v11, v20, v10
	s_wait_dscnt 0x0
	s_delay_alu instid0(VALU_DEP_1) | instskip(NEXT) | instid1(VALU_DEP_1)
	v_fma_f32 v8, -v25, v23, v8
	v_div_scale_f32 v23, null, v22, v22, v8
	v_div_scale_f32 v27, vcc_lo, v8, v22, v8
	s_delay_alu instid0(VALU_DEP_2) | instskip(SKIP_1) | instid1(TRANS32_DEP_1)
	v_rcp_f32_e32 v26, v23
	v_nop
	v_fma_f32 v10, -v23, v26, 1.0
	s_delay_alu instid0(VALU_DEP_1) | instskip(NEXT) | instid1(VALU_DEP_1)
	v_dual_fmac_f32 v26, v10, v26 :: v_dual_mov_b32 v11, s42
	v_mul_f32_e32 v28, v27, v26
	ds_load_2addr_b32 v[10:11], v11 offset1:1
	v_mov_b32_e32 v20, s40
	s_add_co_i32 s40, s9, -4
	s_cmp_lt_i32 s9, 7
	v_fma_f32 v29, -v23, v28, v27
	ds_load_2addr_b32 v[20:21], v20 offset1:1
	s_wait_dscnt 0x1
	v_dual_fmac_f32 v28, v29, v26 :: v_dual_fma_f32 v9, -v24, v11, v9
	s_delay_alu instid0(VALU_DEP_1) | instskip(NEXT) | instid1(VALU_DEP_1)
	v_dual_fma_f32 v23, -v23, v28, v27 :: v_dual_fma_f32 v9, -v25, v10, v9
	v_div_fmas_f32 v11, v23, v26, v28
	s_delay_alu instid0(VALU_DEP_1) | instskip(SKIP_1) | instid1(VALU_DEP_1)
	v_div_fixup_f32 v8, v11, v22, v8
	s_wait_dscnt 0x0
	v_fma_f32 v9, -v8, v21, v9
	s_delay_alu instid0(VALU_DEP_1) | instskip(NEXT) | instid1(VALU_DEP_1)
	v_div_scale_f32 v10, null, v20, v20, v9
	v_rcp_f32_e32 v11, v10
	v_nop
	s_delay_alu instid0(TRANS32_DEP_1) | instskip(NEXT) | instid1(VALU_DEP_1)
	v_fma_f32 v21, -v10, v11, 1.0
	v_fmac_f32_e32 v11, v21, v11
	v_div_scale_f32 v22, vcc_lo, v9, v20, v9
	s_delay_alu instid0(VALU_DEP_1) | instskip(NEXT) | instid1(VALU_DEP_1)
	v_mul_f32_e32 v21, v22, v11
	v_fma_f32 v23, -v10, v21, v22
	s_delay_alu instid0(VALU_DEP_1) | instskip(NEXT) | instid1(VALU_DEP_1)
	v_fmac_f32_e32 v21, v23, v11
	v_fma_f32 v10, -v10, v21, v22
	s_delay_alu instid0(VALU_DEP_1) | instskip(NEXT) | instid1(VALU_DEP_1)
	v_div_fmas_f32 v10, v10, v11, v21
	v_div_fixup_f32 v9, v10, v20, v9
	ds_store_b32 v12, v24
	ds_store_b32 v13, v25
	;; [unrolled: 1-line block ×4, first 2 shown]
	s_cbranch_scc1 .LBB20_64
; %bb.63:                               ;   in Loop: Header=BB20_59 Depth=2
	s_mov_b32 s9, s40
	s_branch .LBB20_59
.LBB20_64:                              ;   in Loop: Header=BB20_3 Depth=1
	s_cmp_lt_i32 s40, 0
	s_cbranch_scc1 .LBB20_77
; %bb.65:                               ;   in Loop: Header=BB20_3 Depth=1
	s_bitcmp1_b32 s40, 0
	s_cselect_b32 s8, -1, 0
	s_delay_alu instid0(SALU_CYCLE_1)
	s_and_b32 vcc_lo, exec_lo, s8
	s_mov_b32 s8, s40
	s_cbranch_vccnz .LBB20_70
; %bb.66:                               ;   in Loop: Header=BB20_3 Depth=1
	v_lshl_add_u32 v8, s40, 6, v15
	s_cmp_le_i32 s26, s40
	ds_load_b32 v9, v8
	s_cbranch_scc1 .LBB20_69
; %bb.67:                               ;   in Loop: Header=BB20_3 Depth=1
	v_mov_b32_e32 v10, v3
	s_lshl_b32 s8, s40, 6
	s_mov_b32 s9, s26
	s_add_co_i32 s8, s38, s8
.LBB20_68:                              ;   Parent Loop BB20_3 Depth=1
                                        ; =>  This Inner Loop Header: Depth=2
	s_delay_alu instid0(SALU_CYCLE_1)
	v_mov_b32_e32 v11, s8
	s_add_co_i32 s9, s9, -1
	s_add_co_i32 s8, s8, -4
	s_cmp_gt_u32 s9, s40
	ds_load_b32 v12, v10
	ds_load_b32 v11, v11
	v_subrev_nc_u32_e32 v10, 64, v10
	s_wait_dscnt 0x0
	v_fma_f32 v9, -v12, v11, v9
	s_cbranch_scc1 .LBB20_68
.LBB20_69:                              ;   in Loop: Header=BB20_3 Depth=1
	s_mul_i32 s8, s40, 0x44
	s_delay_alu instid0(SALU_CYCLE_1) | instskip(SKIP_4) | instid1(VALU_DEP_1)
	v_mov_b32_e32 v10, s8
	s_add_co_i32 s8, s40, -1
	ds_load_b32 v10, v10
	s_wait_dscnt 0x0
	v_div_scale_f32 v11, null, v10, v10, v9
	v_rcp_f32_e32 v12, v11
	v_nop
	s_delay_alu instid0(TRANS32_DEP_1) | instskip(NEXT) | instid1(VALU_DEP_1)
	v_fma_f32 v13, -v11, v12, 1.0
	v_fmac_f32_e32 v12, v13, v12
	v_div_scale_f32 v13, vcc_lo, v9, v10, v9
	s_delay_alu instid0(VALU_DEP_1) | instskip(NEXT) | instid1(VALU_DEP_1)
	v_mul_f32_e32 v18, v13, v12
	v_fma_f32 v19, -v11, v18, v13
	s_delay_alu instid0(VALU_DEP_1) | instskip(NEXT) | instid1(VALU_DEP_1)
	v_fmac_f32_e32 v18, v19, v12
	v_fma_f32 v11, -v11, v18, v13
	s_delay_alu instid0(VALU_DEP_1) | instskip(NEXT) | instid1(VALU_DEP_1)
	v_div_fmas_f32 v11, v11, v12, v18
	v_div_fixup_f32 v9, v11, v10, v9
	ds_store_b32 v8, v9
.LBB20_70:                              ;   in Loop: Header=BB20_3 Depth=1
	s_cmp_eq_u32 s40, 0
	s_cbranch_scc1 .LBB20_77
; %bb.71:                               ;   in Loop: Header=BB20_3 Depth=1
	s_lshl_b32 s40, s8, 6
	s_delay_alu instid0(SALU_CYCLE_1)
	s_add_co_i32 s9, s38, s40
	s_add_co_i32 s40, s39, s40
	s_branch .LBB20_73
.LBB20_72:                              ;   in Loop: Header=BB20_73 Depth=2
	s_addk_co_i32 s42, 0xffbc
	s_add_co_i32 s8, s8, -2
	v_mov_b32_e32 v8, s42
	s_addk_co_i32 s9, 0xff80
	s_addk_co_i32 s40, 0xff80
	s_cmp_eq_u32 s41, 0
	ds_load_b32 v8, v8
	s_wait_dscnt 0x0
	v_div_scale_f32 v10, null, v8, v8, v11
	v_div_scale_f32 v18, vcc_lo, v11, v8, v11
	s_delay_alu instid0(VALU_DEP_2) | instskip(SKIP_1) | instid1(TRANS32_DEP_1)
	v_rcp_f32_e32 v12, v10
	v_nop
	v_fma_f32 v13, -v10, v12, 1.0
	s_delay_alu instid0(VALU_DEP_1) | instskip(NEXT) | instid1(VALU_DEP_1)
	v_fmac_f32_e32 v12, v13, v12
	v_mul_f32_e32 v13, v18, v12
	s_delay_alu instid0(VALU_DEP_1) | instskip(NEXT) | instid1(VALU_DEP_1)
	v_fma_f32 v19, -v10, v13, v18
	v_fmac_f32_e32 v13, v19, v12
	s_delay_alu instid0(VALU_DEP_1) | instskip(NEXT) | instid1(VALU_DEP_1)
	v_fma_f32 v10, -v10, v13, v18
	v_div_fmas_f32 v10, v10, v12, v13
	s_delay_alu instid0(VALU_DEP_1)
	v_div_fixup_f32 v8, v10, v8, v11
	ds_store_b32 v9, v8
	s_cbranch_scc1 .LBB20_77
.LBB20_73:                              ;   Parent Loop BB20_3 Depth=1
                                        ; =>  This Loop Header: Depth=2
                                        ;       Child Loop BB20_74 Depth 3
                                        ;       Child Loop BB20_76 Depth 3
	v_lshl_add_u32 v8, s8, 6, v15
	v_mov_b32_e32 v9, v3
	s_cmp_le_i32 s26, s8
	s_mov_b32 s41, s9
	s_mov_b32 s42, s26
	ds_load_b32 v10, v8
	s_cbranch_scc1 .LBB20_75
.LBB20_74:                              ;   Parent Loop BB20_3 Depth=1
                                        ;     Parent Loop BB20_73 Depth=2
                                        ; =>    This Inner Loop Header: Depth=3
	v_mov_b32_e32 v11, s41
	s_add_co_i32 s42, s42, -1
	s_add_co_i32 s41, s41, -4
	s_cmp_le_u32 s42, s8
	ds_load_b32 v12, v9
	ds_load_b32 v11, v11
	v_subrev_nc_u32_e32 v9, 64, v9
	s_wait_dscnt 0x0
	v_fma_f32 v10, -v12, v11, v10
	s_cbranch_scc0 .LBB20_74
.LBB20_75:                              ;   in Loop: Header=BB20_73 Depth=2
	s_mul_i32 s42, s8, 0x44
	s_add_co_i32 s41, s8, -1
	v_mov_b32_e32 v9, s42
	s_cmp_le_i32 s18, s8
	s_mov_b32 s43, s40
	s_mov_b32 s44, s26
	ds_load_b32 v12, v9
	v_lshl_add_u32 v9, s41, 6, v15
	ds_load_b32 v11, v9
	s_wait_dscnt 0x1
	v_div_scale_f32 v13, null, v12, v12, v10
	s_delay_alu instid0(VALU_DEP_1) | instskip(SKIP_1) | instid1(TRANS32_DEP_1)
	v_rcp_f32_e32 v18, v13
	v_nop
	v_fma_f32 v19, -v13, v18, 1.0
	s_delay_alu instid0(VALU_DEP_1) | instskip(SKIP_1) | instid1(VALU_DEP_1)
	v_fmac_f32_e32 v18, v19, v18
	v_div_scale_f32 v19, vcc_lo, v10, v12, v10
	v_mul_f32_e32 v20, v19, v18
	s_delay_alu instid0(VALU_DEP_1) | instskip(NEXT) | instid1(VALU_DEP_1)
	v_fma_f32 v21, -v13, v20, v19
	v_fmac_f32_e32 v20, v21, v18
	s_delay_alu instid0(VALU_DEP_1) | instskip(NEXT) | instid1(VALU_DEP_1)
	v_fma_f32 v13, -v13, v20, v19
	v_div_fmas_f32 v13, v13, v18, v20
	s_delay_alu instid0(VALU_DEP_1)
	v_div_fixup_f32 v12, v13, v12, v10
	v_mov_b32_e32 v10, v3
	ds_store_b32 v8, v12
	s_cbranch_scc1 .LBB20_72
.LBB20_76:                              ;   Parent Loop BB20_3 Depth=1
                                        ;     Parent Loop BB20_73 Depth=2
                                        ; =>    This Inner Loop Header: Depth=3
	v_mov_b32_e32 v8, s43
	s_add_co_i32 s44, s44, -1
	s_add_co_i32 s43, s43, -4
	s_cmp_gt_u32 s44, s41
	ds_load_b32 v12, v10
	ds_load_b32 v8, v8
	v_subrev_nc_u32_e32 v10, 64, v10
	s_wait_dscnt 0x0
	v_fma_f32 v11, -v12, v8, v11
	s_cbranch_scc1 .LBB20_76
	s_branch .LBB20_72
.LBB20_77:                              ;   in Loop: Header=BB20_3 Depth=1
	s_mov_b32 s8, 0
.LBB20_78:                              ;   in Loop: Header=BB20_3 Depth=1
	s_delay_alu instid0(SALU_CYCLE_1)
	s_and_not1_b32 vcc_lo, exec_lo, s8
	s_cbranch_vccnz .LBB20_90
; %bb.79:                               ;   in Loop: Header=BB20_3 Depth=1
	s_and_not1_b32 vcc_lo, exec_lo, s29
	s_mov_b32 s40, 0
	s_cbranch_vccnz .LBB20_85
; %bb.80:                               ;   in Loop: Header=BB20_3 Depth=1
	s_mov_b32 s8, 0
	s_mov_b32 s9, 0
.LBB20_81:                              ;   Parent Loop BB20_3 Depth=1
                                        ; =>  This Loop Header: Depth=2
                                        ;       Child Loop BB20_82 Depth 3
	s_delay_alu instid0(SALU_CYCLE_1)
	s_or_b32 s41, s9, 1
	v_lshl_add_u32 v12, s9, 6, v15
	s_or_b32 s42, s9, 2
	s_or_b32 s40, s9, 3
	v_lshl_add_u32 v13, s41, 6, v15
	v_lshl_add_u32 v18, s42, 6, v15
	;; [unrolled: 1-line block ×3, first 2 shown]
	ds_load_b32 v10, v12
	ds_load_b32 v11, v13
	;; [unrolled: 1-line block ×4, first 2 shown]
	v_mov_b32_e32 v20, v15
	s_cmp_eq_u32 s9, 0
	s_mov_b32 s43, s8
	s_mov_b32 s44, s9
	s_cbranch_scc1 .LBB20_83
.LBB20_82:                              ;   Parent Loop BB20_3 Depth=1
                                        ;     Parent Loop BB20_81 Depth=2
                                        ; =>    This Inner Loop Header: Depth=3
	v_mov_b32_e32 v21, s43
	s_add_co_i32 s44, s44, -1
	s_add_co_i32 s43, s43, 4
	s_cmp_eq_u32 s44, 0
	ds_load_b32 v22, v20
	ds_load_2addr_b32 v[24:25], v21 offset1:16
	ds_load_2addr_b32 v[26:27], v21 offset0:32 offset1:48
	v_add_nc_u32_e32 v20, 64, v20
	s_wait_dscnt 0x1
	v_pk_fma_f32 v[10:11], v[22:23], v[24:25], v[10:11] op_sel_hi:[0,1,1] neg_lo:[1,0,0] neg_hi:[1,0,0]
	s_wait_dscnt 0x0
	v_pk_fma_f32 v[8:9], v[22:23], v[26:27], v[8:9] op_sel_hi:[0,1,1] neg_lo:[1,0,0] neg_hi:[1,0,0]
	s_cbranch_scc0 .LBB20_82
.LBB20_83:                              ;   in Loop: Header=BB20_81 Depth=2
	s_lshl_b32 s43, s41, 4
	s_lshl_b32 s41, s42, 4
	s_mul_i32 s42, s9, 0x44
	s_lshl_b32 s41, s41, 2
	v_mov_b32_e32 v20, s42
	s_lshl_b32 s42, s43, 2
	s_lshl_b32 s43, s9, 2
	;; [unrolled: 1-line block ×3, first 2 shown]
	s_add_co_i32 s41, s41, s43
	s_add_co_i32 s42, s42, s43
	v_mov_b32_e32 v22, s41
	ds_load_b32 v25, v20
	s_lshl_b32 s40, s40, 2
	s_addk_co_i32 s8, 0x100
	s_add_co_i32 s40, s40, s43
	s_wait_dscnt 0x0
	v_div_scale_f32 v26, null, v25, v25, v10
	v_div_scale_f32 v29, vcc_lo, v10, v25, v10
	s_delay_alu instid0(VALU_DEP_2) | instskip(SKIP_1) | instid1(TRANS32_DEP_1)
	v_rcp_f32_e32 v27, v26
	v_nop
	v_fma_f32 v28, -v26, v27, 1.0
	s_delay_alu instid0(VALU_DEP_1) | instskip(SKIP_3) | instid1(VALU_DEP_1)
	v_dual_mov_b32 v20, s42 :: v_dual_fmac_f32 v27, v28, v27
	ds_load_b64 v[20:21], v20
	ds_load_b96 v[22:24], v22
	v_mul_f32_e32 v28, v29, v27
	v_fma_f32 v30, -v26, v28, v29
	s_delay_alu instid0(VALU_DEP_1) | instskip(NEXT) | instid1(VALU_DEP_1)
	v_fmac_f32_e32 v28, v30, v27
	v_fma_f32 v26, -v26, v28, v29
	s_delay_alu instid0(VALU_DEP_1) | instskip(NEXT) | instid1(VALU_DEP_1)
	v_div_fmas_f32 v26, v26, v27, v28
	v_div_fixup_f32 v10, v26, v25, v10
	s_wait_dscnt 0x0
	s_delay_alu instid0(VALU_DEP_1) | instskip(NEXT) | instid1(VALU_DEP_1)
	v_dual_fma_f32 v11, -v10, v20, v11 :: v_dual_fma_f32 v8, -v10, v22, v8
	v_div_scale_f32 v20, null, v21, v21, v11
	v_div_scale_f32 v27, vcc_lo, v11, v21, v11
	s_delay_alu instid0(VALU_DEP_2) | instskip(SKIP_1) | instid1(TRANS32_DEP_1)
	v_rcp_f32_e32 v25, v20
	v_nop
	v_fma_f32 v26, -v20, v25, 1.0
	s_delay_alu instid0(VALU_DEP_1) | instskip(NEXT) | instid1(VALU_DEP_1)
	v_fmac_f32_e32 v25, v26, v25
	v_mul_f32_e32 v26, v27, v25
	s_delay_alu instid0(VALU_DEP_1) | instskip(NEXT) | instid1(VALU_DEP_1)
	v_fma_f32 v28, -v20, v26, v27
	v_fmac_f32_e32 v26, v28, v25
	s_delay_alu instid0(VALU_DEP_1) | instskip(NEXT) | instid1(VALU_DEP_1)
	v_fma_f32 v20, -v20, v26, v27
	v_div_fmas_f32 v20, v20, v25, v26
	s_delay_alu instid0(VALU_DEP_1) | instskip(NEXT) | instid1(VALU_DEP_1)
	v_div_fixup_f32 v11, v20, v21, v11
	v_fma_f32 v8, -v11, v23, v8
	s_delay_alu instid0(VALU_DEP_1) | instskip(SKIP_1) | instid1(VALU_DEP_2)
	v_div_scale_f32 v25, null, v24, v24, v8
	v_div_scale_f32 v27, vcc_lo, v8, v24, v8
	v_rcp_f32_e32 v26, v25
	v_nop
	s_delay_alu instid0(TRANS32_DEP_1) | instskip(SKIP_3) | instid1(VALU_DEP_2)
	v_fma_f32 v20, -v25, v26, 1.0
	v_mov_b32_e32 v21, s40
	s_add_co_i32 s40, s9, 4
	s_add_co_i32 s9, s9, 7
	v_fmac_f32_e32 v26, v20, v26
	ds_load_b128 v[20:23], v21
	s_cmp_ge_i32 s9, s18
	s_wait_dscnt 0x0
	v_dual_mul_f32 v28, v27, v26 :: v_dual_fma_f32 v9, -v10, v20, v9
	s_delay_alu instid0(VALU_DEP_1) | instskip(NEXT) | instid1(VALU_DEP_1)
	v_dual_fma_f32 v29, -v25, v28, v27 :: v_dual_fma_f32 v9, -v11, v21, v9
	v_fmac_f32_e32 v28, v29, v26
	s_delay_alu instid0(VALU_DEP_1) | instskip(NEXT) | instid1(VALU_DEP_1)
	v_fma_f32 v25, -v25, v28, v27
	v_div_fmas_f32 v20, v25, v26, v28
	s_delay_alu instid0(VALU_DEP_1) | instskip(NEXT) | instid1(VALU_DEP_1)
	v_div_fixup_f32 v8, v20, v24, v8
	v_fma_f32 v9, -v8, v22, v9
	s_delay_alu instid0(VALU_DEP_1) | instskip(SKIP_1) | instid1(VALU_DEP_2)
	v_div_scale_f32 v20, null, v23, v23, v9
	v_div_scale_f32 v24, vcc_lo, v9, v23, v9
	v_rcp_f32_e32 v21, v20
	v_nop
	s_delay_alu instid0(TRANS32_DEP_1) | instskip(NEXT) | instid1(VALU_DEP_1)
	v_fma_f32 v22, -v20, v21, 1.0
	v_fmac_f32_e32 v21, v22, v21
	s_delay_alu instid0(VALU_DEP_1) | instskip(NEXT) | instid1(VALU_DEP_1)
	v_mul_f32_e32 v22, v24, v21
	v_fma_f32 v25, -v20, v22, v24
	s_delay_alu instid0(VALU_DEP_1) | instskip(NEXT) | instid1(VALU_DEP_1)
	v_fmac_f32_e32 v22, v25, v21
	v_fma_f32 v20, -v20, v22, v24
	s_delay_alu instid0(VALU_DEP_1) | instskip(NEXT) | instid1(VALU_DEP_1)
	v_div_fmas_f32 v20, v20, v21, v22
	v_div_fixup_f32 v9, v20, v23, v9
	ds_store_b32 v12, v10
	ds_store_b32 v13, v11
	;; [unrolled: 1-line block ×4, first 2 shown]
	s_cbranch_scc1 .LBB20_85
; %bb.84:                               ;   in Loop: Header=BB20_81 Depth=2
	s_mov_b32 s9, s40
	s_branch .LBB20_81
.LBB20_85:                              ;   in Loop: Header=BB20_3 Depth=1
	s_cmp_ge_i32 s40, s18
	s_cbranch_scc1 .LBB20_90
; %bb.86:                               ;   in Loop: Header=BB20_3 Depth=1
	s_lshl_b32 s8, s40, 6
	s_branch .LBB20_88
.LBB20_87:                              ;   in Loop: Header=BB20_88 Depth=2
	s_mul_i32 s9, s40, 0x44
	s_add_co_i32 s40, s40, 1
	v_mov_b32_e32 v10, s9
	s_add_co_i32 s8, s8, 64
	s_cmp_ge_i32 s40, s18
	ds_load_b32 v10, v10
	s_wait_dscnt 0x0
	v_div_scale_f32 v11, null, v10, v10, v9
	s_delay_alu instid0(VALU_DEP_1) | instskip(SKIP_1) | instid1(TRANS32_DEP_1)
	v_rcp_f32_e32 v12, v11
	v_nop
	v_fma_f32 v13, -v11, v12, 1.0
	s_delay_alu instid0(VALU_DEP_1) | instskip(SKIP_1) | instid1(VALU_DEP_1)
	v_fmac_f32_e32 v12, v13, v12
	v_div_scale_f32 v13, vcc_lo, v9, v10, v9
	v_mul_f32_e32 v18, v13, v12
	s_delay_alu instid0(VALU_DEP_1) | instskip(NEXT) | instid1(VALU_DEP_1)
	v_fma_f32 v19, -v11, v18, v13
	v_fmac_f32_e32 v18, v19, v12
	s_delay_alu instid0(VALU_DEP_1) | instskip(NEXT) | instid1(VALU_DEP_1)
	v_fma_f32 v11, -v11, v18, v13
	v_div_fmas_f32 v11, v11, v12, v18
	s_delay_alu instid0(VALU_DEP_1)
	v_div_fixup_f32 v9, v11, v10, v9
	ds_store_b32 v8, v9
	s_cbranch_scc1 .LBB20_90
.LBB20_88:                              ;   Parent Loop BB20_3 Depth=1
                                        ; =>  This Loop Header: Depth=2
                                        ;       Child Loop BB20_89 Depth 3
	v_lshl_add_u32 v8, s40, 6, v15
	v_mov_b32_e32 v10, v15
	s_cmp_eq_u32 s40, 0
	s_mov_b32 s9, s8
	s_mov_b32 s41, s40
	ds_load_b32 v9, v8
	s_cbranch_scc1 .LBB20_87
.LBB20_89:                              ;   Parent Loop BB20_3 Depth=1
                                        ;     Parent Loop BB20_88 Depth=2
                                        ; =>    This Inner Loop Header: Depth=3
	v_mov_b32_e32 v11, s9
	s_add_co_i32 s41, s41, -1
	s_add_co_i32 s9, s9, 4
	s_cmp_eq_u32 s41, 0
	ds_load_b32 v12, v10
	ds_load_b32 v11, v11
	s_wait_dscnt 0x0
	v_dual_add_nc_u32 v10, 64, v10 :: v_dual_fma_f32 v9, -v12, v11, v9
	s_cbranch_scc0 .LBB20_89
	s_branch .LBB20_87
.LBB20_90:                              ;   in Loop: Header=BB20_3 Depth=1
	s_and_saveexec_b32 s40, s30
	s_cbranch_execz .LBB20_2
; %bb.91:                               ;   in Loop: Header=BB20_3 Depth=1
	s_and_not1_b32 vcc_lo, exec_lo, s36
	s_cbranch_vccnz .LBB20_95
; %bb.92:                               ;   in Loop: Header=BB20_3 Depth=1
	s_mov_b32 s9, 1
	s_mov_b32 s41, 0
	;; [unrolled: 1-line block ×3, first 2 shown]
.LBB20_93:                              ;   Parent Loop BB20_3 Depth=1
                                        ; =>  This Inner Loop Header: Depth=2
	v_lshl_add_u32 v8, s41, 6, v15
	v_lshl_add_u32 v9, s9, 6, v15
	s_add_co_i32 s42, s42, -2
	s_add_co_i32 s41, s41, 2
	s_add_co_i32 s9, s9, 2
	ds_load_b32 v8, v8
	ds_load_b32 v9, v9
	s_mov_b32 s8, s35
	s_cmp_lg_u32 s42, 0
	s_mov_b32 s43, s37
	s_wait_dscnt 0x0
	global_store_b64 v[6:7], v[8:9], off
	s_wait_xcnt 0x0
	v_add_nc_u64_e32 v[6:7], 8, v[6:7]
	s_cbranch_scc1 .LBB20_93
; %bb.94:                               ;   in Loop: Header=BB20_3 Depth=1
	s_and_b32 vcc_lo, exec_lo, s43
	s_cbranch_vccz .LBB20_2
	s_branch .LBB20_96
.LBB20_95:                              ;   in Loop: Header=BB20_3 Depth=1
	s_mov_b32 s8, 0
	s_cbranch_execz .LBB20_2
.LBB20_96:                              ;   in Loop: Header=BB20_3 Depth=1
	s_mov_b32 s9, s3
	v_lshl_add_u32 v8, s8, 6, v15
	s_mul_u64 s[42:43], s[16:17], s[8:9]
	s_delay_alu instid0(SALU_CYCLE_1) | instskip(NEXT) | instid1(SALU_CYCLE_1)
	s_add_nc_u64 s[6:7], s[42:43], s[6:7]
	v_add_nc_u64_e32 v[6:7], s[6:7], v[4:5]
	s_sub_co_i32 s6, s20, s8
.LBB20_97:                              ;   Parent Loop BB20_3 Depth=1
                                        ; =>  This Inner Loop Header: Depth=2
	ds_load_b32 v9, v8
	v_add_nc_u32_e32 v8, 64, v8
	s_add_co_i32 s6, s6, -1
	s_delay_alu instid0(SALU_CYCLE_1)
	s_cmp_lg_u32 s6, 0
	s_wait_dscnt 0x0
	global_store_b32 v[6:7], v9, off
	s_wait_xcnt 0x0
	v_add_nc_u64_e32 v[6:7], s[16:17], v[6:7]
	s_cbranch_scc1 .LBB20_97
	s_branch .LBB20_2
.LBB20_98:
	s_endpgm
	.section	.rodata,"a",@progbits
	.p2align	6, 0x0
	.amdhsa_kernel _ZL31rocblas_trsm_small_right_deviceIffPKfPfLi16EEv13rocblas_fill_18rocblas_operation_17rocblas_diagonal_iiT0_T1_lilT2_lili
		.amdhsa_group_segment_fixed_size 2048
		.amdhsa_private_segment_fixed_size 0
		.amdhsa_kernarg_size 352
		.amdhsa_user_sgpr_count 2
		.amdhsa_user_sgpr_dispatch_ptr 0
		.amdhsa_user_sgpr_queue_ptr 0
		.amdhsa_user_sgpr_kernarg_segment_ptr 1
		.amdhsa_user_sgpr_dispatch_id 0
		.amdhsa_user_sgpr_kernarg_preload_length 0
		.amdhsa_user_sgpr_kernarg_preload_offset 0
		.amdhsa_user_sgpr_private_segment_size 0
		.amdhsa_wavefront_size32 1
		.amdhsa_uses_dynamic_stack 0
		.amdhsa_enable_private_segment 0
		.amdhsa_system_sgpr_workgroup_id_x 1
		.amdhsa_system_sgpr_workgroup_id_y 0
		.amdhsa_system_sgpr_workgroup_id_z 1
		.amdhsa_system_sgpr_workgroup_info 0
		.amdhsa_system_vgpr_workitem_id 0
		.amdhsa_next_free_vgpr 32
		.amdhsa_next_free_sgpr 47
		.amdhsa_named_barrier_count 0
		.amdhsa_reserve_vcc 1
		.amdhsa_float_round_mode_32 0
		.amdhsa_float_round_mode_16_64 0
		.amdhsa_float_denorm_mode_32 3
		.amdhsa_float_denorm_mode_16_64 3
		.amdhsa_fp16_overflow 0
		.amdhsa_memory_ordered 1
		.amdhsa_forward_progress 1
		.amdhsa_inst_pref_size 52
		.amdhsa_round_robin_scheduling 0
		.amdhsa_exception_fp_ieee_invalid_op 0
		.amdhsa_exception_fp_denorm_src 0
		.amdhsa_exception_fp_ieee_div_zero 0
		.amdhsa_exception_fp_ieee_overflow 0
		.amdhsa_exception_fp_ieee_underflow 0
		.amdhsa_exception_fp_ieee_inexact 0
		.amdhsa_exception_int_div_zero 0
	.end_amdhsa_kernel
	.section	.text._ZL31rocblas_trsm_small_right_deviceIffPKfPfLi16EEv13rocblas_fill_18rocblas_operation_17rocblas_diagonal_iiT0_T1_lilT2_lili,"axG",@progbits,_ZL31rocblas_trsm_small_right_deviceIffPKfPfLi16EEv13rocblas_fill_18rocblas_operation_17rocblas_diagonal_iiT0_T1_lilT2_lili,comdat
.Lfunc_end20:
	.size	_ZL31rocblas_trsm_small_right_deviceIffPKfPfLi16EEv13rocblas_fill_18rocblas_operation_17rocblas_diagonal_iiT0_T1_lilT2_lili, .Lfunc_end20-_ZL31rocblas_trsm_small_right_deviceIffPKfPfLi16EEv13rocblas_fill_18rocblas_operation_17rocblas_diagonal_iiT0_T1_lilT2_lili
                                        ; -- End function
	.set _ZL31rocblas_trsm_small_right_deviceIffPKfPfLi16EEv13rocblas_fill_18rocblas_operation_17rocblas_diagonal_iiT0_T1_lilT2_lili.num_vgpr, 32
	.set _ZL31rocblas_trsm_small_right_deviceIffPKfPfLi16EEv13rocblas_fill_18rocblas_operation_17rocblas_diagonal_iiT0_T1_lilT2_lili.num_agpr, 0
	.set _ZL31rocblas_trsm_small_right_deviceIffPKfPfLi16EEv13rocblas_fill_18rocblas_operation_17rocblas_diagonal_iiT0_T1_lilT2_lili.numbered_sgpr, 47
	.set _ZL31rocblas_trsm_small_right_deviceIffPKfPfLi16EEv13rocblas_fill_18rocblas_operation_17rocblas_diagonal_iiT0_T1_lilT2_lili.num_named_barrier, 0
	.set _ZL31rocblas_trsm_small_right_deviceIffPKfPfLi16EEv13rocblas_fill_18rocblas_operation_17rocblas_diagonal_iiT0_T1_lilT2_lili.private_seg_size, 0
	.set _ZL31rocblas_trsm_small_right_deviceIffPKfPfLi16EEv13rocblas_fill_18rocblas_operation_17rocblas_diagonal_iiT0_T1_lilT2_lili.uses_vcc, 1
	.set _ZL31rocblas_trsm_small_right_deviceIffPKfPfLi16EEv13rocblas_fill_18rocblas_operation_17rocblas_diagonal_iiT0_T1_lilT2_lili.uses_flat_scratch, 0
	.set _ZL31rocblas_trsm_small_right_deviceIffPKfPfLi16EEv13rocblas_fill_18rocblas_operation_17rocblas_diagonal_iiT0_T1_lilT2_lili.has_dyn_sized_stack, 0
	.set _ZL31rocblas_trsm_small_right_deviceIffPKfPfLi16EEv13rocblas_fill_18rocblas_operation_17rocblas_diagonal_iiT0_T1_lilT2_lili.has_recursion, 0
	.set _ZL31rocblas_trsm_small_right_deviceIffPKfPfLi16EEv13rocblas_fill_18rocblas_operation_17rocblas_diagonal_iiT0_T1_lilT2_lili.has_indirect_call, 0
	.section	.AMDGPU.csdata,"",@progbits
; Kernel info:
; codeLenInByte = 6636
; TotalNumSgprs: 49
; NumVgprs: 32
; ScratchSize: 0
; MemoryBound: 0
; FloatMode: 240
; IeeeMode: 1
; LDSByteSize: 2048 bytes/workgroup (compile time only)
; SGPRBlocks: 0
; VGPRBlocks: 1
; NumSGPRsForWavesPerEU: 49
; NumVGPRsForWavesPerEU: 32
; NamedBarCnt: 0
; Occupancy: 16
; WaveLimiterHint : 0
; COMPUTE_PGM_RSRC2:SCRATCH_EN: 0
; COMPUTE_PGM_RSRC2:USER_SGPR: 2
; COMPUTE_PGM_RSRC2:TRAP_HANDLER: 0
; COMPUTE_PGM_RSRC2:TGID_X_EN: 1
; COMPUTE_PGM_RSRC2:TGID_Y_EN: 0
; COMPUTE_PGM_RSRC2:TGID_Z_EN: 1
; COMPUTE_PGM_RSRC2:TIDIG_COMP_CNT: 0
	.section	.text._ZL38rocblas_trsm_small_left_device_sharedBILi20ELi20ELb0EffPKfPfEv13rocblas_fill_18rocblas_operation_17rocblas_diagonal_iiT3_T4_lilT5_lili,"axG",@progbits,_ZL38rocblas_trsm_small_left_device_sharedBILi20ELi20ELb0EffPKfPfEv13rocblas_fill_18rocblas_operation_17rocblas_diagonal_iiT3_T4_lilT5_lili,comdat
	.globl	_ZL38rocblas_trsm_small_left_device_sharedBILi20ELi20ELb0EffPKfPfEv13rocblas_fill_18rocblas_operation_17rocblas_diagonal_iiT3_T4_lilT5_lili ; -- Begin function _ZL38rocblas_trsm_small_left_device_sharedBILi20ELi20ELb0EffPKfPfEv13rocblas_fill_18rocblas_operation_17rocblas_diagonal_iiT3_T4_lilT5_lili
	.p2align	8
	.type	_ZL38rocblas_trsm_small_left_device_sharedBILi20ELi20ELb0EffPKfPfEv13rocblas_fill_18rocblas_operation_17rocblas_diagonal_iiT3_T4_lilT5_lili,@function
_ZL38rocblas_trsm_small_left_device_sharedBILi20ELi20ELb0EffPKfPfEv13rocblas_fill_18rocblas_operation_17rocblas_diagonal_iiT3_T4_lilT5_lili: ; @_ZL38rocblas_trsm_small_left_device_sharedBILi20ELi20ELb0EffPKfPfEv13rocblas_fill_18rocblas_operation_17rocblas_diagonal_iiT3_T4_lilT5_lili
; %bb.0:
	s_load_b32 s19, s[0:1], 0x58
	s_bfe_u32 s2, ttmp6, 0x40014
	s_lshr_b32 s3, ttmp7, 16
	s_add_co_i32 s2, s2, 1
	s_bfe_u32 s5, ttmp6, 0x40008
	s_mul_i32 s2, s3, s2
	s_getreg_b32 s4, hwreg(HW_REG_IB_STS2, 6, 4)
	s_add_co_i32 s5, s5, s2
	s_cmp_eq_u32 s4, 0
	s_cselect_b32 s2, s3, s5
	s_mov_b32 s3, 0
	s_wait_kmcnt 0x0
	s_cmp_ge_u32 s2, s19
	s_cbranch_scc1 .LBB21_72
; %bb.1:
	s_clause 0x4
	s_load_b32 s22, s[0:1], 0x28
	s_load_b96 s[16:18], s[0:1], 0x40
	s_load_b128 s[8:11], s[0:1], 0x4
	s_load_b32 s5, s[0:1], 0x60
	s_load_b32 s20, s[0:1], 0x14
	v_dual_mov_b32 v67, 0 :: v_dual_lshlrev_b32 v66, 2, v0
	v_mul_u32_u24_e32 v22, 0x50, v0
	s_load_b64 s[36:37], s[0:1], 0x50
	s_delay_alu instid0(VALU_DEP_2)
	v_dual_mov_b32 v3, v67 :: v_dual_add_nc_u32 v72, 0x640, v66
	v_dual_mov_b32 v2, v67 :: v_dual_mov_b32 v4, v67
	v_dual_mov_b32 v5, v67 :: v_dual_mov_b32 v6, v67
	;; [unrolled: 1-line block ×4, first 2 shown]
	s_wait_kmcnt 0x0
	s_ashr_i32 s23, s22, 31
	v_dual_mov_b32 v11, v67 :: v_dual_mov_b32 v12, v67
	s_cmp_eq_u64 s[22:23], 1
	v_dual_mov_b32 v13, v67 :: v_dual_mov_b32 v14, v67
	s_cselect_b32 s21, -1, 0
	s_bfe_u32 s6, ttmp6, 0x4000c
	s_min_i32 s24, s10, 20
	s_add_co_i32 s6, s6, 1
	s_add_co_i32 s12, s5, -1
	s_and_b32 s5, ttmp6, 15
	s_mul_i32 s6, ttmp9, s6
	s_ashr_i32 s38, s18, 31
	s_add_co_i32 s25, s24, -1
	s_add_co_i32 s5, s5, s6
	s_cmp_eq_u32 s4, 0
	v_dual_mov_b32 v15, v67 :: v_dual_mov_b32 v16, v67
	s_cselect_b32 s13, ttmp9, s5
	s_load_b128 s[4:7], s[0:1], 0x18
	s_mul_i32 s14, s13, 0xffffffec
	s_mul_i32 s34, s13, 20
	s_add_co_i32 s11, s11, s14
	s_cmp_ge_u32 s13, s12
	s_load_b128 s[12:15], s[0:1], 0x30
	s_cselect_b32 s11, s11, 20
	s_ashr_i32 s35, s34, 31
	s_cmp_lg_u32 s9, 0x84
	v_cmp_gt_i32_e32 vcc_lo, s11, v0
	s_cselect_b32 s26, -1, 0
	s_cmp_gt_i32 s10, 0
	v_lshl_add_u64 v[18:19], s[34:35], 2, v[66:67]
	s_cselect_b32 s9, -1, 0
	s_cmp_lg_u32 s8, 0x6f
	v_mov_b32_e32 v21, v67
	s_wait_xcnt 0x0
	s_cselect_b32 s1, -1, 0
	s_and_b32 s27, vcc_lo, s9
	s_cmp_gt_u32 s24, 1
	v_mov_b32_e32 v20, v67
	s_cselect_b32 s0, -1, 0
	s_and_b32 s28, s24, -2
	s_and_b32 s29, s0, s21
	s_cmp_lg_u32 s24, s28
	v_cmp_gt_i32_e64 s0, s24, v0
	s_cselect_b32 s30, -1, 0
	s_cmp_gt_i32 s10, 1
	s_mov_b32 s21, s20
	s_cselect_b32 s31, -1, 0
	s_and_b32 s33, s24, 30
	s_delay_alu instid0(SALU_CYCLE_1)
	s_cmp_lg_u32 s24, s33
	s_cselect_b32 s34, -1, 0
	s_lshl_b64 s[8:9], s[16:17], 2
	s_lshl_b64 s[10:11], s[36:37], 2
	s_wait_kmcnt 0x0
	s_add_nc_u64 s[8:9], s[14:15], s[8:9]
	s_delay_alu instid0(SALU_CYCLE_1)
	v_mad_nc_u64_u32 v[68:69], v18, s18, s[8:9]
	s_lshl_b64 s[8:9], s[6:7], 2
	s_lshl_b64 s[6:7], s[12:13], 2
	s_add_nc_u64 s[8:9], s[4:5], s[8:9]
	s_lshl_b64 s[4:5], s[22:23], 2
	v_add_nc_u64_e32 v[0:1], s[8:9], v[66:67]
	s_get_pc_i64 s[8:9]
	s_add_nc_u64 s[8:9], s[8:9], __const._ZL38rocblas_trsm_small_left_device_sharedBILi20ELi20ELb0EffPKfPfEv13rocblas_fill_18rocblas_operation_17rocblas_diagonal_iiT3_T4_lilT5_lili.step_sizes@rel64+4
	s_delay_alu instid0(VALU_DEP_2) | instskip(SKIP_2) | instid1(SALU_CYCLE_1)
	v_mad_u32 v17, v19, s18, v69
	v_mov_b32_e32 v19, v67
	s_mul_i32 s18, s24, 0x50
	s_addk_co_i32 s18, 0xffb0
	s_delay_alu instid0(VALU_DEP_2)
	v_mad_u32 v69, v18, s38, v17
	v_dual_mov_b32 v17, v67 :: v_dual_mov_b32 v18, v67
	v_add_nc_u32_e32 v67, v66, v22
	s_branch .LBB21_3
.LBB21_2:                               ;   in Loop: Header=BB21_3 Depth=1
	s_or_b32 exec_lo, exec_lo, s14
	s_add_co_i32 s2, s2, 0x10000
	s_delay_alu instid0(SALU_CYCLE_1)
	s_cmp_lt_u32 s2, s19
	s_cbranch_scc0 .LBB21_72
.LBB21_3:                               ; =>This Loop Header: Depth=1
                                        ;     Child Loop BB21_6 Depth 2
                                        ;     Child Loop BB21_10 Depth 2
	;; [unrolled: 1-line block ×5, first 2 shown]
                                        ;       Child Loop BB21_27 Depth 3
                                        ;         Child Loop BB21_28 Depth 4
                                        ;         Child Loop BB21_31 Depth 4
                                        ;           Child Loop BB21_32 Depth 5
                                        ;         Child Loop BB21_37 Depth 4
                                        ;           Child Loop BB21_39 Depth 5
                                        ;     Child Loop BB21_48 Depth 2
                                        ;       Child Loop BB21_49 Depth 3
                                        ;       Child Loop BB21_51 Depth 3
                                        ;         Child Loop BB21_52 Depth 4
                                        ;       Child Loop BB21_57 Depth 3
                                        ;         Child Loop BB21_59 Depth 4
                                        ;     Child Loop BB21_61 Depth 2
                                        ;     Child Loop BB21_67 Depth 2
	;; [unrolled: 1-line block ×3, first 2 shown]
	s_and_saveexec_b32 s16, s0
	s_cbranch_execz .LBB21_14
; %bb.4:                                ;   in Loop: Header=BB21_3 Depth=1
	s_and_not1_b32 vcc_lo, exec_lo, s29
	s_mul_u64 s[12:13], s[6:7], s[2:3]
	s_cbranch_vccnz .LBB21_8
; %bb.5:                                ;   in Loop: Header=BB21_3 Depth=1
	v_add_nc_u64_e32 v[34:35], s[12:13], v[0:1]
	s_mov_b32 s15, 1
	s_mov_b32 s17, 0
	;; [unrolled: 1-line block ×3, first 2 shown]
.LBB21_6:                               ;   Parent Loop BB21_3 Depth=1
                                        ; =>  This Inner Loop Header: Depth=2
	global_load_b64 v[36:37], v[34:35], off
	v_mad_u32 v38, 0x50, s17, v66
	v_mad_u32 v39, 0x50, s15, v66
	s_wait_xcnt 0x0
	v_add_nc_u64_e32 v[34:35], 8, v[34:35]
	s_add_co_i32 s22, s22, -2
	s_add_co_i32 s17, s17, 2
	s_add_co_i32 s15, s15, 2
	s_mov_b32 s14, s28
	s_mov_b32 s23, s30
	s_cmp_lg_u32 s22, 0
	s_wait_loadcnt 0x0
	ds_store_b32 v38, v36
	ds_store_b32 v39, v37
	s_cbranch_scc1 .LBB21_6
; %bb.7:                                ;   in Loop: Header=BB21_3 Depth=1
	s_and_b32 vcc_lo, exec_lo, s23
	s_cbranch_vccnz .LBB21_9
	s_branch .LBB21_11
.LBB21_8:                               ;   in Loop: Header=BB21_3 Depth=1
	s_wait_xcnt 0x0
	s_mov_b32 s14, 0
	s_cbranch_execz .LBB21_11
.LBB21_9:                               ;   in Loop: Header=BB21_3 Depth=1
	s_mov_b32 s15, s3
	v_mad_u32 v36, 0x50, s14, v66
	s_mul_u64 s[22:23], s[4:5], s[14:15]
	s_delay_alu instid0(SALU_CYCLE_1) | instskip(NEXT) | instid1(SALU_CYCLE_1)
	s_add_nc_u64 s[12:13], s[22:23], s[12:13]
	v_add_nc_u64_e32 v[34:35], s[12:13], v[0:1]
	s_sub_co_i32 s12, s24, s14
.LBB21_10:                              ;   Parent Loop BB21_3 Depth=1
                                        ; =>  This Inner Loop Header: Depth=2
	global_load_b32 v37, v[34:35], off
	s_wait_xcnt 0x0
	v_add_nc_u64_e32 v[34:35], s[4:5], v[34:35]
	s_add_co_i32 s12, s12, -1
	s_delay_alu instid0(SALU_CYCLE_1)
	s_cmp_eq_u32 s12, 0
	s_wait_loadcnt 0x0
	ds_store_b32 v36, v37
	v_add_nc_u32_e32 v36, 0x50, v36
	s_cbranch_scc0 .LBB21_10
.LBB21_11:                              ;   in Loop: Header=BB21_3 Depth=1
	v_mov_b32_e32 v34, 1.0
	s_and_b32 vcc_lo, exec_lo, s26
	s_cbranch_vccz .LBB21_13
; %bb.12:                               ;   in Loop: Header=BB21_3 Depth=1
	ds_load_b32 v34, v67
	s_wait_dscnt 0x0
	v_div_scale_f32 v35, null, v34, v34, 1.0
	s_delay_alu instid0(VALU_DEP_1) | instskip(SKIP_1) | instid1(TRANS32_DEP_1)
	v_rcp_f32_e32 v36, v35
	v_nop
	v_fma_f32 v37, -v35, v36, 1.0
	s_delay_alu instid0(VALU_DEP_1) | instskip(SKIP_1) | instid1(VALU_DEP_1)
	v_fmac_f32_e32 v36, v37, v36
	v_div_scale_f32 v37, vcc_lo, 1.0, v34, 1.0
	v_mul_f32_e32 v38, v37, v36
	s_delay_alu instid0(VALU_DEP_1) | instskip(NEXT) | instid1(VALU_DEP_1)
	v_fma_f32 v39, -v35, v38, v37
	v_fmac_f32_e32 v38, v39, v36
	s_delay_alu instid0(VALU_DEP_1) | instskip(NEXT) | instid1(VALU_DEP_1)
	v_fma_f32 v35, -v35, v38, v37
	v_div_fmas_f32 v35, v35, v36, v38
	s_delay_alu instid0(VALU_DEP_1)
	v_div_fixup_f32 v34, v35, v34, 1.0
.LBB21_13:                              ;   in Loop: Header=BB21_3 Depth=1
	ds_store_b32 v67, v34
.LBB21_14:                              ;   in Loop: Header=BB21_3 Depth=1
	s_or_b32 exec_lo, exec_lo, s16
	s_mul_u64 s[12:13], s[10:11], s[2:3]
	s_delay_alu instid0(VALU_DEP_3) | instid1(SALU_CYCLE_1)
	v_add_nc_u64_e32 v[70:71], s[12:13], v[68:69]
	s_and_saveexec_b32 s14, s27
	s_cbranch_execz .LBB21_22
; %bb.15:                               ;   in Loop: Header=BB21_3 Depth=1
	s_and_not1_b32 vcc_lo, exec_lo, s31
	s_cbranch_vccnz .LBB21_19
; %bb.16:                               ;   in Loop: Header=BB21_3 Depth=1
	s_delay_alu instid0(VALU_DEP_1)
	v_mov_b64_e32 v[34:35], v[70:71]
	s_mov_b32 s15, 1
	s_mov_b32 s16, 0
	;; [unrolled: 1-line block ×3, first 2 shown]
.LBB21_17:                              ;   Parent Loop BB21_3 Depth=1
                                        ; =>  This Inner Loop Header: Depth=2
	global_load_b64 v[36:37], v[34:35], off
	v_mov_b64_e32 v[38:39], s[20:21]
	v_mad_u32 v40, 0x50, s16, v72
	v_mad_u32 v41, 0x50, s15, v72
	s_wait_xcnt 0x0
	v_add_nc_u64_e32 v[34:35], 8, v[34:35]
	s_add_co_i32 s17, s17, -2
	s_add_co_i32 s16, s16, 2
	s_add_co_i32 s15, s15, 2
	s_mov_b32 s22, s33
	s_mov_b32 s23, s34
	s_cmp_lg_u32 s17, 0
	s_wait_loadcnt 0x0
	v_pk_mul_f32 v[36:37], v[38:39], v[36:37]
	ds_store_b32 v40, v36
	ds_store_b32 v41, v37
	s_cbranch_scc1 .LBB21_17
; %bb.18:                               ;   in Loop: Header=BB21_3 Depth=1
	s_and_b32 vcc_lo, exec_lo, s23
	s_cbranch_vccnz .LBB21_20
	s_branch .LBB21_22
.LBB21_19:                              ;   in Loop: Header=BB21_3 Depth=1
	s_wait_xcnt 0x0
	s_mov_b32 s22, 0
	s_cbranch_execz .LBB21_22
.LBB21_20:                              ;   in Loop: Header=BB21_3 Depth=1
	s_lshl_b32 s16, s22, 2
	s_mov_b32 s17, s3
	v_mad_u32 v36, 0x50, s22, v72
	s_add_nc_u64 s[16:17], s[12:13], s[16:17]
	s_sub_co_i32 s15, s24, s22
	v_add_nc_u64_e32 v[34:35], s[16:17], v[68:69]
.LBB21_21:                              ;   Parent Loop BB21_3 Depth=1
                                        ; =>  This Inner Loop Header: Depth=2
	global_load_b32 v37, v[34:35], off
	s_wait_xcnt 0x0
	v_add_nc_u64_e32 v[34:35], 4, v[34:35]
	s_add_co_i32 s15, s15, -1
	s_delay_alu instid0(SALU_CYCLE_1)
	s_cmp_lg_u32 s15, 0
	s_wait_loadcnt 0x0
	v_mul_f32_e32 v37, s20, v37
	ds_store_b32 v36, v37
	v_add_nc_u32_e32 v36, 0x50, v36
	s_cbranch_scc1 .LBB21_21
.LBB21_22:                              ;   in Loop: Header=BB21_3 Depth=1
	s_or_b32 exec_lo, exec_lo, s14
	s_delay_alu instid0(SALU_CYCLE_1)
	s_and_not1_b32 vcc_lo, exec_lo, s1
	s_mov_b32 s14, -1
	s_wait_dscnt 0x0
	; wave barrier
                                        ; implicit-def: $vgpr34_vgpr35_vgpr36_vgpr37_vgpr38_vgpr39_vgpr40_vgpr41_vgpr42_vgpr43_vgpr44_vgpr45_vgpr46_vgpr47_vgpr48_vgpr49_vgpr50_vgpr51_vgpr52_vgpr53_vgpr54_vgpr55_vgpr56_vgpr57_vgpr58_vgpr59_vgpr60_vgpr61_vgpr62_vgpr63_vgpr64_vgpr65
	s_cbranch_vccnz .LBB21_44
; %bb.23:                               ;   in Loop: Header=BB21_3 Depth=1
	v_mov_b64_e32 v[64:65], v[32:33]
	v_mov_b64_e32 v[62:63], v[30:31]
	;; [unrolled: 1-line block ×16, first 2 shown]
	s_wait_xcnt 0x0
	s_mov_b32 s23, 0
	s_mov_b32 s22, 0
.LBB21_24:                              ;   Parent Loop BB21_3 Depth=1
                                        ; =>  This Loop Header: Depth=2
                                        ;       Child Loop BB21_27 Depth 3
                                        ;         Child Loop BB21_28 Depth 4
                                        ;         Child Loop BB21_31 Depth 4
                                        ;           Child Loop BB21_32 Depth 5
                                        ;         Child Loop BB21_37 Depth 4
                                        ;           Child Loop BB21_39 Depth 5
	s_load_b32 s35, s[8:9], s23 offset:0x0 scale_offset
	s_wait_kmcnt 0x0
	s_add_co_i32 s36, s35, -1
	s_delay_alu instid0(SALU_CYCLE_1) | instskip(NEXT) | instid1(SALU_CYCLE_1)
	s_add_co_i32 s14, s36, s22
	s_cmp_ge_i32 s14, s24
	s_cbranch_scc1 .LBB21_41
; %bb.25:                               ;   in Loop: Header=BB21_24 Depth=2
	s_mul_i32 s37, s22, 0x50
	s_max_i32 s38, s35, 1
	v_add_nc_u32_e32 v73, s37, v72
	s_mul_i32 s39, s35, 0x50
	s_mul_i32 s40, s22, 0x54
	;; [unrolled: 1-line block ×3, first 2 shown]
	s_branch .LBB21_27
.LBB21_26:                              ;   in Loop: Header=BB21_27 Depth=3
	s_add_co_i32 s22, s22, s35
	v_add_nc_u32_e32 v73, s39, v73
	s_add_co_i32 s14, s36, s22
	s_add_co_i32 s37, s37, s39
	;; [unrolled: 1-line block ×3, first 2 shown]
	s_cmp_ge_i32 s14, s24
	s_cbranch_scc1 .LBB21_41
.LBB21_27:                              ;   Parent Loop BB21_3 Depth=1
                                        ;     Parent Loop BB21_24 Depth=2
                                        ; =>    This Loop Header: Depth=3
                                        ;         Child Loop BB21_28 Depth 4
                                        ;         Child Loop BB21_31 Depth 4
                                        ;           Child Loop BB21_32 Depth 5
                                        ;         Child Loop BB21_37 Depth 4
                                        ;           Child Loop BB21_39 Depth 5
	v_mov_b32_e32 v74, v73
	s_mov_b64 s[14:15], 0
.LBB21_28:                              ;   Parent Loop BB21_3 Depth=1
                                        ;     Parent Loop BB21_24 Depth=2
                                        ;       Parent Loop BB21_27 Depth=3
                                        ; =>      This Inner Loop Header: Depth=4
	ds_load_b32 v75, v74
	v_add_nc_u32_e32 v74, 0x50, v74
	s_mov_b32 m0, s14
	s_add_nc_u64 s[14:15], s[14:15], 1
	s_delay_alu instid0(SALU_CYCLE_1)
	s_cmp_eq_u32 s38, s14
	s_wait_dscnt 0x0
	v_movreld_b32_e32 v34, v75
	s_cbranch_scc0 .LBB21_28
; %bb.29:                               ;   in Loop: Header=BB21_27 Depth=3
	s_cmp_lt_i32 s22, 1
	s_cbranch_scc1 .LBB21_34
; %bb.30:                               ;   in Loop: Header=BB21_27 Depth=3
	s_mov_b32 s16, 0
	s_mov_b32 s17, s37
.LBB21_31:                              ;   Parent Loop BB21_3 Depth=1
                                        ;     Parent Loop BB21_24 Depth=2
                                        ;       Parent Loop BB21_27 Depth=3
                                        ; =>      This Loop Header: Depth=4
                                        ;           Child Loop BB21_32 Depth 5
	v_mad_u32 v74, 0x50, s16, v72
	s_mov_b64 s[14:15], 0
	s_mov_b32 s42, s17
	ds_load_b32 v74, v74
.LBB21_32:                              ;   Parent Loop BB21_3 Depth=1
                                        ;     Parent Loop BB21_24 Depth=2
                                        ;       Parent Loop BB21_27 Depth=3
                                        ;         Parent Loop BB21_31 Depth=4
                                        ; =>        This Inner Loop Header: Depth=5
	v_mov_b32_e32 v75, s42
	s_mov_b32 m0, s14
	s_add_nc_u64 s[14:15], s[14:15], 1
	v_movrels_b32_e32 v76, v34
	s_addk_co_i32 s42, 0x50
	ds_load_b32 v75, v75
	s_cmp_eq_u32 s38, s14
	s_wait_dscnt 0x0
	v_fma_f32 v75, -v74, v75, v76
	s_delay_alu instid0(VALU_DEP_1)
	v_movreld_b32_e32 v34, v75
	s_cbranch_scc0 .LBB21_32
; %bb.33:                               ;   in Loop: Header=BB21_31 Depth=4
	s_add_co_i32 s16, s16, 1
	s_add_co_i32 s17, s17, 4
	s_cmp_eq_u32 s16, s22
	s_cbranch_scc0 .LBB21_31
.LBB21_34:                              ;   in Loop: Header=BB21_27 Depth=3
	s_mul_i32 s42, s22, 0x50
	s_mov_b64 s[14:15], 0
	s_mov_b32 s43, s40
	s_branch .LBB21_37
.LBB21_35:                              ;   in Loop: Header=BB21_37 Depth=4
	s_mov_b32 s45, s22
	s_mov_b64 s[16:17], 0
	s_mov_b32 s44, s42
.LBB21_36:                              ;   in Loop: Header=BB21_37 Depth=4
	s_mov_b32 m0, s16
	s_mul_i32 s16, s45, 0x54
	v_movrels_b32_e32 v75, v34
	v_mov_b32_e32 v74, s16
	s_add_nc_u64 s[14:15], s[14:15], 1
	s_addk_co_i32 s43, 0x50
	s_cmp_eq_u32 s14, s38
	ds_load_b32 v74, v74
	s_wait_dscnt 0x0
	v_dual_mul_f32 v74, v75, v74 :: v_dual_add_nc_u32 v75, s44, v72
	s_delay_alu instid0(VALU_DEP_1)
	v_movreld_b32_e32 v34, v74
	ds_store_b32 v75, v74
	s_cbranch_scc1 .LBB21_26
.LBB21_37:                              ;   Parent Loop BB21_3 Depth=1
                                        ;     Parent Loop BB21_24 Depth=2
                                        ;       Parent Loop BB21_27 Depth=3
                                        ; =>      This Loop Header: Depth=4
                                        ;           Child Loop BB21_39 Depth 5
	s_cmp_eq_u32 s14, 0
	s_cbranch_scc1 .LBB21_35
; %bb.38:                               ;   in Loop: Header=BB21_37 Depth=4
	s_add_co_i32 s45, s14, s22
	s_mov_b64 s[16:17], 0
	s_mul_i32 s44, s45, 0x50
	s_mov_b32 s46, s43
.LBB21_39:                              ;   Parent Loop BB21_3 Depth=1
                                        ;     Parent Loop BB21_24 Depth=2
                                        ;       Parent Loop BB21_27 Depth=3
                                        ;         Parent Loop BB21_37 Depth=4
                                        ; =>        This Inner Loop Header: Depth=5
	s_delay_alu instid0(SALU_CYCLE_1)
	v_mov_b32_e32 v74, s46
	s_mov_b32 m0, s16
	s_add_nc_u64 s[16:17], s[16:17], 1
	v_movrels_b32_e32 v75, v34
	s_mov_b32 m0, s14
	ds_load_b32 v74, v74
	v_movrels_b32_e32 v76, v34
	s_add_co_i32 s46, s46, 4
	s_cmp_eq_u32 s14, s16
	s_wait_dscnt 0x0
	s_delay_alu instid0(VALU_DEP_1) | instskip(NEXT) | instid1(VALU_DEP_1)
	v_fma_f32 v74, -v75, v74, v76
	v_movreld_b32_e32 v34, v74
	s_cbranch_scc0 .LBB21_39
; %bb.40:                               ;   in Loop: Header=BB21_37 Depth=4
	s_mov_b64 s[16:17], s[14:15]
	s_branch .LBB21_36
.LBB21_41:                              ;   in Loop: Header=BB21_24 Depth=2
	s_cmp_lt_i32 s22, s24
	s_cselect_b32 s15, -1, 0
	s_add_co_i32 s14, s23, 1
	s_cmp_lt_u32 s23, 2
	s_cselect_b32 s16, -1, 0
	s_delay_alu instid0(SALU_CYCLE_1) | instskip(NEXT) | instid1(SALU_CYCLE_1)
	s_and_b32 s15, s15, s16
	s_and_b32 vcc_lo, exec_lo, s15
	s_cbranch_vccz .LBB21_43
; %bb.42:                               ;   in Loop: Header=BB21_24 Depth=2
	s_wait_xcnt 0x0
	s_mov_b32 s23, s14
	s_branch .LBB21_24
.LBB21_43:                              ;   in Loop: Header=BB21_3 Depth=1
	s_mov_b32 s14, 0
.LBB21_44:                              ;   in Loop: Header=BB21_3 Depth=1
	s_delay_alu instid0(SALU_CYCLE_1)
	s_and_b32 vcc_lo, exec_lo, s14
	s_cbranch_vccz .LBB21_64
; %bb.45:                               ;   in Loop: Header=BB21_3 Depth=1
	s_wait_xcnt 0x0
	s_mov_b32 s23, 0
	s_mov_b32 s22, s25
	s_load_b32 s35, s[8:9], s23 offset:0x0 scale_offset
	s_wait_kmcnt 0x0
	s_add_co_i32 s36, s35, -1
	s_delay_alu instid0(SALU_CYCLE_1)
	s_cmp_lt_i32 s22, s36
	s_cbranch_scc1 .LBB21_61
.LBB21_46:                              ;   in Loop: Header=BB21_3 Depth=1
	v_mad_u32 v34, 0x50, s22, v72
	s_lshl_b32 s14, s22, 2
	s_lshl_b32 s15, s35, 2
	s_max_i32 s37, s35, 1
	s_mul_i32 s38, s35, 0xffffffb0
	s_add_co_i32 s39, s18, s14
	s_sub_co_i32 s40, 0, s15
	s_mul_i32 s41, s22, 0x54
	s_mul_i32 s42, s35, 0xffffffac
	s_branch .LBB21_48
.LBB21_47:                              ;   in Loop: Header=BB21_48 Depth=2
	v_add_nc_u32_e32 v34, s38, v34
	s_sub_co_i32 s22, s22, s35
	s_add_co_i32 s39, s39, s40
	s_add_co_i32 s41, s41, s42
	s_cmp_lt_i32 s22, s36
	s_cbranch_scc1 .LBB21_61
.LBB21_48:                              ;   Parent Loop BB21_3 Depth=1
                                        ; =>  This Loop Header: Depth=2
                                        ;       Child Loop BB21_49 Depth 3
                                        ;       Child Loop BB21_51 Depth 3
                                        ;         Child Loop BB21_52 Depth 4
                                        ;       Child Loop BB21_57 Depth 3
                                        ;         Child Loop BB21_59 Depth 4
	s_delay_alu instid0(VALU_DEP_1)
	v_mov_b32_e32 v35, v34
	s_mov_b64 s[14:15], 0
.LBB21_49:                              ;   Parent Loop BB21_3 Depth=1
                                        ;     Parent Loop BB21_48 Depth=2
                                        ; =>    This Inner Loop Header: Depth=3
	ds_load_b32 v36, v35
	v_add_nc_u32_e32 v35, 0xffffffb0, v35
	s_mov_b32 m0, s14
	s_add_nc_u64 s[14:15], s[14:15], 1
	s_delay_alu instid0(SALU_CYCLE_1)
	s_cmp_eq_u32 s37, s14
	s_wait_dscnt 0x0
	v_movreld_b32_e32 v2, v36
	s_cbranch_scc0 .LBB21_49
; %bb.50:                               ;   in Loop: Header=BB21_48 Depth=2
	s_cmp_le_i32 s25, s22
	s_mov_b32 s16, s39
	s_mov_b32 s17, s25
	s_cbranch_scc1 .LBB21_54
.LBB21_51:                              ;   Parent Loop BB21_3 Depth=1
                                        ;     Parent Loop BB21_48 Depth=2
                                        ; =>    This Loop Header: Depth=3
                                        ;         Child Loop BB21_52 Depth 4
	v_mad_u32 v35, 0x50, s17, v72
	s_mov_b64 s[14:15], 0
	s_mov_b32 s43, s16
	ds_load_b32 v35, v35
.LBB21_52:                              ;   Parent Loop BB21_3 Depth=1
                                        ;     Parent Loop BB21_48 Depth=2
                                        ;       Parent Loop BB21_51 Depth=3
                                        ; =>      This Inner Loop Header: Depth=4
	v_mov_b32_e32 v36, s43
	s_mov_b32 m0, s14
	s_add_nc_u64 s[14:15], s[14:15], 1
	v_movrels_b32_e32 v37, v2
	s_add_co_i32 s43, s43, -4
	ds_load_b32 v36, v36
	s_cmp_eq_u32 s37, s14
	s_wait_dscnt 0x0
	v_fma_f32 v36, -v35, v36, v37
	s_delay_alu instid0(VALU_DEP_1)
	v_movreld_b32_e32 v2, v36
	s_cbranch_scc0 .LBB21_52
; %bb.53:                               ;   in Loop: Header=BB21_51 Depth=3
	s_add_co_i32 s17, s17, -1
	s_addk_co_i32 s16, 0xffb0
	s_cmp_le_i32 s17, s22
	s_cbranch_scc0 .LBB21_51
.LBB21_54:                              ;   in Loop: Header=BB21_48 Depth=2
	s_mov_b64 s[14:15], 0
	s_mov_b32 s43, s41
	s_branch .LBB21_57
.LBB21_55:                              ;   in Loop: Header=BB21_57 Depth=3
	s_mov_b32 s44, s22
	s_mov_b64 s[16:17], 0
.LBB21_56:                              ;   in Loop: Header=BB21_57 Depth=3
	s_delay_alu instid0(SALU_CYCLE_1)
	s_mov_b32 m0, s16
	s_mul_i32 s16, s44, 0x54
	v_mad_u32 v37, 0x50, s44, v72
	v_mov_b32_e32 v35, s16
	v_movrels_b32_e32 v36, v2
	s_add_nc_u64 s[14:15], s[14:15], 1
	s_add_co_i32 s43, s43, -4
	s_cmp_eq_u32 s14, s37
	ds_load_b32 v35, v35
	s_wait_dscnt 0x0
	v_mul_f32_e32 v35, v36, v35
	s_delay_alu instid0(VALU_DEP_1)
	v_movreld_b32_e32 v2, v35
	ds_store_b32 v37, v35
	s_cbranch_scc1 .LBB21_47
.LBB21_57:                              ;   Parent Loop BB21_3 Depth=1
                                        ;     Parent Loop BB21_48 Depth=2
                                        ; =>    This Loop Header: Depth=3
                                        ;         Child Loop BB21_59 Depth 4
	s_cmp_eq_u32 s14, 0
	s_cbranch_scc1 .LBB21_55
; %bb.58:                               ;   in Loop: Header=BB21_57 Depth=3
	s_sub_co_i32 s44, s22, s14
	s_mov_b64 s[16:17], 0
	s_mov_b32 s45, s43
.LBB21_59:                              ;   Parent Loop BB21_3 Depth=1
                                        ;     Parent Loop BB21_48 Depth=2
                                        ;       Parent Loop BB21_57 Depth=3
                                        ; =>      This Inner Loop Header: Depth=4
	s_delay_alu instid0(SALU_CYCLE_1)
	v_mov_b32_e32 v35, s45
	s_mov_b32 m0, s16
	s_add_nc_u64 s[16:17], s[16:17], 1
	v_movrels_b32_e32 v36, v2
	s_mov_b32 m0, s14
	ds_load_b32 v35, v35
	v_movrels_b32_e32 v37, v2
	s_addk_co_i32 s45, 0xffb0
	s_cmp_eq_u32 s14, s16
	s_wait_dscnt 0x0
	s_delay_alu instid0(VALU_DEP_1) | instskip(NEXT) | instid1(VALU_DEP_1)
	v_fma_f32 v35, -v36, v35, v37
	v_movreld_b32_e32 v2, v35
	s_cbranch_scc0 .LBB21_59
; %bb.60:                               ;   in Loop: Header=BB21_57 Depth=3
	s_mov_b64 s[16:17], s[14:15]
	s_branch .LBB21_56
.LBB21_61:                              ;   Parent Loop BB21_3 Depth=1
                                        ; =>  This Inner Loop Header: Depth=2
	s_cmp_gt_i32 s22, -1
	s_cselect_b32 s15, -1, 0
	s_add_co_i32 s14, s23, 1
	s_cmp_lt_u32 s23, 2
	s_cselect_b32 s16, -1, 0
	s_delay_alu instid0(SALU_CYCLE_1) | instskip(NEXT) | instid1(SALU_CYCLE_1)
	s_and_b32 s15, s15, s16
	s_and_not1_b32 vcc_lo, exec_lo, s15
	s_cbranch_vccnz .LBB21_63
; %bb.62:                               ;   in Loop: Header=BB21_61 Depth=2
	s_wait_xcnt 0x0
	s_mov_b32 s23, s14
	s_load_b32 s35, s[8:9], s23 offset:0x0 scale_offset
	s_wait_kmcnt 0x0
	s_add_co_i32 s36, s35, -1
	s_delay_alu instid0(SALU_CYCLE_1)
	s_cmp_lt_i32 s22, s36
	s_cbranch_scc0 .LBB21_46
	s_branch .LBB21_61
.LBB21_63:                              ;   in Loop: Header=BB21_3 Depth=1
	v_mov_b64_e32 v[64:65], v[32:33]
	v_mov_b64_e32 v[62:63], v[30:31]
	;; [unrolled: 1-line block ×16, first 2 shown]
.LBB21_64:                              ;   in Loop: Header=BB21_3 Depth=1
	s_delay_alu instid0(VALU_DEP_1) | instskip(NEXT) | instid1(VALU_DEP_3)
	v_mov_b64_e32 v[2:3], v[34:35]
	v_mov_b64_e32 v[4:5], v[36:37]
	;; [unrolled: 1-line block ×16, first 2 shown]
	s_wait_dscnt 0x0
	; wave barrier
	s_and_saveexec_b32 s14, s27
	s_cbranch_execz .LBB21_2
; %bb.65:                               ;   in Loop: Header=BB21_3 Depth=1
	s_and_not1_b32 vcc_lo, exec_lo, s31
	s_cbranch_vccnz .LBB21_69
; %bb.66:                               ;   in Loop: Header=BB21_3 Depth=1
	s_mov_b32 s15, 1
	s_mov_b32 s16, 0
	;; [unrolled: 1-line block ×3, first 2 shown]
.LBB21_67:                              ;   Parent Loop BB21_3 Depth=1
                                        ; =>  This Inner Loop Header: Depth=2
	v_mad_u32 v34, 0x50, s16, v72
	v_mad_u32 v35, 0x50, s15, v72
	s_add_co_i32 s17, s17, -2
	s_add_co_i32 s16, s16, 2
	s_add_co_i32 s15, s15, 2
	s_mov_b32 s22, s33
	s_cmp_lg_u32 s17, 0
	s_wait_xcnt 0x0
	s_mov_b32 s23, s34
	ds_load_b32 v34, v34
	ds_load_b32 v35, v35
	s_wait_dscnt 0x0
	global_store_b64 v[70:71], v[34:35], off
	s_wait_xcnt 0x0
	v_add_nc_u64_e32 v[70:71], 8, v[70:71]
	s_cbranch_scc1 .LBB21_67
; %bb.68:                               ;   in Loop: Header=BB21_3 Depth=1
	s_and_b32 vcc_lo, exec_lo, s23
	s_cbranch_vccz .LBB21_2
	s_branch .LBB21_70
.LBB21_69:                              ;   in Loop: Header=BB21_3 Depth=1
	s_wait_xcnt 0x0
	s_mov_b32 s22, 0
	s_cbranch_execz .LBB21_2
.LBB21_70:                              ;   in Loop: Header=BB21_3 Depth=1
	s_lshl_b32 s16, s22, 2
	s_mov_b32 s17, s3
	v_mad_u32 v36, 0x50, s22, v72
	s_add_nc_u64 s[12:13], s[12:13], s[16:17]
	s_delay_alu instid0(SALU_CYCLE_1)
	v_add_nc_u64_e32 v[34:35], s[12:13], v[68:69]
	s_sub_co_i32 s12, s24, s22
.LBB21_71:                              ;   Parent Loop BB21_3 Depth=1
                                        ; =>  This Inner Loop Header: Depth=2
	ds_load_b32 v37, v36
	v_add_nc_u32_e32 v36, 0x50, v36
	s_add_co_i32 s12, s12, -1
	s_delay_alu instid0(SALU_CYCLE_1)
	s_cmp_lg_u32 s12, 0
	s_wait_dscnt 0x0
	global_store_b32 v[34:35], v37, off
	s_wait_xcnt 0x0
	v_add_nc_u64_e32 v[34:35], 4, v[34:35]
	s_cbranch_scc1 .LBB21_71
	s_branch .LBB21_2
.LBB21_72:
	s_sendmsg sendmsg(MSG_DEALLOC_VGPRS)
	s_endpgm
	.section	.rodata,"a",@progbits
	.p2align	6, 0x0
	.amdhsa_kernel _ZL38rocblas_trsm_small_left_device_sharedBILi20ELi20ELb0EffPKfPfEv13rocblas_fill_18rocblas_operation_17rocblas_diagonal_iiT3_T4_lilT5_lili
		.amdhsa_group_segment_fixed_size 3200
		.amdhsa_private_segment_fixed_size 0
		.amdhsa_kernarg_size 352
		.amdhsa_user_sgpr_count 2
		.amdhsa_user_sgpr_dispatch_ptr 0
		.amdhsa_user_sgpr_queue_ptr 0
		.amdhsa_user_sgpr_kernarg_segment_ptr 1
		.amdhsa_user_sgpr_dispatch_id 0
		.amdhsa_user_sgpr_kernarg_preload_length 0
		.amdhsa_user_sgpr_kernarg_preload_offset 0
		.amdhsa_user_sgpr_private_segment_size 0
		.amdhsa_wavefront_size32 1
		.amdhsa_uses_dynamic_stack 0
		.amdhsa_enable_private_segment 0
		.amdhsa_system_sgpr_workgroup_id_x 1
		.amdhsa_system_sgpr_workgroup_id_y 0
		.amdhsa_system_sgpr_workgroup_id_z 1
		.amdhsa_system_sgpr_workgroup_info 0
		.amdhsa_system_vgpr_workitem_id 0
		.amdhsa_next_free_vgpr 77
		.amdhsa_next_free_sgpr 47
		.amdhsa_named_barrier_count 0
		.amdhsa_reserve_vcc 1
		.amdhsa_float_round_mode_32 0
		.amdhsa_float_round_mode_16_64 0
		.amdhsa_float_denorm_mode_32 3
		.amdhsa_float_denorm_mode_16_64 3
		.amdhsa_fp16_overflow 0
		.amdhsa_memory_ordered 1
		.amdhsa_forward_progress 1
		.amdhsa_inst_pref_size 23
		.amdhsa_round_robin_scheduling 0
		.amdhsa_exception_fp_ieee_invalid_op 0
		.amdhsa_exception_fp_denorm_src 0
		.amdhsa_exception_fp_ieee_div_zero 0
		.amdhsa_exception_fp_ieee_overflow 0
		.amdhsa_exception_fp_ieee_underflow 0
		.amdhsa_exception_fp_ieee_inexact 0
		.amdhsa_exception_int_div_zero 0
	.end_amdhsa_kernel
	.section	.text._ZL38rocblas_trsm_small_left_device_sharedBILi20ELi20ELb0EffPKfPfEv13rocblas_fill_18rocblas_operation_17rocblas_diagonal_iiT3_T4_lilT5_lili,"axG",@progbits,_ZL38rocblas_trsm_small_left_device_sharedBILi20ELi20ELb0EffPKfPfEv13rocblas_fill_18rocblas_operation_17rocblas_diagonal_iiT3_T4_lilT5_lili,comdat
.Lfunc_end21:
	.size	_ZL38rocblas_trsm_small_left_device_sharedBILi20ELi20ELb0EffPKfPfEv13rocblas_fill_18rocblas_operation_17rocblas_diagonal_iiT3_T4_lilT5_lili, .Lfunc_end21-_ZL38rocblas_trsm_small_left_device_sharedBILi20ELi20ELb0EffPKfPfEv13rocblas_fill_18rocblas_operation_17rocblas_diagonal_iiT3_T4_lilT5_lili
                                        ; -- End function
	.set _ZL38rocblas_trsm_small_left_device_sharedBILi20ELi20ELb0EffPKfPfEv13rocblas_fill_18rocblas_operation_17rocblas_diagonal_iiT3_T4_lilT5_lili.num_vgpr, 77
	.set _ZL38rocblas_trsm_small_left_device_sharedBILi20ELi20ELb0EffPKfPfEv13rocblas_fill_18rocblas_operation_17rocblas_diagonal_iiT3_T4_lilT5_lili.num_agpr, 0
	.set _ZL38rocblas_trsm_small_left_device_sharedBILi20ELi20ELb0EffPKfPfEv13rocblas_fill_18rocblas_operation_17rocblas_diagonal_iiT3_T4_lilT5_lili.numbered_sgpr, 47
	.set _ZL38rocblas_trsm_small_left_device_sharedBILi20ELi20ELb0EffPKfPfEv13rocblas_fill_18rocblas_operation_17rocblas_diagonal_iiT3_T4_lilT5_lili.num_named_barrier, 0
	.set _ZL38rocblas_trsm_small_left_device_sharedBILi20ELi20ELb0EffPKfPfEv13rocblas_fill_18rocblas_operation_17rocblas_diagonal_iiT3_T4_lilT5_lili.private_seg_size, 0
	.set _ZL38rocblas_trsm_small_left_device_sharedBILi20ELi20ELb0EffPKfPfEv13rocblas_fill_18rocblas_operation_17rocblas_diagonal_iiT3_T4_lilT5_lili.uses_vcc, 1
	.set _ZL38rocblas_trsm_small_left_device_sharedBILi20ELi20ELb0EffPKfPfEv13rocblas_fill_18rocblas_operation_17rocblas_diagonal_iiT3_T4_lilT5_lili.uses_flat_scratch, 0
	.set _ZL38rocblas_trsm_small_left_device_sharedBILi20ELi20ELb0EffPKfPfEv13rocblas_fill_18rocblas_operation_17rocblas_diagonal_iiT3_T4_lilT5_lili.has_dyn_sized_stack, 0
	.set _ZL38rocblas_trsm_small_left_device_sharedBILi20ELi20ELb0EffPKfPfEv13rocblas_fill_18rocblas_operation_17rocblas_diagonal_iiT3_T4_lilT5_lili.has_recursion, 0
	.set _ZL38rocblas_trsm_small_left_device_sharedBILi20ELi20ELb0EffPKfPfEv13rocblas_fill_18rocblas_operation_17rocblas_diagonal_iiT3_T4_lilT5_lili.has_indirect_call, 0
	.section	.AMDGPU.csdata,"",@progbits
; Kernel info:
; codeLenInByte = 2832
; TotalNumSgprs: 49
; NumVgprs: 77
; ScratchSize: 0
; MemoryBound: 0
; FloatMode: 240
; IeeeMode: 1
; LDSByteSize: 3200 bytes/workgroup (compile time only)
; SGPRBlocks: 0
; VGPRBlocks: 4
; NumSGPRsForWavesPerEU: 49
; NumVGPRsForWavesPerEU: 77
; NamedBarCnt: 0
; Occupancy: 12
; WaveLimiterHint : 0
; COMPUTE_PGM_RSRC2:SCRATCH_EN: 0
; COMPUTE_PGM_RSRC2:USER_SGPR: 2
; COMPUTE_PGM_RSRC2:TRAP_HANDLER: 0
; COMPUTE_PGM_RSRC2:TGID_X_EN: 1
; COMPUTE_PGM_RSRC2:TGID_Y_EN: 0
; COMPUTE_PGM_RSRC2:TGID_Z_EN: 1
; COMPUTE_PGM_RSRC2:TIDIG_COMP_CNT: 0
	.section	.text._ZL30rocblas_trsm_small_left_deviceILi20ELi20ELb0EffPKfPfEv13rocblas_fill_18rocblas_operation_17rocblas_diagonal_iiT3_T4_lilT5_lili,"axG",@progbits,_ZL30rocblas_trsm_small_left_deviceILi20ELi20ELb0EffPKfPfEv13rocblas_fill_18rocblas_operation_17rocblas_diagonal_iiT3_T4_lilT5_lili,comdat
	.globl	_ZL30rocblas_trsm_small_left_deviceILi20ELi20ELb0EffPKfPfEv13rocblas_fill_18rocblas_operation_17rocblas_diagonal_iiT3_T4_lilT5_lili ; -- Begin function _ZL30rocblas_trsm_small_left_deviceILi20ELi20ELb0EffPKfPfEv13rocblas_fill_18rocblas_operation_17rocblas_diagonal_iiT3_T4_lilT5_lili
	.p2align	8
	.type	_ZL30rocblas_trsm_small_left_deviceILi20ELi20ELb0EffPKfPfEv13rocblas_fill_18rocblas_operation_17rocblas_diagonal_iiT3_T4_lilT5_lili,@function
_ZL30rocblas_trsm_small_left_deviceILi20ELi20ELb0EffPKfPfEv13rocblas_fill_18rocblas_operation_17rocblas_diagonal_iiT3_T4_lilT5_lili: ; @_ZL30rocblas_trsm_small_left_deviceILi20ELi20ELb0EffPKfPfEv13rocblas_fill_18rocblas_operation_17rocblas_diagonal_iiT3_T4_lilT5_lili
; %bb.0:
	s_load_b32 s30, s[0:1], 0x58
	s_bfe_u32 s2, ttmp6, 0x40014
	s_lshr_b32 s4, ttmp7, 16
	s_add_co_i32 s2, s2, 1
	s_bfe_u32 s5, ttmp6, 0x40008
	s_mul_i32 s2, s4, s2
	s_getreg_b32 s3, hwreg(HW_REG_IB_STS2, 6, 4)
	s_add_co_i32 s5, s5, s2
	s_cmp_eq_u32 s3, 0
	s_mov_b32 s19, 0
	s_cselect_b32 s2, s4, s5
	s_wait_kmcnt 0x0
	s_cmp_ge_u32 s2, s30
	s_cbranch_scc1 .LBB22_58
; %bb.1:
	s_clause 0x7
	s_load_b32 s22, s[0:1], 0x28
	s_load_b96 s[16:18], s[0:1], 0x40
	s_load_b128 s[4:7], s[0:1], 0x4
	s_load_b32 s26, s[0:1], 0x60
	s_load_b128 s[8:11], s[0:1], 0x18
	s_load_b128 s[12:15], s[0:1], 0x30
	s_load_b64 s[20:21], s[0:1], 0x50
	s_load_b32 s31, s[0:1], 0x14
	v_dual_mov_b32 v67, 0 :: v_dual_lshlrev_b32 v66, 2, v0
	v_mul_u32_u24_e32 v24, 0x50, v0
	s_mov_b32 s41, 0
	s_delay_alu instid0(VALU_DEP_2)
	v_dual_mov_b32 v2, v67 :: v_dual_mov_b32 v3, v67
	v_dual_mov_b32 v4, v67 :: v_dual_mov_b32 v5, v67
	;; [unrolled: 1-line block ×3, first 2 shown]
	s_wait_kmcnt 0x0
	s_ashr_i32 s23, s22, 31
	v_dual_mov_b32 v8, v67 :: v_dual_mov_b32 v9, v67
	s_cmp_eq_u64 s[22:23], 1
	v_dual_mov_b32 v11, v67 :: v_dual_mov_b32 v12, v67
	s_cselect_b32 s27, -1, 0
	s_bfe_u32 s0, ttmp6, 0x4000c
	s_min_i32 s33, s6, 20
	s_add_co_i32 s0, s0, 1
	s_and_b32 s6, ttmp6, 15
	s_mul_i32 s0, ttmp9, s0
	s_ashr_i32 s1, s18, 31
	s_lshl_b64 s[24:25], s[16:17], 2
	s_add_co_i32 s26, s26, -1
	s_add_co_i32 s34, s33, -1
	s_add_co_i32 s6, s6, s0
	s_cmp_eq_u32 s3, 0
	s_mov_b32 s0, s18
	s_cselect_b32 s3, ttmp9, s6
	s_add_nc_u64 s[14:15], s[14:15], s[24:25]
	v_mad_u32 v14, s3, 20, v0
	v_dual_mov_b32 v10, v67 :: v_dual_mov_b32 v13, v67
	v_dual_mov_b32 v17, v67 :: v_dual_mov_b32 v18, v67
	;; [unrolled: 1-line block ×3, first 2 shown]
	v_mov_b32_e32 v21, v67
	s_mul_i32 s40, s33, 0x50
	s_get_pc_i64 s[16:17]
	s_add_nc_u64 s[16:17], s[16:17], __const._ZL30rocblas_trsm_small_left_deviceILi20ELi20ELb0EffPKfPfEv13rocblas_fill_18rocblas_operation_17rocblas_diagonal_iiT3_T4_lilT5_lili.step_sizes@rel64+4
	v_dual_mov_b32 v16, v67 :: v_dual_ashrrev_i32 v15, 31, v14
	s_delay_alu instid0(VALU_DEP_1)
	v_mul_u64_e32 v[22:23], s[0:1], v[14:15]
	s_mul_i32 s0, s3, 0xffffffec
	v_mov_b32_e32 v14, v67
	s_add_co_i32 s0, s7, s0
	s_cmp_ge_u32 s3, s26
	v_mov_b32_e32 v15, v67
	s_cselect_b32 s1, s0, 20
	s_cmp_lg_u32 s5, 0x84
	v_cmp_gt_i32_e64 s0, s33, v0
	s_cselect_b32 s35, -1, 0
	s_cmp_lg_u32 s4, 0x6f
	v_cmp_gt_i32_e64 s1, s1, v0
	s_cselect_b32 s36, -1, 0
	s_cmp_gt_u32 s33, 1
	s_cselect_b32 s3, -1, 0
	s_and_b32 s37, s33, -2
	s_and_b32 s38, s3, s27
	s_cmp_lg_u32 s33, s37
	s_cselect_b32 s39, -1, 0
	s_lshl_b64 s[6:7], s[10:11], 2
	s_lshl_b64 s[4:5], s[12:13], 2
	s_add_nc_u64 s[8:9], s[8:9], s[6:7]
	s_lshl_b64 s[6:7], s[22:23], 2
	v_add_nc_u64_e32 v[0:1], s[8:9], v[66:67]
	v_add_nc_u32_e32 v67, v66, v24
	s_lshl_b64 s[8:9], s[20:21], 2
	s_addk_co_i32 s40, 0xffb0
	v_lshl_add_u64 v[68:69], v[22:23], 2, s[14:15]
	s_branch .LBB22_5
.LBB22_2:                               ;   in Loop: Header=BB22_5 Depth=1
	s_wait_xcnt 0x0
	v_mov_b64_e32 v[64:65], v[32:33]
	v_mov_b64_e32 v[62:63], v[30:31]
	v_mov_b64_e32 v[60:61], v[28:29]
	v_mov_b64_e32 v[58:59], v[26:27]
	v_mov_b64_e32 v[56:57], v[24:25]
	v_mov_b64_e32 v[54:55], v[22:23]
	v_mov_b64_e32 v[52:53], v[20:21]
	v_mov_b64_e32 v[50:51], v[18:19]
	v_mov_b64_e32 v[48:49], v[16:17]
	v_mov_b64_e32 v[46:47], v[14:15]
	v_mov_b64_e32 v[44:45], v[12:13]
	v_mov_b64_e32 v[42:43], v[10:11]
	v_mov_b64_e32 v[40:41], v[8:9]
	v_mov_b64_e32 v[38:39], v[6:7]
	v_mov_b64_e32 v[36:37], v[4:5]
	v_mov_b64_e32 v[34:35], v[2:3]
.LBB22_3:                               ;   in Loop: Header=BB22_5 Depth=1
	s_add_co_i32 s2, s2, 0x10000
	s_delay_alu instid0(SALU_CYCLE_1) | instskip(SKIP_1) | instid1(SALU_CYCLE_1)
	s_cmp_ge_u32 s2, s30
	s_cselect_b32 s3, -1, 0
	s_or_not1_b32 s10, s3, exec_lo
.LBB22_4:                               ;   in Loop: Header=BB22_5 Depth=1
	s_wait_xcnt 0x0
	s_or_b32 exec_lo, exec_lo, s42
	v_mov_b64_e32 v[2:3], v[34:35]
	v_mov_b64_e32 v[4:5], v[36:37]
	;; [unrolled: 1-line block ×16, first 2 shown]
	s_and_b32 s3, exec_lo, s10
	s_delay_alu instid0(SALU_CYCLE_1) | instskip(NEXT) | instid1(SALU_CYCLE_1)
	s_or_b32 s41, s3, s41
	s_and_not1_b32 exec_lo, exec_lo, s41
	s_cbranch_execz .LBB22_58
.LBB22_5:                               ; =>This Loop Header: Depth=1
                                        ;     Child Loop BB22_8 Depth 2
                                        ;     Child Loop BB22_12 Depth 2
	;; [unrolled: 1-line block ×3, first 2 shown]
                                        ;       Child Loop BB22_22 Depth 3
                                        ;         Child Loop BB22_23 Depth 4
                                        ;         Child Loop BB22_26 Depth 4
                                        ;           Child Loop BB22_27 Depth 5
                                        ;         Child Loop BB22_32 Depth 4
                                        ;           Child Loop BB22_34 Depth 5
                                        ;     Child Loop BB22_43 Depth 2
                                        ;       Child Loop BB22_44 Depth 3
                                        ;       Child Loop BB22_46 Depth 3
                                        ;         Child Loop BB22_47 Depth 4
                                        ;       Child Loop BB22_52 Depth 3
                                        ;         Child Loop BB22_54 Depth 4
                                        ;     Child Loop BB22_56 Depth 2
	s_mov_b32 s3, s19
	s_and_saveexec_b32 s12, s0
	s_cbranch_execz .LBB22_16
; %bb.6:                                ;   in Loop: Header=BB22_5 Depth=1
	s_and_not1_b32 vcc_lo, exec_lo, s38
	s_mul_u64 s[10:11], s[4:5], s[2:3]
	s_cbranch_vccnz .LBB22_10
; %bb.7:                                ;   in Loop: Header=BB22_5 Depth=1
	v_add_nc_u64_e32 v[34:35], s[10:11], v[0:1]
	s_mov_b32 s13, 1
	s_mov_b32 s14, 0
	;; [unrolled: 1-line block ×3, first 2 shown]
.LBB22_8:                               ;   Parent Loop BB22_5 Depth=1
                                        ; =>  This Inner Loop Header: Depth=2
	global_load_b64 v[36:37], v[34:35], off
	v_mad_u32 v38, 0x50, s14, v66
	v_mad_u32 v39, 0x50, s13, v66
	s_wait_xcnt 0x0
	v_add_nc_u64_e32 v[34:35], 8, v[34:35]
	s_add_co_i32 s15, s15, -2
	s_add_co_i32 s14, s14, 2
	s_add_co_i32 s13, s13, 2
	s_mov_b32 s18, s37
	s_mov_b32 s22, s39
	s_cmp_lg_u32 s15, 0
	s_wait_loadcnt 0x0
	ds_store_b32 v38, v36
	ds_store_b32 v39, v37
	s_cbranch_scc1 .LBB22_8
; %bb.9:                                ;   in Loop: Header=BB22_5 Depth=1
	s_and_b32 vcc_lo, exec_lo, s22
	s_cbranch_vccnz .LBB22_11
	s_branch .LBB22_13
.LBB22_10:                              ;   in Loop: Header=BB22_5 Depth=1
	s_mov_b32 s18, 0
	s_cbranch_execz .LBB22_13
.LBB22_11:                              ;   in Loop: Header=BB22_5 Depth=1
	s_mul_u64 s[14:15], s[6:7], s[18:19]
	v_mad_u32 v36, 0x50, s18, v66
	s_add_nc_u64 s[10:11], s[14:15], s[10:11]
	s_delay_alu instid0(SALU_CYCLE_1)
	v_add_nc_u64_e32 v[34:35], s[10:11], v[0:1]
	s_sub_co_i32 s10, s33, s18
.LBB22_12:                              ;   Parent Loop BB22_5 Depth=1
                                        ; =>  This Inner Loop Header: Depth=2
	global_load_b32 v37, v[34:35], off
	s_wait_xcnt 0x0
	v_add_nc_u64_e32 v[34:35], s[6:7], v[34:35]
	s_add_co_i32 s10, s10, -1
	s_delay_alu instid0(SALU_CYCLE_1)
	s_cmp_eq_u32 s10, 0
	s_wait_loadcnt 0x0
	ds_store_b32 v36, v37
	v_add_nc_u32_e32 v36, 0x50, v36
	s_cbranch_scc0 .LBB22_12
.LBB22_13:                              ;   in Loop: Header=BB22_5 Depth=1
	v_mov_b32_e32 v34, 1.0
	s_and_b32 vcc_lo, exec_lo, s35
	s_cbranch_vccz .LBB22_15
; %bb.14:                               ;   in Loop: Header=BB22_5 Depth=1
	ds_load_b32 v34, v67
	s_wait_dscnt 0x0
	v_div_scale_f32 v35, null, v34, v34, 1.0
	s_delay_alu instid0(VALU_DEP_1) | instskip(SKIP_1) | instid1(TRANS32_DEP_1)
	v_rcp_f32_e32 v36, v35
	v_nop
	v_fma_f32 v37, -v35, v36, 1.0
	s_delay_alu instid0(VALU_DEP_1) | instskip(SKIP_1) | instid1(VALU_DEP_1)
	v_fmac_f32_e32 v36, v37, v36
	v_div_scale_f32 v37, vcc_lo, 1.0, v34, 1.0
	v_mul_f32_e32 v38, v37, v36
	s_delay_alu instid0(VALU_DEP_1) | instskip(NEXT) | instid1(VALU_DEP_1)
	v_fma_f32 v39, -v35, v38, v37
	v_fmac_f32_e32 v38, v39, v36
	s_delay_alu instid0(VALU_DEP_1) | instskip(NEXT) | instid1(VALU_DEP_1)
	v_fma_f32 v35, -v35, v38, v37
	v_div_fmas_f32 v35, v35, v36, v38
	s_delay_alu instid0(VALU_DEP_1)
	v_div_fixup_f32 v34, v35, v34, 1.0
.LBB22_15:                              ;   in Loop: Header=BB22_5 Depth=1
	ds_store_b32 v67, v34
.LBB22_16:                              ;   in Loop: Header=BB22_5 Depth=1
	s_or_b32 exec_lo, exec_lo, s12
	s_mov_b32 s10, -1
	s_wait_dscnt 0x0
	; wave barrier
                                        ; implicit-def: $vgpr34_vgpr35_vgpr36_vgpr37_vgpr38_vgpr39_vgpr40_vgpr41_vgpr42_vgpr43_vgpr44_vgpr45_vgpr46_vgpr47_vgpr48_vgpr49_vgpr50_vgpr51_vgpr52_vgpr53_vgpr54_vgpr55_vgpr56_vgpr57_vgpr58_vgpr59_vgpr60_vgpr61_vgpr62_vgpr63_vgpr64_vgpr65
	s_and_saveexec_b32 s42, s1
	s_cbranch_execz .LBB22_4
; %bb.17:                               ;   in Loop: Header=BB22_5 Depth=1
	s_mul_u64 s[10:11], s[20:21], s[2:3]
	s_and_not1_b32 vcc_lo, exec_lo, s36
	v_lshl_add_u64 v[70:71], s[10:11], 2, v[68:69]
	s_mul_u64 s[10:11], s[8:9], s[2:3]
	s_mov_b32 s3, -1
                                        ; implicit-def: $vgpr34_vgpr35_vgpr36_vgpr37_vgpr38_vgpr39_vgpr40_vgpr41_vgpr42_vgpr43_vgpr44_vgpr45_vgpr46_vgpr47_vgpr48_vgpr49_vgpr50_vgpr51_vgpr52_vgpr53_vgpr54_vgpr55_vgpr56_vgpr57_vgpr58_vgpr59_vgpr60_vgpr61_vgpr62_vgpr63_vgpr64_vgpr65
	s_cbranch_vccnz .LBB22_39
; %bb.18:                               ;   in Loop: Header=BB22_5 Depth=1
	v_mov_b64_e32 v[64:65], v[32:33]
	v_add_nc_u64_e32 v[72:73], s[10:11], v[68:69]
	v_mov_b64_e32 v[62:63], v[30:31]
	v_mov_b64_e32 v[60:61], v[28:29]
	v_mov_b64_e32 v[58:59], v[26:27]
	v_mov_b64_e32 v[56:57], v[24:25]
	v_mov_b64_e32 v[54:55], v[22:23]
	v_mov_b64_e32 v[52:53], v[20:21]
	v_mov_b64_e32 v[50:51], v[18:19]
	v_mov_b64_e32 v[48:49], v[16:17]
	v_mov_b64_e32 v[46:47], v[14:15]
	v_mov_b64_e32 v[44:45], v[12:13]
	v_mov_b64_e32 v[42:43], v[10:11]
	v_mov_b64_e32 v[40:41], v[8:9]
	v_mov_b64_e32 v[38:39], v[6:7]
	v_mov_b64_e32 v[36:37], v[4:5]
	v_mov_b64_e32 v[34:35], v[2:3]
	s_mov_b32 s3, 0
	s_mov_b32 s12, 0
.LBB22_19:                              ;   Parent Loop BB22_5 Depth=1
                                        ; =>  This Loop Header: Depth=2
                                        ;       Child Loop BB22_22 Depth 3
                                        ;         Child Loop BB22_23 Depth 4
                                        ;         Child Loop BB22_26 Depth 4
                                        ;           Child Loop BB22_27 Depth 5
                                        ;         Child Loop BB22_32 Depth 4
                                        ;           Child Loop BB22_34 Depth 5
	s_load_b32 s14, s[16:17], s3 offset:0x0 scale_offset
	s_wait_kmcnt 0x0
	s_add_co_i32 s43, s14, -1
	s_delay_alu instid0(SALU_CYCLE_1) | instskip(NEXT) | instid1(SALU_CYCLE_1)
	s_add_co_i32 s13, s43, s12
	s_cmp_ge_i32 s13, s33
	s_cbranch_scc1 .LBB22_36
; %bb.20:                               ;   in Loop: Header=BB22_19 Depth=2
	s_ashr_i32 s13, s12, 31
	s_ashr_i32 s15, s14, 31
	v_lshl_add_u64 v[74:75], s[12:13], 2, v[72:73]
	s_max_i32 s44, s14, 1
	s_lshl_b64 s[22:23], s[14:15], 2
	s_mul_i32 s13, s12, 0x50
	s_mul_i32 s15, s14, 0x50
	;; [unrolled: 1-line block ×4, first 2 shown]
	s_branch .LBB22_22
.LBB22_21:                              ;   in Loop: Header=BB22_22 Depth=3
	v_add_nc_u64_e32 v[74:75], s[22:23], v[74:75]
	s_add_co_i32 s12, s12, s14
	s_add_co_i32 s13, s13, s15
	;; [unrolled: 1-line block ×4, first 2 shown]
	s_cmp_ge_i32 s18, s33
	s_cbranch_scc1 .LBB22_36
.LBB22_22:                              ;   Parent Loop BB22_5 Depth=1
                                        ;     Parent Loop BB22_19 Depth=2
                                        ; =>    This Loop Header: Depth=3
                                        ;         Child Loop BB22_23 Depth 4
                                        ;         Child Loop BB22_26 Depth 4
                                        ;           Child Loop BB22_27 Depth 5
                                        ;         Child Loop BB22_32 Depth 4
                                        ;           Child Loop BB22_34 Depth 5
	s_wait_xcnt 0x0
	v_mov_b64_e32 v[76:77], v[74:75]
	s_mov_b64 s[24:25], 0
.LBB22_23:                              ;   Parent Loop BB22_5 Depth=1
                                        ;     Parent Loop BB22_19 Depth=2
                                        ;       Parent Loop BB22_22 Depth=3
                                        ; =>      This Inner Loop Header: Depth=4
	global_load_b32 v78, v[76:77], off
	s_wait_xcnt 0x0
	v_add_nc_u64_e32 v[76:77], 4, v[76:77]
	s_mov_b32 m0, s24
	s_add_nc_u64 s[24:25], s[24:25], 1
	s_delay_alu instid0(SALU_CYCLE_1) | instskip(SKIP_2) | instid1(VALU_DEP_1)
	s_cmp_eq_u32 s44, s24
	s_wait_loadcnt 0x0
	v_mul_f32_e32 v78, s31, v78
	v_movreld_b32_e32 v34, v78
	s_cbranch_scc0 .LBB22_23
; %bb.24:                               ;   in Loop: Header=BB22_22 Depth=3
	s_cmp_lt_i32 s12, 1
	s_cbranch_scc1 .LBB22_29
; %bb.25:                               ;   in Loop: Header=BB22_22 Depth=3
	s_mov_b32 s18, 0
	s_mov_b32 s26, s13
.LBB22_26:                              ;   Parent Loop BB22_5 Depth=1
                                        ;     Parent Loop BB22_19 Depth=2
                                        ;       Parent Loop BB22_22 Depth=3
                                        ; =>      This Loop Header: Depth=4
                                        ;           Child Loop BB22_27 Depth 5
	v_lshl_add_u64 v[76:77], s[18:19], 2, v[70:71]
	s_mov_b64 s[24:25], 0
	s_mov_b32 s27, s26
	global_load_b32 v76, v[76:77], off
.LBB22_27:                              ;   Parent Loop BB22_5 Depth=1
                                        ;     Parent Loop BB22_19 Depth=2
                                        ;       Parent Loop BB22_22 Depth=3
                                        ;         Parent Loop BB22_26 Depth=4
                                        ; =>        This Inner Loop Header: Depth=5
	s_wait_xcnt 0x0
	v_mov_b32_e32 v77, s27
	s_mov_b32 m0, s24
	s_add_nc_u64 s[24:25], s[24:25], 1
	v_movrels_b32_e32 v78, v34
	s_addk_co_i32 s27, 0x50
	ds_load_b32 v77, v77
	s_cmp_eq_u32 s44, s24
	s_wait_loadcnt_dscnt 0x0
	v_fma_f32 v77, -v76, v77, v78
	s_delay_alu instid0(VALU_DEP_1)
	v_movreld_b32_e32 v34, v77
	s_cbranch_scc0 .LBB22_27
; %bb.28:                               ;   in Loop: Header=BB22_26 Depth=4
	s_add_co_i32 s18, s18, 1
	s_add_co_i32 s26, s26, 4
	s_cmp_eq_u32 s18, s12
	s_cbranch_scc0 .LBB22_26
.LBB22_29:                              ;   in Loop: Header=BB22_22 Depth=3
	s_mov_b64 s[24:25], 0
	s_mov_b32 s18, s45
	s_branch .LBB22_32
.LBB22_30:                              ;   in Loop: Header=BB22_32 Depth=4
	s_mov_b32 s26, s12
	s_mov_b64 s[28:29], 0
.LBB22_31:                              ;   in Loop: Header=BB22_32 Depth=4
	s_mul_i32 s27, s26, 0x54
	s_mov_b32 m0, s28
	s_wait_xcnt 0x0
	v_mov_b32_e32 v76, s27
	v_movrels_b32_e32 v77, v34
	s_ashr_i32 s27, s26, 31
	s_add_nc_u64 s[24:25], s[24:25], 1
	s_addk_co_i32 s18, 0x50
	ds_load_b32 v76, v76
	s_cmp_eq_u32 s24, s44
	s_wait_dscnt 0x0
	v_mul_f32_e32 v78, v77, v76
	v_lshl_add_u64 v[76:77], s[26:27], 2, v[70:71]
	s_delay_alu instid0(VALU_DEP_2)
	v_movreld_b32_e32 v34, v78
	global_store_b32 v[76:77], v78, off
	s_cbranch_scc1 .LBB22_21
.LBB22_32:                              ;   Parent Loop BB22_5 Depth=1
                                        ;     Parent Loop BB22_19 Depth=2
                                        ;       Parent Loop BB22_22 Depth=3
                                        ; =>      This Loop Header: Depth=4
                                        ;           Child Loop BB22_34 Depth 5
	s_cmp_eq_u32 s24, 0
	s_cbranch_scc1 .LBB22_30
; %bb.33:                               ;   in Loop: Header=BB22_32 Depth=4
	s_add_co_i32 s26, s24, s12
	s_mov_b64 s[28:29], 0
	s_mov_b32 s27, s18
.LBB22_34:                              ;   Parent Loop BB22_5 Depth=1
                                        ;     Parent Loop BB22_19 Depth=2
                                        ;       Parent Loop BB22_22 Depth=3
                                        ;         Parent Loop BB22_32 Depth=4
                                        ; =>        This Inner Loop Header: Depth=5
	s_wait_xcnt 0x0
	v_mov_b32_e32 v76, s27
	s_mov_b32 m0, s28
	s_add_nc_u64 s[28:29], s[28:29], 1
	v_movrels_b32_e32 v77, v34
	s_mov_b32 m0, s24
	ds_load_b32 v76, v76
	v_movrels_b32_e32 v78, v34
	s_add_co_i32 s27, s27, 4
	s_cmp_eq_u32 s24, s28
	s_wait_dscnt 0x0
	s_delay_alu instid0(VALU_DEP_1) | instskip(NEXT) | instid1(VALU_DEP_1)
	v_fma_f32 v76, -v77, v76, v78
	v_movreld_b32_e32 v34, v76
	s_cbranch_scc0 .LBB22_34
; %bb.35:                               ;   in Loop: Header=BB22_32 Depth=4
	s_mov_b64 s[28:29], s[24:25]
	s_branch .LBB22_31
.LBB22_36:                              ;   in Loop: Header=BB22_19 Depth=2
	s_cmp_lt_i32 s12, s33
	s_cselect_b32 s14, -1, 0
	s_add_co_i32 s13, s3, 1
	s_cmp_lt_u32 s3, 2
	s_wait_xcnt 0x0
	s_cselect_b32 s3, -1, 0
	s_delay_alu instid0(SALU_CYCLE_1) | instskip(NEXT) | instid1(SALU_CYCLE_1)
	s_and_b32 s3, s14, s3
	s_and_b32 vcc_lo, exec_lo, s3
	s_cbranch_vccz .LBB22_38
; %bb.37:                               ;   in Loop: Header=BB22_19 Depth=2
	s_mov_b32 s3, s13
	s_branch .LBB22_19
.LBB22_38:                              ;   in Loop: Header=BB22_5 Depth=1
	s_mov_b32 s3, 0
.LBB22_39:                              ;   in Loop: Header=BB22_5 Depth=1
	s_delay_alu instid0(SALU_CYCLE_1)
	s_and_b32 vcc_lo, exec_lo, s3
	s_cbranch_vccz .LBB22_3
; %bb.40:                               ;   in Loop: Header=BB22_5 Depth=1
	v_add_nc_u64_e32 v[34:35], s[10:11], v[68:69]
	s_mov_b32 s3, 0
	s_mov_b32 s10, s34
	s_load_b32 s18, s[16:17], s3 offset:0x0 scale_offset
	s_wait_kmcnt 0x0
	s_add_co_i32 s26, s18, -1
	s_delay_alu instid0(SALU_CYCLE_1)
	s_cmp_lt_i32 s10, s26
	s_cbranch_scc1 .LBB22_56
.LBB22_41:                              ;   in Loop: Header=BB22_5 Depth=1
	s_lshl_b32 s11, s10, 2
	s_lshl_b32 s12, s18, 2
	s_max_i32 s27, s18, 1
	s_add_co_i32 s28, s40, s11
	s_sub_co_i32 s29, 0, s12
	s_mul_i32 s43, s10, 0x54
	s_mul_i32 s44, s18, 0xffffffac
	s_branch .LBB22_43
.LBB22_42:                              ;   in Loop: Header=BB22_43 Depth=2
	s_sub_co_i32 s10, s10, s18
	s_add_co_i32 s28, s28, s29
	s_add_co_i32 s43, s43, s44
	s_cmp_lt_i32 s10, s26
	s_cbranch_scc1 .LBB22_56
.LBB22_43:                              ;   Parent Loop BB22_5 Depth=1
                                        ; =>  This Loop Header: Depth=2
                                        ;       Child Loop BB22_44 Depth 3
                                        ;       Child Loop BB22_46 Depth 3
                                        ;         Child Loop BB22_47 Depth 4
                                        ;       Child Loop BB22_52 Depth 3
                                        ;         Child Loop BB22_54 Depth 4
	s_ashr_i32 s11, s10, 31
	s_mov_b64 s[12:13], 0
	s_wait_xcnt 0x0
	v_lshl_add_u64 v[36:37], s[10:11], 2, v[34:35]
.LBB22_44:                              ;   Parent Loop BB22_5 Depth=1
                                        ;     Parent Loop BB22_43 Depth=2
                                        ; =>    This Inner Loop Header: Depth=3
	global_load_b32 v38, v[36:37], off
	s_wait_xcnt 0x0
	v_add_nc_u64_e32 v[36:37], -4, v[36:37]
	s_mov_b32 m0, s12
	s_add_nc_u64 s[12:13], s[12:13], 1
	s_delay_alu instid0(SALU_CYCLE_1) | instskip(SKIP_2) | instid1(VALU_DEP_1)
	s_cmp_eq_u32 s27, s12
	s_wait_loadcnt 0x0
	v_mul_f32_e32 v38, s31, v38
	v_movreld_b32_e32 v2, v38
	s_cbranch_scc0 .LBB22_44
; %bb.45:                               ;   in Loop: Header=BB22_43 Depth=2
	s_cmp_le_i32 s34, s10
	s_mov_b32 s22, s28
	s_mov_b32 s12, s34
	s_cbranch_scc1 .LBB22_49
.LBB22_46:                              ;   Parent Loop BB22_5 Depth=1
                                        ;     Parent Loop BB22_43 Depth=2
                                        ; =>    This Loop Header: Depth=3
                                        ;         Child Loop BB22_47 Depth 4
	s_ashr_i32 s13, s12, 31
	s_mov_b64 s[14:15], 0
	v_lshl_add_u64 v[36:37], s[12:13], 2, v[70:71]
	s_mov_b32 s13, s22
	global_load_b32 v36, v[36:37], off
.LBB22_47:                              ;   Parent Loop BB22_5 Depth=1
                                        ;     Parent Loop BB22_43 Depth=2
                                        ;       Parent Loop BB22_46 Depth=3
                                        ; =>      This Inner Loop Header: Depth=4
	s_wait_xcnt 0x0
	v_mov_b32_e32 v37, s13
	s_mov_b32 m0, s14
	s_add_nc_u64 s[14:15], s[14:15], 1
	v_movrels_b32_e32 v38, v2
	s_add_co_i32 s13, s13, -4
	ds_load_b32 v37, v37
	s_cmp_eq_u32 s27, s14
	s_wait_loadcnt_dscnt 0x0
	v_fma_f32 v37, -v36, v37, v38
	s_delay_alu instid0(VALU_DEP_1)
	v_movreld_b32_e32 v2, v37
	s_cbranch_scc0 .LBB22_47
; %bb.48:                               ;   in Loop: Header=BB22_46 Depth=3
	s_add_co_i32 s12, s12, -1
	s_addk_co_i32 s22, 0xffb0
	s_cmp_le_i32 s12, s10
	s_cbranch_scc0 .LBB22_46
.LBB22_49:                              ;   in Loop: Header=BB22_43 Depth=2
	s_mov_b64 s[12:13], 0
	s_mov_b32 s45, s43
	s_branch .LBB22_52
.LBB22_50:                              ;   in Loop: Header=BB22_52 Depth=3
	s_mov_b32 s14, s10
	s_mov_b64 s[24:25], 0
	s_mov_b64 s[22:23], s[10:11]
.LBB22_51:                              ;   in Loop: Header=BB22_52 Depth=3
	s_mulk_i32 s14, 0x54
	s_mov_b32 m0, s24
	s_wait_xcnt 0x0
	v_mov_b32_e32 v36, s14
	v_movrels_b32_e32 v37, v2
	s_add_nc_u64 s[12:13], s[12:13], 1
	s_add_co_i32 s45, s45, -4
	s_cmp_eq_u32 s12, s27
	ds_load_b32 v36, v36
	s_wait_dscnt 0x0
	v_mul_f32_e32 v38, v37, v36
	v_lshl_add_u64 v[36:37], s[22:23], 2, v[70:71]
	s_delay_alu instid0(VALU_DEP_2)
	v_movreld_b32_e32 v2, v38
	global_store_b32 v[36:37], v38, off
	s_cbranch_scc1 .LBB22_42
.LBB22_52:                              ;   Parent Loop BB22_5 Depth=1
                                        ;     Parent Loop BB22_43 Depth=2
                                        ; =>    This Loop Header: Depth=3
                                        ;         Child Loop BB22_54 Depth 4
	s_cmp_eq_u32 s12, 0
	s_cbranch_scc1 .LBB22_50
; %bb.53:                               ;   in Loop: Header=BB22_52 Depth=3
	s_mov_b64 s[14:15], 0
	s_mov_b32 s22, s45
.LBB22_54:                              ;   Parent Loop BB22_5 Depth=1
                                        ;     Parent Loop BB22_43 Depth=2
                                        ;       Parent Loop BB22_52 Depth=3
                                        ; =>      This Inner Loop Header: Depth=4
	s_wait_xcnt 0x0
	v_mov_b32_e32 v36, s22
	s_mov_b32 m0, s14
	s_add_nc_u64 s[14:15], s[14:15], 1
	v_movrels_b32_e32 v37, v2
	s_mov_b32 m0, s12
	ds_load_b32 v36, v36
	v_movrels_b32_e32 v38, v2
	s_addk_co_i32 s22, 0xffb0
	s_cmp_eq_u32 s12, s14
	s_wait_dscnt 0x0
	s_delay_alu instid0(VALU_DEP_1) | instskip(NEXT) | instid1(VALU_DEP_1)
	v_fma_f32 v36, -v37, v36, v38
	v_movreld_b32_e32 v2, v36
	s_cbranch_scc0 .LBB22_54
; %bb.55:                               ;   in Loop: Header=BB22_52 Depth=3
	s_sub_co_i32 s14, s10, s12
	s_mov_b64 s[24:25], s[12:13]
	s_ashr_i32 s15, s14, 31
	s_delay_alu instid0(SALU_CYCLE_1)
	s_mov_b64 s[22:23], s[14:15]
	s_branch .LBB22_51
.LBB22_56:                              ;   Parent Loop BB22_5 Depth=1
                                        ; =>  This Inner Loop Header: Depth=2
	s_cmp_gt_i32 s10, -1
	s_cselect_b32 s12, -1, 0
	s_add_co_i32 s11, s3, 1
	s_cmp_lt_u32 s3, 2
	s_cselect_b32 s3, -1, 0
	s_delay_alu instid0(SALU_CYCLE_1) | instskip(NEXT) | instid1(SALU_CYCLE_1)
	s_and_b32 s3, s12, s3
	s_and_not1_b32 vcc_lo, exec_lo, s3
	s_cbranch_vccnz .LBB22_2
; %bb.57:                               ;   in Loop: Header=BB22_56 Depth=2
	s_mov_b32 s3, s11
	s_load_b32 s18, s[16:17], s3 offset:0x0 scale_offset
	s_wait_kmcnt 0x0
	s_add_co_i32 s26, s18, -1
	s_delay_alu instid0(SALU_CYCLE_1)
	s_cmp_lt_i32 s10, s26
	s_cbranch_scc0 .LBB22_41
	s_branch .LBB22_56
.LBB22_58:
	s_sendmsg sendmsg(MSG_DEALLOC_VGPRS)
	s_endpgm
	.section	.rodata,"a",@progbits
	.p2align	6, 0x0
	.amdhsa_kernel _ZL30rocblas_trsm_small_left_deviceILi20ELi20ELb0EffPKfPfEv13rocblas_fill_18rocblas_operation_17rocblas_diagonal_iiT3_T4_lilT5_lili
		.amdhsa_group_segment_fixed_size 1600
		.amdhsa_private_segment_fixed_size 0
		.amdhsa_kernarg_size 352
		.amdhsa_user_sgpr_count 2
		.amdhsa_user_sgpr_dispatch_ptr 0
		.amdhsa_user_sgpr_queue_ptr 0
		.amdhsa_user_sgpr_kernarg_segment_ptr 1
		.amdhsa_user_sgpr_dispatch_id 0
		.amdhsa_user_sgpr_kernarg_preload_length 0
		.amdhsa_user_sgpr_kernarg_preload_offset 0
		.amdhsa_user_sgpr_private_segment_size 0
		.amdhsa_wavefront_size32 1
		.amdhsa_uses_dynamic_stack 0
		.amdhsa_enable_private_segment 0
		.amdhsa_system_sgpr_workgroup_id_x 1
		.amdhsa_system_sgpr_workgroup_id_y 0
		.amdhsa_system_sgpr_workgroup_id_z 1
		.amdhsa_system_sgpr_workgroup_info 0
		.amdhsa_system_vgpr_workitem_id 0
		.amdhsa_next_free_vgpr 79
		.amdhsa_next_free_sgpr 47
		.amdhsa_named_barrier_count 0
		.amdhsa_reserve_vcc 1
		.amdhsa_float_round_mode_32 0
		.amdhsa_float_round_mode_16_64 0
		.amdhsa_float_denorm_mode_32 3
		.amdhsa_float_denorm_mode_16_64 3
		.amdhsa_fp16_overflow 0
		.amdhsa_memory_ordered 1
		.amdhsa_forward_progress 1
		.amdhsa_inst_pref_size 19
		.amdhsa_round_robin_scheduling 0
		.amdhsa_exception_fp_ieee_invalid_op 0
		.amdhsa_exception_fp_denorm_src 0
		.amdhsa_exception_fp_ieee_div_zero 0
		.amdhsa_exception_fp_ieee_overflow 0
		.amdhsa_exception_fp_ieee_underflow 0
		.amdhsa_exception_fp_ieee_inexact 0
		.amdhsa_exception_int_div_zero 0
	.end_amdhsa_kernel
	.section	.text._ZL30rocblas_trsm_small_left_deviceILi20ELi20ELb0EffPKfPfEv13rocblas_fill_18rocblas_operation_17rocblas_diagonal_iiT3_T4_lilT5_lili,"axG",@progbits,_ZL30rocblas_trsm_small_left_deviceILi20ELi20ELb0EffPKfPfEv13rocblas_fill_18rocblas_operation_17rocblas_diagonal_iiT3_T4_lilT5_lili,comdat
.Lfunc_end22:
	.size	_ZL30rocblas_trsm_small_left_deviceILi20ELi20ELb0EffPKfPfEv13rocblas_fill_18rocblas_operation_17rocblas_diagonal_iiT3_T4_lilT5_lili, .Lfunc_end22-_ZL30rocblas_trsm_small_left_deviceILi20ELi20ELb0EffPKfPfEv13rocblas_fill_18rocblas_operation_17rocblas_diagonal_iiT3_T4_lilT5_lili
                                        ; -- End function
	.set _ZL30rocblas_trsm_small_left_deviceILi20ELi20ELb0EffPKfPfEv13rocblas_fill_18rocblas_operation_17rocblas_diagonal_iiT3_T4_lilT5_lili.num_vgpr, 79
	.set _ZL30rocblas_trsm_small_left_deviceILi20ELi20ELb0EffPKfPfEv13rocblas_fill_18rocblas_operation_17rocblas_diagonal_iiT3_T4_lilT5_lili.num_agpr, 0
	.set _ZL30rocblas_trsm_small_left_deviceILi20ELi20ELb0EffPKfPfEv13rocblas_fill_18rocblas_operation_17rocblas_diagonal_iiT3_T4_lilT5_lili.numbered_sgpr, 47
	.set _ZL30rocblas_trsm_small_left_deviceILi20ELi20ELb0EffPKfPfEv13rocblas_fill_18rocblas_operation_17rocblas_diagonal_iiT3_T4_lilT5_lili.num_named_barrier, 0
	.set _ZL30rocblas_trsm_small_left_deviceILi20ELi20ELb0EffPKfPfEv13rocblas_fill_18rocblas_operation_17rocblas_diagonal_iiT3_T4_lilT5_lili.private_seg_size, 0
	.set _ZL30rocblas_trsm_small_left_deviceILi20ELi20ELb0EffPKfPfEv13rocblas_fill_18rocblas_operation_17rocblas_diagonal_iiT3_T4_lilT5_lili.uses_vcc, 1
	.set _ZL30rocblas_trsm_small_left_deviceILi20ELi20ELb0EffPKfPfEv13rocblas_fill_18rocblas_operation_17rocblas_diagonal_iiT3_T4_lilT5_lili.uses_flat_scratch, 0
	.set _ZL30rocblas_trsm_small_left_deviceILi20ELi20ELb0EffPKfPfEv13rocblas_fill_18rocblas_operation_17rocblas_diagonal_iiT3_T4_lilT5_lili.has_dyn_sized_stack, 0
	.set _ZL30rocblas_trsm_small_left_deviceILi20ELi20ELb0EffPKfPfEv13rocblas_fill_18rocblas_operation_17rocblas_diagonal_iiT3_T4_lilT5_lili.has_recursion, 0
	.set _ZL30rocblas_trsm_small_left_deviceILi20ELi20ELb0EffPKfPfEv13rocblas_fill_18rocblas_operation_17rocblas_diagonal_iiT3_T4_lilT5_lili.has_indirect_call, 0
	.section	.AMDGPU.csdata,"",@progbits
; Kernel info:
; codeLenInByte = 2324
; TotalNumSgprs: 49
; NumVgprs: 79
; ScratchSize: 0
; MemoryBound: 0
; FloatMode: 240
; IeeeMode: 1
; LDSByteSize: 1600 bytes/workgroup (compile time only)
; SGPRBlocks: 0
; VGPRBlocks: 4
; NumSGPRsForWavesPerEU: 49
; NumVGPRsForWavesPerEU: 79
; NamedBarCnt: 0
; Occupancy: 12
; WaveLimiterHint : 0
; COMPUTE_PGM_RSRC2:SCRATCH_EN: 0
; COMPUTE_PGM_RSRC2:USER_SGPR: 2
; COMPUTE_PGM_RSRC2:TRAP_HANDLER: 0
; COMPUTE_PGM_RSRC2:TGID_X_EN: 1
; COMPUTE_PGM_RSRC2:TGID_Y_EN: 0
; COMPUTE_PGM_RSRC2:TGID_Z_EN: 1
; COMPUTE_PGM_RSRC2:TIDIG_COMP_CNT: 0
	.section	.text._ZL38rocblas_trsm_small_left_device_sharedBILi20ELi20ELb1EffPKfPfEv13rocblas_fill_18rocblas_operation_17rocblas_diagonal_iiT3_T4_lilT5_lili,"axG",@progbits,_ZL38rocblas_trsm_small_left_device_sharedBILi20ELi20ELb1EffPKfPfEv13rocblas_fill_18rocblas_operation_17rocblas_diagonal_iiT3_T4_lilT5_lili,comdat
	.globl	_ZL38rocblas_trsm_small_left_device_sharedBILi20ELi20ELb1EffPKfPfEv13rocblas_fill_18rocblas_operation_17rocblas_diagonal_iiT3_T4_lilT5_lili ; -- Begin function _ZL38rocblas_trsm_small_left_device_sharedBILi20ELi20ELb1EffPKfPfEv13rocblas_fill_18rocblas_operation_17rocblas_diagonal_iiT3_T4_lilT5_lili
	.p2align	8
	.type	_ZL38rocblas_trsm_small_left_device_sharedBILi20ELi20ELb1EffPKfPfEv13rocblas_fill_18rocblas_operation_17rocblas_diagonal_iiT3_T4_lilT5_lili,@function
_ZL38rocblas_trsm_small_left_device_sharedBILi20ELi20ELb1EffPKfPfEv13rocblas_fill_18rocblas_operation_17rocblas_diagonal_iiT3_T4_lilT5_lili: ; @_ZL38rocblas_trsm_small_left_device_sharedBILi20ELi20ELb1EffPKfPfEv13rocblas_fill_18rocblas_operation_17rocblas_diagonal_iiT3_T4_lilT5_lili
; %bb.0:
	s_load_b32 s19, s[0:1], 0x58
	s_bfe_u32 s2, ttmp6, 0x40014
	s_lshr_b32 s3, ttmp7, 16
	s_add_co_i32 s2, s2, 1
	s_bfe_u32 s5, ttmp6, 0x40008
	s_mul_i32 s2, s3, s2
	s_getreg_b32 s4, hwreg(HW_REG_IB_STS2, 6, 4)
	s_add_co_i32 s5, s5, s2
	s_cmp_eq_u32 s4, 0
	s_cselect_b32 s2, s3, s5
	s_mov_b32 s3, 0
	s_wait_kmcnt 0x0
	s_cmp_ge_u32 s2, s19
	s_cbranch_scc1 .LBB23_71
; %bb.1:
	s_clause 0x4
	s_load_b32 s22, s[0:1], 0x28
	s_load_b96 s[16:18], s[0:1], 0x40
	s_load_b128 s[8:11], s[0:1], 0x4
	s_load_b32 s5, s[0:1], 0x60
	s_load_b32 s20, s[0:1], 0x14
	v_dual_mov_b32 v67, 0 :: v_dual_lshlrev_b32 v66, 2, v0
	v_mul_u32_u24_e32 v22, 0x50, v0
	s_load_b64 s[36:37], s[0:1], 0x50
	s_delay_alu instid0(VALU_DEP_2)
	v_dual_mov_b32 v3, v67 :: v_dual_add_nc_u32 v72, 0x640, v66
	v_dual_mov_b32 v2, v67 :: v_dual_mov_b32 v4, v67
	v_dual_mov_b32 v5, v67 :: v_dual_mov_b32 v6, v67
	;; [unrolled: 1-line block ×4, first 2 shown]
	s_wait_kmcnt 0x0
	s_ashr_i32 s23, s22, 31
	v_dual_mov_b32 v11, v67 :: v_dual_mov_b32 v12, v67
	s_cmp_eq_u64 s[22:23], 1
	v_dual_mov_b32 v13, v67 :: v_dual_mov_b32 v14, v67
	s_cselect_b32 s21, -1, 0
	s_bfe_u32 s6, ttmp6, 0x4000c
	s_min_i32 s24, s10, 20
	s_add_co_i32 s6, s6, 1
	s_add_co_i32 s12, s5, -1
	s_and_b32 s5, ttmp6, 15
	s_mul_i32 s6, ttmp9, s6
	s_ashr_i32 s38, s18, 31
	s_add_co_i32 s25, s24, -1
	s_add_co_i32 s5, s5, s6
	s_cmp_eq_u32 s4, 0
	v_dual_mov_b32 v15, v67 :: v_dual_mov_b32 v16, v67
	s_cselect_b32 s13, ttmp9, s5
	s_load_b128 s[4:7], s[0:1], 0x18
	s_mul_i32 s14, s13, 0xffffffec
	s_mul_i32 s34, s13, 20
	s_add_co_i32 s11, s11, s14
	s_cmp_ge_u32 s13, s12
	s_load_b128 s[12:15], s[0:1], 0x30
	s_cselect_b32 s11, s11, 20
	s_ashr_i32 s35, s34, 31
	s_cmp_lg_u32 s9, 0x84
	v_cmp_gt_i32_e32 vcc_lo, s11, v0
	s_cselect_b32 s26, -1, 0
	s_cmp_gt_i32 s10, 0
	v_lshl_add_u64 v[18:19], s[34:35], 2, v[66:67]
	s_cselect_b32 s9, -1, 0
	s_cmp_lg_u32 s8, 0x6f
	v_mov_b32_e32 v21, v67
	s_wait_xcnt 0x0
	s_cselect_b32 s1, -1, 0
	s_and_b32 s27, vcc_lo, s9
	s_cmp_gt_u32 s24, 1
	v_mov_b32_e32 v20, v67
	s_cselect_b32 s0, -1, 0
	s_and_b32 s28, s24, -2
	s_and_b32 s29, s0, s21
	s_cmp_lg_u32 s24, s28
	v_cmp_gt_i32_e64 s0, s24, v0
	s_cselect_b32 s30, -1, 0
	s_cmp_gt_i32 s10, 1
	s_mov_b32 s21, s20
	s_cselect_b32 s31, -1, 0
	s_and_b32 s33, s24, 30
	s_delay_alu instid0(SALU_CYCLE_1)
	s_cmp_lg_u32 s24, s33
	s_cselect_b32 s34, -1, 0
	s_lshl_b64 s[8:9], s[16:17], 2
	s_lshl_b64 s[10:11], s[36:37], 2
	s_wait_kmcnt 0x0
	s_add_nc_u64 s[8:9], s[14:15], s[8:9]
	s_delay_alu instid0(SALU_CYCLE_1)
	v_mad_nc_u64_u32 v[68:69], v18, s18, s[8:9]
	s_lshl_b64 s[8:9], s[6:7], 2
	s_lshl_b64 s[6:7], s[12:13], 2
	s_add_nc_u64 s[8:9], s[4:5], s[8:9]
	s_lshl_b64 s[4:5], s[22:23], 2
	v_add_nc_u64_e32 v[0:1], s[8:9], v[66:67]
	s_get_pc_i64 s[8:9]
	s_add_nc_u64 s[8:9], s[8:9], __const._ZL38rocblas_trsm_small_left_device_sharedBILi20ELi20ELb1EffPKfPfEv13rocblas_fill_18rocblas_operation_17rocblas_diagonal_iiT3_T4_lilT5_lili.step_sizes@rel64+4
	s_delay_alu instid0(VALU_DEP_2) | instskip(SKIP_2) | instid1(SALU_CYCLE_1)
	v_mad_u32 v17, v19, s18, v69
	v_mov_b32_e32 v19, v67
	s_lshl_b32 s18, s24, 2
	s_add_co_i32 s18, s18, -4
	s_delay_alu instid0(VALU_DEP_2)
	v_mad_u32 v69, v18, s38, v17
	v_dual_mov_b32 v17, v67 :: v_dual_mov_b32 v18, v67
	v_add_nc_u32_e32 v67, v66, v22
	s_branch .LBB23_3
.LBB23_2:                               ;   in Loop: Header=BB23_3 Depth=1
	s_or_b32 exec_lo, exec_lo, s14
	s_add_co_i32 s2, s2, 0x10000
	s_delay_alu instid0(SALU_CYCLE_1)
	s_cmp_lt_u32 s2, s19
	s_cbranch_scc0 .LBB23_71
.LBB23_3:                               ; =>This Loop Header: Depth=1
                                        ;     Child Loop BB23_6 Depth 2
                                        ;     Child Loop BB23_10 Depth 2
	;; [unrolled: 1-line block ×5, first 2 shown]
                                        ;       Child Loop BB23_27 Depth 3
                                        ;       Child Loop BB23_29 Depth 3
                                        ;         Child Loop BB23_30 Depth 4
                                        ;       Child Loop BB23_35 Depth 3
                                        ;         Child Loop BB23_37 Depth 4
                                        ;     Child Loop BB23_39 Depth 2
                                        ;     Child Loop BB23_44 Depth 2
                                        ;       Child Loop BB23_47 Depth 3
                                        ;         Child Loop BB23_48 Depth 4
                                        ;         Child Loop BB23_51 Depth 4
                                        ;           Child Loop BB23_52 Depth 5
                                        ;         Child Loop BB23_57 Depth 4
                                        ;           Child Loop BB23_59 Depth 5
                                        ;     Child Loop BB23_66 Depth 2
                                        ;     Child Loop BB23_70 Depth 2
	s_and_saveexec_b32 s16, s0
	s_cbranch_execz .LBB23_14
; %bb.4:                                ;   in Loop: Header=BB23_3 Depth=1
	s_and_not1_b32 vcc_lo, exec_lo, s29
	s_mul_u64 s[12:13], s[6:7], s[2:3]
	s_cbranch_vccnz .LBB23_8
; %bb.5:                                ;   in Loop: Header=BB23_3 Depth=1
	v_add_nc_u64_e32 v[34:35], s[12:13], v[0:1]
	s_mov_b32 s15, 1
	s_mov_b32 s17, 0
	;; [unrolled: 1-line block ×3, first 2 shown]
.LBB23_6:                               ;   Parent Loop BB23_3 Depth=1
                                        ; =>  This Inner Loop Header: Depth=2
	global_load_b64 v[36:37], v[34:35], off
	v_mad_u32 v38, 0x50, s17, v66
	v_mad_u32 v39, 0x50, s15, v66
	s_wait_xcnt 0x0
	v_add_nc_u64_e32 v[34:35], 8, v[34:35]
	s_add_co_i32 s22, s22, -2
	s_add_co_i32 s17, s17, 2
	s_add_co_i32 s15, s15, 2
	s_mov_b32 s14, s28
	s_mov_b32 s23, s30
	s_cmp_lg_u32 s22, 0
	s_wait_loadcnt 0x0
	ds_store_b32 v38, v36
	ds_store_b32 v39, v37
	s_cbranch_scc1 .LBB23_6
; %bb.7:                                ;   in Loop: Header=BB23_3 Depth=1
	s_and_b32 vcc_lo, exec_lo, s23
	s_cbranch_vccnz .LBB23_9
	s_branch .LBB23_11
.LBB23_8:                               ;   in Loop: Header=BB23_3 Depth=1
	s_wait_xcnt 0x0
	s_mov_b32 s14, 0
	s_cbranch_execz .LBB23_11
.LBB23_9:                               ;   in Loop: Header=BB23_3 Depth=1
	s_mov_b32 s15, s3
	v_mad_u32 v36, 0x50, s14, v66
	s_mul_u64 s[22:23], s[4:5], s[14:15]
	s_delay_alu instid0(SALU_CYCLE_1) | instskip(NEXT) | instid1(SALU_CYCLE_1)
	s_add_nc_u64 s[12:13], s[22:23], s[12:13]
	v_add_nc_u64_e32 v[34:35], s[12:13], v[0:1]
	s_sub_co_i32 s12, s24, s14
.LBB23_10:                              ;   Parent Loop BB23_3 Depth=1
                                        ; =>  This Inner Loop Header: Depth=2
	global_load_b32 v37, v[34:35], off
	s_wait_xcnt 0x0
	v_add_nc_u64_e32 v[34:35], s[4:5], v[34:35]
	s_add_co_i32 s12, s12, -1
	s_delay_alu instid0(SALU_CYCLE_1)
	s_cmp_eq_u32 s12, 0
	s_wait_loadcnt 0x0
	ds_store_b32 v36, v37
	v_add_nc_u32_e32 v36, 0x50, v36
	s_cbranch_scc0 .LBB23_10
.LBB23_11:                              ;   in Loop: Header=BB23_3 Depth=1
	v_mov_b32_e32 v34, 1.0
	s_and_b32 vcc_lo, exec_lo, s26
	s_cbranch_vccz .LBB23_13
; %bb.12:                               ;   in Loop: Header=BB23_3 Depth=1
	ds_load_b32 v34, v67
	s_wait_dscnt 0x0
	v_div_scale_f32 v35, null, v34, v34, 1.0
	s_delay_alu instid0(VALU_DEP_1) | instskip(SKIP_1) | instid1(TRANS32_DEP_1)
	v_rcp_f32_e32 v36, v35
	v_nop
	v_fma_f32 v37, -v35, v36, 1.0
	s_delay_alu instid0(VALU_DEP_1) | instskip(SKIP_1) | instid1(VALU_DEP_1)
	v_fmac_f32_e32 v36, v37, v36
	v_div_scale_f32 v37, vcc_lo, 1.0, v34, 1.0
	v_mul_f32_e32 v38, v37, v36
	s_delay_alu instid0(VALU_DEP_1) | instskip(NEXT) | instid1(VALU_DEP_1)
	v_fma_f32 v39, -v35, v38, v37
	v_fmac_f32_e32 v38, v39, v36
	s_delay_alu instid0(VALU_DEP_1) | instskip(NEXT) | instid1(VALU_DEP_1)
	v_fma_f32 v35, -v35, v38, v37
	v_div_fmas_f32 v35, v35, v36, v38
	s_delay_alu instid0(VALU_DEP_1)
	v_div_fixup_f32 v34, v35, v34, 1.0
.LBB23_13:                              ;   in Loop: Header=BB23_3 Depth=1
	ds_store_b32 v67, v34
.LBB23_14:                              ;   in Loop: Header=BB23_3 Depth=1
	s_or_b32 exec_lo, exec_lo, s16
	s_mul_u64 s[12:13], s[10:11], s[2:3]
	s_delay_alu instid0(VALU_DEP_3) | instid1(SALU_CYCLE_1)
	v_add_nc_u64_e32 v[70:71], s[12:13], v[68:69]
	s_and_saveexec_b32 s14, s27
	s_cbranch_execz .LBB23_22
; %bb.15:                               ;   in Loop: Header=BB23_3 Depth=1
	s_and_not1_b32 vcc_lo, exec_lo, s31
	s_cbranch_vccnz .LBB23_19
; %bb.16:                               ;   in Loop: Header=BB23_3 Depth=1
	s_delay_alu instid0(VALU_DEP_1)
	v_mov_b64_e32 v[34:35], v[70:71]
	s_mov_b32 s15, 1
	s_mov_b32 s16, 0
	;; [unrolled: 1-line block ×3, first 2 shown]
.LBB23_17:                              ;   Parent Loop BB23_3 Depth=1
                                        ; =>  This Inner Loop Header: Depth=2
	global_load_b64 v[36:37], v[34:35], off
	v_mov_b64_e32 v[38:39], s[20:21]
	v_mad_u32 v40, 0x50, s16, v72
	v_mad_u32 v41, 0x50, s15, v72
	s_wait_xcnt 0x0
	v_add_nc_u64_e32 v[34:35], 8, v[34:35]
	s_add_co_i32 s17, s17, -2
	s_add_co_i32 s16, s16, 2
	s_add_co_i32 s15, s15, 2
	s_mov_b32 s22, s33
	s_mov_b32 s23, s34
	s_cmp_lg_u32 s17, 0
	s_wait_loadcnt 0x0
	v_pk_mul_f32 v[36:37], v[38:39], v[36:37]
	ds_store_b32 v40, v36
	ds_store_b32 v41, v37
	s_cbranch_scc1 .LBB23_17
; %bb.18:                               ;   in Loop: Header=BB23_3 Depth=1
	s_and_b32 vcc_lo, exec_lo, s23
	s_cbranch_vccnz .LBB23_20
	s_branch .LBB23_22
.LBB23_19:                              ;   in Loop: Header=BB23_3 Depth=1
	s_wait_xcnt 0x0
	s_mov_b32 s22, 0
	s_cbranch_execz .LBB23_22
.LBB23_20:                              ;   in Loop: Header=BB23_3 Depth=1
	s_lshl_b32 s16, s22, 2
	s_mov_b32 s17, s3
	v_mad_u32 v36, 0x50, s22, v72
	s_add_nc_u64 s[16:17], s[12:13], s[16:17]
	s_sub_co_i32 s15, s24, s22
	v_add_nc_u64_e32 v[34:35], s[16:17], v[68:69]
.LBB23_21:                              ;   Parent Loop BB23_3 Depth=1
                                        ; =>  This Inner Loop Header: Depth=2
	global_load_b32 v37, v[34:35], off
	s_wait_xcnt 0x0
	v_add_nc_u64_e32 v[34:35], 4, v[34:35]
	s_add_co_i32 s15, s15, -1
	s_delay_alu instid0(SALU_CYCLE_1)
	s_cmp_lg_u32 s15, 0
	s_wait_loadcnt 0x0
	v_mul_f32_e32 v37, s20, v37
	ds_store_b32 v36, v37
	v_add_nc_u32_e32 v36, 0x50, v36
	s_cbranch_scc1 .LBB23_21
.LBB23_22:                              ;   in Loop: Header=BB23_3 Depth=1
	s_or_b32 exec_lo, exec_lo, s14
	s_delay_alu instid0(SALU_CYCLE_1)
	s_and_not1_b32 vcc_lo, exec_lo, s1
	s_mov_b32 s14, -1
	s_wait_dscnt 0x0
	; wave barrier
                                        ; implicit-def: $vgpr34_vgpr35_vgpr36_vgpr37_vgpr38_vgpr39_vgpr40_vgpr41_vgpr42_vgpr43_vgpr44_vgpr45_vgpr46_vgpr47_vgpr48_vgpr49_vgpr50_vgpr51_vgpr52_vgpr53_vgpr54_vgpr55_vgpr56_vgpr57_vgpr58_vgpr59_vgpr60_vgpr61_vgpr62_vgpr63_vgpr64_vgpr65
	s_cbranch_vccnz .LBB23_42
; %bb.23:                               ;   in Loop: Header=BB23_3 Depth=1
	v_mov_b64_e32 v[64:65], v[32:33]
	v_mov_b64_e32 v[62:63], v[30:31]
	v_mov_b64_e32 v[60:61], v[28:29]
	v_mov_b64_e32 v[58:59], v[26:27]
	v_mov_b64_e32 v[56:57], v[24:25]
	v_mov_b64_e32 v[54:55], v[22:23]
	v_mov_b64_e32 v[52:53], v[20:21]
	v_mov_b64_e32 v[50:51], v[18:19]
	v_mov_b64_e32 v[48:49], v[16:17]
	v_mov_b64_e32 v[46:47], v[14:15]
	v_mov_b64_e32 v[44:45], v[12:13]
	v_mov_b64_e32 v[42:43], v[10:11]
	v_mov_b64_e32 v[40:41], v[8:9]
	v_mov_b64_e32 v[38:39], v[6:7]
	v_mov_b64_e32 v[36:37], v[4:5]
	v_mov_b64_e32 v[34:35], v[2:3]
	s_wait_xcnt 0x0
	s_mov_b32 s23, 0
	s_mov_b32 s22, s25
	s_load_b32 s35, s[8:9], s23 offset:0x0 scale_offset
	s_wait_kmcnt 0x0
	s_add_co_i32 s36, s35, -1
	s_delay_alu instid0(SALU_CYCLE_1)
	s_cmp_lt_i32 s22, s36
	s_cbranch_scc1 .LBB23_39
.LBB23_24:                              ;   in Loop: Header=BB23_3 Depth=1
	s_mul_i32 s14, s22, 0x50
	s_max_i32 s37, s35, 1
	v_add_nc_u32_e32 v73, s14, v72
	s_mul_i32 s38, s35, 0xffffffb0
	s_add_co_i32 s39, s18, s14
	s_mul_i32 s40, s22, 0x54
	s_mul_i32 s41, s35, 0xffffffac
	s_branch .LBB23_26
.LBB23_25:                              ;   in Loop: Header=BB23_26 Depth=2
	v_add_nc_u32_e32 v73, s38, v73
	s_sub_co_i32 s22, s22, s35
	s_add_co_i32 s39, s39, s38
	s_add_co_i32 s40, s40, s41
	s_cmp_lt_i32 s22, s36
	s_cbranch_scc1 .LBB23_39
.LBB23_26:                              ;   Parent Loop BB23_3 Depth=1
                                        ; =>  This Loop Header: Depth=2
                                        ;       Child Loop BB23_27 Depth 3
                                        ;       Child Loop BB23_29 Depth 3
                                        ;         Child Loop BB23_30 Depth 4
                                        ;       Child Loop BB23_35 Depth 3
                                        ;         Child Loop BB23_37 Depth 4
	v_mov_b32_e32 v74, v73
	s_mov_b64 s[14:15], 0
.LBB23_27:                              ;   Parent Loop BB23_3 Depth=1
                                        ;     Parent Loop BB23_26 Depth=2
                                        ; =>    This Inner Loop Header: Depth=3
	ds_load_b32 v75, v74
	v_add_nc_u32_e32 v74, 0xffffffb0, v74
	s_mov_b32 m0, s14
	s_add_nc_u64 s[14:15], s[14:15], 1
	s_delay_alu instid0(SALU_CYCLE_1)
	s_cmp_eq_u32 s37, s14
	s_wait_dscnt 0x0
	v_movreld_b32_e32 v34, v75
	s_cbranch_scc0 .LBB23_27
; %bb.28:                               ;   in Loop: Header=BB23_26 Depth=2
	s_cmp_le_i32 s25, s22
	s_mov_b32 s16, s39
	s_mov_b32 s17, s25
	s_cbranch_scc1 .LBB23_32
.LBB23_29:                              ;   Parent Loop BB23_3 Depth=1
                                        ;     Parent Loop BB23_26 Depth=2
                                        ; =>    This Loop Header: Depth=3
                                        ;         Child Loop BB23_30 Depth 4
	v_mad_u32 v74, 0x50, s17, v72
	s_mov_b64 s[14:15], 0
	s_mov_b32 s42, s16
	ds_load_b32 v74, v74
.LBB23_30:                              ;   Parent Loop BB23_3 Depth=1
                                        ;     Parent Loop BB23_26 Depth=2
                                        ;       Parent Loop BB23_29 Depth=3
                                        ; =>      This Inner Loop Header: Depth=4
	v_mov_b32_e32 v75, s42
	s_mov_b32 m0, s14
	s_add_nc_u64 s[14:15], s[14:15], 1
	v_movrels_b32_e32 v76, v34
	s_addk_co_i32 s42, 0xffb0
	ds_load_b32 v75, v75
	s_cmp_eq_u32 s37, s14
	s_wait_dscnt 0x0
	v_fma_f32 v75, -v74, v75, v76
	s_delay_alu instid0(VALU_DEP_1)
	v_movreld_b32_e32 v34, v75
	s_cbranch_scc0 .LBB23_30
; %bb.31:                               ;   in Loop: Header=BB23_29 Depth=3
	s_add_co_i32 s17, s17, -1
	s_add_co_i32 s16, s16, -4
	s_cmp_le_i32 s17, s22
	s_cbranch_scc0 .LBB23_29
.LBB23_32:                              ;   in Loop: Header=BB23_26 Depth=2
	s_mul_i32 s42, s22, 0x50
	s_mov_b64 s[14:15], 0
	s_mov_b32 s43, s40
	s_branch .LBB23_35
.LBB23_33:                              ;   in Loop: Header=BB23_35 Depth=3
	s_mov_b32 s45, s22
	s_mov_b64 s[16:17], 0
	s_mov_b32 s44, s42
.LBB23_34:                              ;   in Loop: Header=BB23_35 Depth=3
	s_mov_b32 m0, s16
	s_mul_i32 s16, s45, 0x54
	v_movrels_b32_e32 v75, v34
	v_mov_b32_e32 v74, s16
	s_add_nc_u64 s[14:15], s[14:15], 1
	s_addk_co_i32 s43, 0xffb0
	s_cmp_eq_u32 s14, s37
	ds_load_b32 v74, v74
	s_wait_dscnt 0x0
	v_dual_mul_f32 v74, v75, v74 :: v_dual_add_nc_u32 v75, s44, v72
	s_delay_alu instid0(VALU_DEP_1)
	v_movreld_b32_e32 v34, v74
	ds_store_b32 v75, v74
	s_cbranch_scc1 .LBB23_25
.LBB23_35:                              ;   Parent Loop BB23_3 Depth=1
                                        ;     Parent Loop BB23_26 Depth=2
                                        ; =>    This Loop Header: Depth=3
                                        ;         Child Loop BB23_37 Depth 4
	s_cmp_eq_u32 s14, 0
	s_cbranch_scc1 .LBB23_33
; %bb.36:                               ;   in Loop: Header=BB23_35 Depth=3
	s_sub_co_i32 s45, s22, s14
	s_mov_b64 s[16:17], 0
	s_mul_i32 s44, s45, 0x50
	s_mov_b32 s46, s43
.LBB23_37:                              ;   Parent Loop BB23_3 Depth=1
                                        ;     Parent Loop BB23_26 Depth=2
                                        ;       Parent Loop BB23_35 Depth=3
                                        ; =>      This Inner Loop Header: Depth=4
	s_delay_alu instid0(SALU_CYCLE_1)
	v_mov_b32_e32 v74, s46
	s_mov_b32 m0, s16
	s_add_nc_u64 s[16:17], s[16:17], 1
	v_movrels_b32_e32 v75, v34
	s_mov_b32 m0, s14
	ds_load_b32 v74, v74
	v_movrels_b32_e32 v76, v34
	s_add_co_i32 s46, s46, -4
	s_cmp_eq_u32 s14, s16
	s_wait_dscnt 0x0
	s_delay_alu instid0(VALU_DEP_1) | instskip(NEXT) | instid1(VALU_DEP_1)
	v_fma_f32 v74, -v75, v74, v76
	v_movreld_b32_e32 v34, v74
	s_cbranch_scc0 .LBB23_37
; %bb.38:                               ;   in Loop: Header=BB23_35 Depth=3
	s_mov_b64 s[16:17], s[14:15]
	s_branch .LBB23_34
.LBB23_39:                              ;   Parent Loop BB23_3 Depth=1
                                        ; =>  This Inner Loop Header: Depth=2
	s_cmp_gt_i32 s22, -1
	s_cselect_b32 s15, -1, 0
	s_add_co_i32 s14, s23, 1
	s_cmp_lt_u32 s23, 2
	s_cselect_b32 s16, -1, 0
	s_delay_alu instid0(SALU_CYCLE_1) | instskip(NEXT) | instid1(SALU_CYCLE_1)
	s_and_b32 s15, s15, s16
	s_and_b32 vcc_lo, exec_lo, s15
	s_cbranch_vccz .LBB23_41
; %bb.40:                               ;   in Loop: Header=BB23_39 Depth=2
	s_wait_xcnt 0x0
	s_mov_b32 s23, s14
	s_load_b32 s35, s[8:9], s23 offset:0x0 scale_offset
	s_wait_kmcnt 0x0
	s_add_co_i32 s36, s35, -1
	s_delay_alu instid0(SALU_CYCLE_1)
	s_cmp_lt_i32 s22, s36
	s_cbranch_scc0 .LBB23_24
	s_branch .LBB23_39
.LBB23_41:                              ;   in Loop: Header=BB23_3 Depth=1
	s_mov_b32 s14, 0
.LBB23_42:                              ;   in Loop: Header=BB23_3 Depth=1
	s_delay_alu instid0(SALU_CYCLE_1)
	s_and_b32 vcc_lo, exec_lo, s14
	s_cbranch_vccz .LBB23_63
; %bb.43:                               ;   in Loop: Header=BB23_3 Depth=1
	s_mov_b32 s22, 0
	s_wait_xcnt 0x0
	s_mov_b32 s23, 0
.LBB23_44:                              ;   Parent Loop BB23_3 Depth=1
                                        ; =>  This Loop Header: Depth=2
                                        ;       Child Loop BB23_47 Depth 3
                                        ;         Child Loop BB23_48 Depth 4
                                        ;         Child Loop BB23_51 Depth 4
                                        ;           Child Loop BB23_52 Depth 5
                                        ;         Child Loop BB23_57 Depth 4
                                        ;           Child Loop BB23_59 Depth 5
	s_load_b32 s35, s[8:9], s23 offset:0x0 scale_offset
	s_wait_kmcnt 0x0
	s_add_co_i32 s36, s35, -1
	s_delay_alu instid0(SALU_CYCLE_1) | instskip(NEXT) | instid1(SALU_CYCLE_1)
	s_add_co_i32 s14, s36, s22
	s_cmp_ge_i32 s14, s24
	s_cbranch_scc1 .LBB23_60
; %bb.45:                               ;   in Loop: Header=BB23_44 Depth=2
	v_mad_u32 v34, 0x50, s22, v72
	s_max_i32 s37, s35, 1
	s_mul_i32 s38, s35, 0x50
	s_lshl_b32 s39, s22, 2
	s_lshl_b32 s40, s35, 2
	s_mul_i32 s41, s22, 0x54
	s_mul_i32 s42, s35, 0x54
	s_branch .LBB23_47
.LBB23_46:                              ;   in Loop: Header=BB23_47 Depth=3
	s_add_co_i32 s22, s22, s35
	v_add_nc_u32_e32 v34, s38, v34
	s_add_co_i32 s14, s36, s22
	s_add_co_i32 s39, s39, s40
	s_add_co_i32 s41, s41, s42
	s_cmp_ge_i32 s14, s24
	s_cbranch_scc1 .LBB23_60
.LBB23_47:                              ;   Parent Loop BB23_3 Depth=1
                                        ;     Parent Loop BB23_44 Depth=2
                                        ; =>    This Loop Header: Depth=3
                                        ;         Child Loop BB23_48 Depth 4
                                        ;         Child Loop BB23_51 Depth 4
                                        ;           Child Loop BB23_52 Depth 5
                                        ;         Child Loop BB23_57 Depth 4
                                        ;           Child Loop BB23_59 Depth 5
	s_delay_alu instid0(VALU_DEP_1)
	v_mov_b32_e32 v35, v34
	s_mov_b64 s[14:15], 0
.LBB23_48:                              ;   Parent Loop BB23_3 Depth=1
                                        ;     Parent Loop BB23_44 Depth=2
                                        ;       Parent Loop BB23_47 Depth=3
                                        ; =>      This Inner Loop Header: Depth=4
	ds_load_b32 v36, v35
	v_add_nc_u32_e32 v35, 0x50, v35
	s_mov_b32 m0, s14
	s_add_nc_u64 s[14:15], s[14:15], 1
	s_delay_alu instid0(SALU_CYCLE_1)
	s_cmp_eq_u32 s37, s14
	s_wait_dscnt 0x0
	v_movreld_b32_e32 v2, v36
	s_cbranch_scc0 .LBB23_48
; %bb.49:                               ;   in Loop: Header=BB23_47 Depth=3
	s_cmp_lt_i32 s22, 1
	s_cbranch_scc1 .LBB23_54
; %bb.50:                               ;   in Loop: Header=BB23_47 Depth=3
	s_mov_b32 s16, 0
	s_mov_b32 s17, s39
.LBB23_51:                              ;   Parent Loop BB23_3 Depth=1
                                        ;     Parent Loop BB23_44 Depth=2
                                        ;       Parent Loop BB23_47 Depth=3
                                        ; =>      This Loop Header: Depth=4
                                        ;           Child Loop BB23_52 Depth 5
	v_mad_u32 v35, 0x50, s16, v72
	s_mov_b64 s[14:15], 0
	s_mov_b32 s43, s17
	ds_load_b32 v35, v35
.LBB23_52:                              ;   Parent Loop BB23_3 Depth=1
                                        ;     Parent Loop BB23_44 Depth=2
                                        ;       Parent Loop BB23_47 Depth=3
                                        ;         Parent Loop BB23_51 Depth=4
                                        ; =>        This Inner Loop Header: Depth=5
	v_mov_b32_e32 v36, s43
	s_mov_b32 m0, s14
	s_add_nc_u64 s[14:15], s[14:15], 1
	v_movrels_b32_e32 v37, v2
	s_add_co_i32 s43, s43, 4
	ds_load_b32 v36, v36
	s_cmp_eq_u32 s37, s14
	s_wait_dscnt 0x0
	v_fma_f32 v36, -v35, v36, v37
	s_delay_alu instid0(VALU_DEP_1)
	v_movreld_b32_e32 v2, v36
	s_cbranch_scc0 .LBB23_52
; %bb.53:                               ;   in Loop: Header=BB23_51 Depth=4
	s_add_co_i32 s16, s16, 1
	s_addk_co_i32 s17, 0x50
	s_cmp_eq_u32 s16, s22
	s_cbranch_scc0 .LBB23_51
.LBB23_54:                              ;   in Loop: Header=BB23_47 Depth=3
	s_mov_b64 s[14:15], 0
	s_mov_b32 s43, s41
	s_branch .LBB23_57
.LBB23_55:                              ;   in Loop: Header=BB23_57 Depth=4
	s_mov_b64 s[16:17], s[14:15]
.LBB23_56:                              ;   in Loop: Header=BB23_57 Depth=4
	s_delay_alu instid0(SALU_CYCLE_1)
	s_mov_b32 m0, s16
	s_add_co_i32 s16, s14, s22
	v_movrels_b32_e32 v36, v2
	s_mul_i32 s17, s16, 0x54
	v_mad_u32 v37, 0x50, s16, v72
	v_mov_b32_e32 v35, s17
	s_add_nc_u64 s[14:15], s[14:15], 1
	s_add_co_i32 s43, s43, 4
	s_cmp_eq_u32 s14, s37
	ds_load_b32 v35, v35
	s_wait_dscnt 0x0
	v_mul_f32_e32 v35, v36, v35
	s_delay_alu instid0(VALU_DEP_1)
	v_movreld_b32_e32 v2, v35
	ds_store_b32 v37, v35
	s_cbranch_scc1 .LBB23_46
.LBB23_57:                              ;   Parent Loop BB23_3 Depth=1
                                        ;     Parent Loop BB23_44 Depth=2
                                        ;       Parent Loop BB23_47 Depth=3
                                        ; =>      This Loop Header: Depth=4
                                        ;           Child Loop BB23_59 Depth 5
	s_mov_b64 s[16:17], 0
	s_cmp_eq_u32 s14, 0
	s_cbranch_scc1 .LBB23_56
; %bb.58:                               ;   in Loop: Header=BB23_57 Depth=4
	s_mov_b32 s44, s43
.LBB23_59:                              ;   Parent Loop BB23_3 Depth=1
                                        ;     Parent Loop BB23_44 Depth=2
                                        ;       Parent Loop BB23_47 Depth=3
                                        ;         Parent Loop BB23_57 Depth=4
                                        ; =>        This Inner Loop Header: Depth=5
	s_delay_alu instid0(SALU_CYCLE_1)
	v_mov_b32_e32 v35, s44
	s_mov_b32 m0, s16
	s_add_nc_u64 s[16:17], s[16:17], 1
	v_movrels_b32_e32 v36, v2
	s_mov_b32 m0, s14
	ds_load_b32 v35, v35
	v_movrels_b32_e32 v37, v2
	s_addk_co_i32 s44, 0x50
	s_cmp_eq_u32 s14, s16
	s_wait_dscnt 0x0
	s_delay_alu instid0(VALU_DEP_1) | instskip(NEXT) | instid1(VALU_DEP_1)
	v_fma_f32 v35, -v36, v35, v37
	v_movreld_b32_e32 v2, v35
	s_cbranch_scc0 .LBB23_59
	s_branch .LBB23_55
.LBB23_60:                              ;   in Loop: Header=BB23_44 Depth=2
	s_cmp_lt_i32 s22, s24
	s_cselect_b32 s15, -1, 0
	s_add_co_i32 s14, s23, 1
	s_cmp_lt_u32 s23, 2
	s_cselect_b32 s16, -1, 0
	s_delay_alu instid0(SALU_CYCLE_1) | instskip(NEXT) | instid1(SALU_CYCLE_1)
	s_and_b32 s15, s15, s16
	s_and_not1_b32 vcc_lo, exec_lo, s15
	s_cbranch_vccnz .LBB23_62
; %bb.61:                               ;   in Loop: Header=BB23_44 Depth=2
	s_wait_xcnt 0x0
	s_mov_b32 s23, s14
	s_branch .LBB23_44
.LBB23_62:                              ;   in Loop: Header=BB23_3 Depth=1
	v_mov_b64_e32 v[64:65], v[32:33]
	v_mov_b64_e32 v[62:63], v[30:31]
	;; [unrolled: 1-line block ×16, first 2 shown]
.LBB23_63:                              ;   in Loop: Header=BB23_3 Depth=1
	s_delay_alu instid0(VALU_DEP_1) | instskip(NEXT) | instid1(VALU_DEP_3)
	v_mov_b64_e32 v[2:3], v[34:35]
	v_mov_b64_e32 v[4:5], v[36:37]
	;; [unrolled: 1-line block ×16, first 2 shown]
	s_wait_dscnt 0x0
	; wave barrier
	s_and_saveexec_b32 s14, s27
	s_cbranch_execz .LBB23_2
; %bb.64:                               ;   in Loop: Header=BB23_3 Depth=1
	s_and_not1_b32 vcc_lo, exec_lo, s31
	s_cbranch_vccnz .LBB23_68
; %bb.65:                               ;   in Loop: Header=BB23_3 Depth=1
	s_mov_b32 s15, 1
	s_mov_b32 s16, 0
	;; [unrolled: 1-line block ×3, first 2 shown]
.LBB23_66:                              ;   Parent Loop BB23_3 Depth=1
                                        ; =>  This Inner Loop Header: Depth=2
	v_mad_u32 v34, 0x50, s16, v72
	v_mad_u32 v35, 0x50, s15, v72
	s_add_co_i32 s17, s17, -2
	s_add_co_i32 s16, s16, 2
	s_add_co_i32 s15, s15, 2
	s_mov_b32 s22, s33
	s_cmp_lg_u32 s17, 0
	s_wait_xcnt 0x0
	s_mov_b32 s23, s34
	ds_load_b32 v34, v34
	ds_load_b32 v35, v35
	s_wait_dscnt 0x0
	global_store_b64 v[70:71], v[34:35], off
	s_wait_xcnt 0x0
	v_add_nc_u64_e32 v[70:71], 8, v[70:71]
	s_cbranch_scc1 .LBB23_66
; %bb.67:                               ;   in Loop: Header=BB23_3 Depth=1
	s_and_b32 vcc_lo, exec_lo, s23
	s_cbranch_vccz .LBB23_2
	s_branch .LBB23_69
.LBB23_68:                              ;   in Loop: Header=BB23_3 Depth=1
	s_wait_xcnt 0x0
	s_mov_b32 s22, 0
	s_cbranch_execz .LBB23_2
.LBB23_69:                              ;   in Loop: Header=BB23_3 Depth=1
	s_lshl_b32 s16, s22, 2
	s_mov_b32 s17, s3
	v_mad_u32 v36, 0x50, s22, v72
	s_add_nc_u64 s[12:13], s[12:13], s[16:17]
	s_delay_alu instid0(SALU_CYCLE_1)
	v_add_nc_u64_e32 v[34:35], s[12:13], v[68:69]
	s_sub_co_i32 s12, s24, s22
.LBB23_70:                              ;   Parent Loop BB23_3 Depth=1
                                        ; =>  This Inner Loop Header: Depth=2
	ds_load_b32 v37, v36
	v_add_nc_u32_e32 v36, 0x50, v36
	s_add_co_i32 s12, s12, -1
	s_delay_alu instid0(SALU_CYCLE_1)
	s_cmp_lg_u32 s12, 0
	s_wait_dscnt 0x0
	global_store_b32 v[34:35], v37, off
	s_wait_xcnt 0x0
	v_add_nc_u64_e32 v[34:35], 4, v[34:35]
	s_cbranch_scc1 .LBB23_70
	s_branch .LBB23_2
.LBB23_71:
	s_sendmsg sendmsg(MSG_DEALLOC_VGPRS)
	s_endpgm
	.section	.rodata,"a",@progbits
	.p2align	6, 0x0
	.amdhsa_kernel _ZL38rocblas_trsm_small_left_device_sharedBILi20ELi20ELb1EffPKfPfEv13rocblas_fill_18rocblas_operation_17rocblas_diagonal_iiT3_T4_lilT5_lili
		.amdhsa_group_segment_fixed_size 3200
		.amdhsa_private_segment_fixed_size 0
		.amdhsa_kernarg_size 352
		.amdhsa_user_sgpr_count 2
		.amdhsa_user_sgpr_dispatch_ptr 0
		.amdhsa_user_sgpr_queue_ptr 0
		.amdhsa_user_sgpr_kernarg_segment_ptr 1
		.amdhsa_user_sgpr_dispatch_id 0
		.amdhsa_user_sgpr_kernarg_preload_length 0
		.amdhsa_user_sgpr_kernarg_preload_offset 0
		.amdhsa_user_sgpr_private_segment_size 0
		.amdhsa_wavefront_size32 1
		.amdhsa_uses_dynamic_stack 0
		.amdhsa_enable_private_segment 0
		.amdhsa_system_sgpr_workgroup_id_x 1
		.amdhsa_system_sgpr_workgroup_id_y 0
		.amdhsa_system_sgpr_workgroup_id_z 1
		.amdhsa_system_sgpr_workgroup_info 0
		.amdhsa_system_vgpr_workitem_id 0
		.amdhsa_next_free_vgpr 77
		.amdhsa_next_free_sgpr 47
		.amdhsa_named_barrier_count 0
		.amdhsa_reserve_vcc 1
		.amdhsa_float_round_mode_32 0
		.amdhsa_float_round_mode_16_64 0
		.amdhsa_float_denorm_mode_32 3
		.amdhsa_float_denorm_mode_16_64 3
		.amdhsa_fp16_overflow 0
		.amdhsa_memory_ordered 1
		.amdhsa_forward_progress 1
		.amdhsa_inst_pref_size 22
		.amdhsa_round_robin_scheduling 0
		.amdhsa_exception_fp_ieee_invalid_op 0
		.amdhsa_exception_fp_denorm_src 0
		.amdhsa_exception_fp_ieee_div_zero 0
		.amdhsa_exception_fp_ieee_overflow 0
		.amdhsa_exception_fp_ieee_underflow 0
		.amdhsa_exception_fp_ieee_inexact 0
		.amdhsa_exception_int_div_zero 0
	.end_amdhsa_kernel
	.section	.text._ZL38rocblas_trsm_small_left_device_sharedBILi20ELi20ELb1EffPKfPfEv13rocblas_fill_18rocblas_operation_17rocblas_diagonal_iiT3_T4_lilT5_lili,"axG",@progbits,_ZL38rocblas_trsm_small_left_device_sharedBILi20ELi20ELb1EffPKfPfEv13rocblas_fill_18rocblas_operation_17rocblas_diagonal_iiT3_T4_lilT5_lili,comdat
.Lfunc_end23:
	.size	_ZL38rocblas_trsm_small_left_device_sharedBILi20ELi20ELb1EffPKfPfEv13rocblas_fill_18rocblas_operation_17rocblas_diagonal_iiT3_T4_lilT5_lili, .Lfunc_end23-_ZL38rocblas_trsm_small_left_device_sharedBILi20ELi20ELb1EffPKfPfEv13rocblas_fill_18rocblas_operation_17rocblas_diagonal_iiT3_T4_lilT5_lili
                                        ; -- End function
	.set _ZL38rocblas_trsm_small_left_device_sharedBILi20ELi20ELb1EffPKfPfEv13rocblas_fill_18rocblas_operation_17rocblas_diagonal_iiT3_T4_lilT5_lili.num_vgpr, 77
	.set _ZL38rocblas_trsm_small_left_device_sharedBILi20ELi20ELb1EffPKfPfEv13rocblas_fill_18rocblas_operation_17rocblas_diagonal_iiT3_T4_lilT5_lili.num_agpr, 0
	.set _ZL38rocblas_trsm_small_left_device_sharedBILi20ELi20ELb1EffPKfPfEv13rocblas_fill_18rocblas_operation_17rocblas_diagonal_iiT3_T4_lilT5_lili.numbered_sgpr, 47
	.set _ZL38rocblas_trsm_small_left_device_sharedBILi20ELi20ELb1EffPKfPfEv13rocblas_fill_18rocblas_operation_17rocblas_diagonal_iiT3_T4_lilT5_lili.num_named_barrier, 0
	.set _ZL38rocblas_trsm_small_left_device_sharedBILi20ELi20ELb1EffPKfPfEv13rocblas_fill_18rocblas_operation_17rocblas_diagonal_iiT3_T4_lilT5_lili.private_seg_size, 0
	.set _ZL38rocblas_trsm_small_left_device_sharedBILi20ELi20ELb1EffPKfPfEv13rocblas_fill_18rocblas_operation_17rocblas_diagonal_iiT3_T4_lilT5_lili.uses_vcc, 1
	.set _ZL38rocblas_trsm_small_left_device_sharedBILi20ELi20ELb1EffPKfPfEv13rocblas_fill_18rocblas_operation_17rocblas_diagonal_iiT3_T4_lilT5_lili.uses_flat_scratch, 0
	.set _ZL38rocblas_trsm_small_left_device_sharedBILi20ELi20ELb1EffPKfPfEv13rocblas_fill_18rocblas_operation_17rocblas_diagonal_iiT3_T4_lilT5_lili.has_dyn_sized_stack, 0
	.set _ZL38rocblas_trsm_small_left_device_sharedBILi20ELi20ELb1EffPKfPfEv13rocblas_fill_18rocblas_operation_17rocblas_diagonal_iiT3_T4_lilT5_lili.has_recursion, 0
	.set _ZL38rocblas_trsm_small_left_device_sharedBILi20ELi20ELb1EffPKfPfEv13rocblas_fill_18rocblas_operation_17rocblas_diagonal_iiT3_T4_lilT5_lili.has_indirect_call, 0
	.section	.AMDGPU.csdata,"",@progbits
; Kernel info:
; codeLenInByte = 2816
; TotalNumSgprs: 49
; NumVgprs: 77
; ScratchSize: 0
; MemoryBound: 0
; FloatMode: 240
; IeeeMode: 1
; LDSByteSize: 3200 bytes/workgroup (compile time only)
; SGPRBlocks: 0
; VGPRBlocks: 4
; NumSGPRsForWavesPerEU: 49
; NumVGPRsForWavesPerEU: 77
; NamedBarCnt: 0
; Occupancy: 12
; WaveLimiterHint : 0
; COMPUTE_PGM_RSRC2:SCRATCH_EN: 0
; COMPUTE_PGM_RSRC2:USER_SGPR: 2
; COMPUTE_PGM_RSRC2:TRAP_HANDLER: 0
; COMPUTE_PGM_RSRC2:TGID_X_EN: 1
; COMPUTE_PGM_RSRC2:TGID_Y_EN: 0
; COMPUTE_PGM_RSRC2:TGID_Z_EN: 1
; COMPUTE_PGM_RSRC2:TIDIG_COMP_CNT: 0
	.section	.text._ZL30rocblas_trsm_small_left_deviceILi20ELi20ELb1EffPKfPfEv13rocblas_fill_18rocblas_operation_17rocblas_diagonal_iiT3_T4_lilT5_lili,"axG",@progbits,_ZL30rocblas_trsm_small_left_deviceILi20ELi20ELb1EffPKfPfEv13rocblas_fill_18rocblas_operation_17rocblas_diagonal_iiT3_T4_lilT5_lili,comdat
	.globl	_ZL30rocblas_trsm_small_left_deviceILi20ELi20ELb1EffPKfPfEv13rocblas_fill_18rocblas_operation_17rocblas_diagonal_iiT3_T4_lilT5_lili ; -- Begin function _ZL30rocblas_trsm_small_left_deviceILi20ELi20ELb1EffPKfPfEv13rocblas_fill_18rocblas_operation_17rocblas_diagonal_iiT3_T4_lilT5_lili
	.p2align	8
	.type	_ZL30rocblas_trsm_small_left_deviceILi20ELi20ELb1EffPKfPfEv13rocblas_fill_18rocblas_operation_17rocblas_diagonal_iiT3_T4_lilT5_lili,@function
_ZL30rocblas_trsm_small_left_deviceILi20ELi20ELb1EffPKfPfEv13rocblas_fill_18rocblas_operation_17rocblas_diagonal_iiT3_T4_lilT5_lili: ; @_ZL30rocblas_trsm_small_left_deviceILi20ELi20ELb1EffPKfPfEv13rocblas_fill_18rocblas_operation_17rocblas_diagonal_iiT3_T4_lilT5_lili
; %bb.0:
	s_load_b32 s28, s[0:1], 0x58
	s_bfe_u32 s2, ttmp6, 0x40014
	s_lshr_b32 s4, ttmp7, 16
	s_add_co_i32 s2, s2, 1
	s_bfe_u32 s5, ttmp6, 0x40008
	s_mul_i32 s2, s4, s2
	s_getreg_b32 s3, hwreg(HW_REG_IB_STS2, 6, 4)
	s_add_co_i32 s5, s5, s2
	s_cmp_eq_u32 s3, 0
	s_mov_b32 s19, 0
	s_cselect_b32 s2, s4, s5
	s_wait_kmcnt 0x0
	s_cmp_ge_u32 s2, s28
	s_cbranch_scc1 .LBB24_57
; %bb.1:
	s_clause 0x7
	s_load_b32 s22, s[0:1], 0x28
	s_load_b96 s[16:18], s[0:1], 0x40
	s_load_b128 s[4:7], s[0:1], 0x4
	s_load_b32 s26, s[0:1], 0x60
	s_load_b128 s[8:11], s[0:1], 0x18
	s_load_b128 s[12:15], s[0:1], 0x30
	s_load_b64 s[20:21], s[0:1], 0x50
	s_load_b32 s29, s[0:1], 0x14
	v_dual_mov_b32 v67, 0 :: v_dual_lshlrev_b32 v66, 2, v0
	v_mul_u32_u24_e32 v24, 0x50, v0
	s_mov_b32 s39, 0
	s_delay_alu instid0(VALU_DEP_2)
	v_dual_mov_b32 v2, v67 :: v_dual_mov_b32 v3, v67
	v_dual_mov_b32 v4, v67 :: v_dual_mov_b32 v5, v67
	;; [unrolled: 1-line block ×3, first 2 shown]
	s_wait_kmcnt 0x0
	s_ashr_i32 s23, s22, 31
	v_dual_mov_b32 v8, v67 :: v_dual_mov_b32 v9, v67
	s_cmp_eq_u64 s[22:23], 1
	v_dual_mov_b32 v11, v67 :: v_dual_mov_b32 v12, v67
	s_cselect_b32 s27, -1, 0
	s_bfe_u32 s0, ttmp6, 0x4000c
	s_min_i32 s30, s6, 20
	s_add_co_i32 s0, s0, 1
	s_and_b32 s6, ttmp6, 15
	s_mul_i32 s0, ttmp9, s0
	s_ashr_i32 s1, s18, 31
	s_lshl_b64 s[24:25], s[16:17], 2
	s_add_co_i32 s26, s26, -1
	s_add_co_i32 s31, s30, -1
	s_add_co_i32 s6, s6, s0
	s_cmp_eq_u32 s3, 0
	s_mov_b32 s0, s18
	s_cselect_b32 s3, ttmp9, s6
	s_add_nc_u64 s[14:15], s[14:15], s[24:25]
	v_mad_u32 v14, s3, 20, v0
	v_dual_mov_b32 v10, v67 :: v_dual_mov_b32 v13, v67
	v_dual_mov_b32 v17, v67 :: v_dual_mov_b32 v18, v67
	;; [unrolled: 1-line block ×3, first 2 shown]
	v_mov_b32_e32 v21, v67
	s_get_pc_i64 s[16:17]
	s_add_nc_u64 s[16:17], s[16:17], __const._ZL30rocblas_trsm_small_left_deviceILi20ELi20ELb1EffPKfPfEv13rocblas_fill_18rocblas_operation_17rocblas_diagonal_iiT3_T4_lilT5_lili.step_sizes@rel64+4
	v_dual_mov_b32 v16, v67 :: v_dual_ashrrev_i32 v15, 31, v14
	s_delay_alu instid0(VALU_DEP_1)
	v_mul_u64_e32 v[22:23], s[0:1], v[14:15]
	s_mul_i32 s0, s3, 0xffffffec
	v_mov_b32_e32 v14, v67
	s_add_co_i32 s0, s7, s0
	s_cmp_ge_u32 s3, s26
	v_mov_b32_e32 v15, v67
	s_cselect_b32 s1, s0, 20
	s_cmp_lg_u32 s5, 0x84
	v_cmp_gt_i32_e64 s0, s30, v0
	s_cselect_b32 s33, -1, 0
	s_cmp_lg_u32 s4, 0x6f
	v_cmp_gt_i32_e64 s1, s1, v0
	s_cselect_b32 s34, -1, 0
	s_cmp_gt_u32 s30, 1
	s_cselect_b32 s3, -1, 0
	s_and_b32 s35, s30, -2
	s_and_b32 s36, s3, s27
	s_cmp_lg_u32 s30, s35
	s_cselect_b32 s37, -1, 0
	s_lshl_b64 s[10:11], s[10:11], 2
	s_lshl_b32 s38, s30, 2
	s_add_nc_u64 s[8:9], s[8:9], s[10:11]
	s_lshl_b64 s[4:5], s[12:13], 2
	v_add_nc_u64_e32 v[0:1], s[8:9], v[66:67]
	v_add_nc_u32_e32 v67, v66, v24
	s_lshl_b64 s[6:7], s[22:23], 2
	s_lshl_b64 s[8:9], s[20:21], 2
	s_add_co_i32 s38, s38, -4
	v_lshl_add_u64 v[68:69], v[22:23], 2, s[14:15]
	s_branch .LBB24_5
.LBB24_2:                               ;   in Loop: Header=BB24_5 Depth=1
	s_wait_xcnt 0x0
	v_mov_b64_e32 v[64:65], v[32:33]
	v_mov_b64_e32 v[62:63], v[30:31]
	;; [unrolled: 1-line block ×16, first 2 shown]
.LBB24_3:                               ;   in Loop: Header=BB24_5 Depth=1
	s_add_co_i32 s2, s2, 0x10000
	s_delay_alu instid0(SALU_CYCLE_1) | instskip(SKIP_1) | instid1(SALU_CYCLE_1)
	s_cmp_ge_u32 s2, s28
	s_cselect_b32 s3, -1, 0
	s_or_not1_b32 s10, s3, exec_lo
.LBB24_4:                               ;   in Loop: Header=BB24_5 Depth=1
	s_wait_xcnt 0x0
	s_or_b32 exec_lo, exec_lo, s40
	v_mov_b64_e32 v[2:3], v[34:35]
	v_mov_b64_e32 v[4:5], v[36:37]
	;; [unrolled: 1-line block ×16, first 2 shown]
	s_and_b32 s3, exec_lo, s10
	s_delay_alu instid0(SALU_CYCLE_1) | instskip(NEXT) | instid1(SALU_CYCLE_1)
	s_or_b32 s39, s3, s39
	s_and_not1_b32 exec_lo, exec_lo, s39
	s_cbranch_execz .LBB24_57
.LBB24_5:                               ; =>This Loop Header: Depth=1
                                        ;     Child Loop BB24_8 Depth 2
                                        ;     Child Loop BB24_12 Depth 2
	;; [unrolled: 1-line block ×3, first 2 shown]
                                        ;       Child Loop BB24_22 Depth 3
                                        ;       Child Loop BB24_24 Depth 3
                                        ;         Child Loop BB24_25 Depth 4
                                        ;       Child Loop BB24_30 Depth 3
                                        ;         Child Loop BB24_32 Depth 4
                                        ;     Child Loop BB24_34 Depth 2
                                        ;     Child Loop BB24_39 Depth 2
                                        ;       Child Loop BB24_42 Depth 3
                                        ;         Child Loop BB24_43 Depth 4
                                        ;         Child Loop BB24_46 Depth 4
                                        ;           Child Loop BB24_47 Depth 5
                                        ;         Child Loop BB24_52 Depth 4
                                        ;           Child Loop BB24_54 Depth 5
	s_mov_b32 s3, s19
	s_and_saveexec_b32 s12, s0
	s_cbranch_execz .LBB24_16
; %bb.6:                                ;   in Loop: Header=BB24_5 Depth=1
	s_and_not1_b32 vcc_lo, exec_lo, s36
	s_mul_u64 s[10:11], s[4:5], s[2:3]
	s_cbranch_vccnz .LBB24_10
; %bb.7:                                ;   in Loop: Header=BB24_5 Depth=1
	v_add_nc_u64_e32 v[34:35], s[10:11], v[0:1]
	s_mov_b32 s13, 1
	s_mov_b32 s14, 0
	;; [unrolled: 1-line block ×3, first 2 shown]
.LBB24_8:                               ;   Parent Loop BB24_5 Depth=1
                                        ; =>  This Inner Loop Header: Depth=2
	global_load_b64 v[36:37], v[34:35], off
	v_mad_u32 v38, 0x50, s14, v66
	v_mad_u32 v39, 0x50, s13, v66
	s_wait_xcnt 0x0
	v_add_nc_u64_e32 v[34:35], 8, v[34:35]
	s_add_co_i32 s15, s15, -2
	s_add_co_i32 s14, s14, 2
	s_add_co_i32 s13, s13, 2
	s_mov_b32 s18, s35
	s_mov_b32 s22, s37
	s_cmp_lg_u32 s15, 0
	s_wait_loadcnt 0x0
	ds_store_b32 v38, v36
	ds_store_b32 v39, v37
	s_cbranch_scc1 .LBB24_8
; %bb.9:                                ;   in Loop: Header=BB24_5 Depth=1
	s_and_b32 vcc_lo, exec_lo, s22
	s_cbranch_vccnz .LBB24_11
	s_branch .LBB24_13
.LBB24_10:                              ;   in Loop: Header=BB24_5 Depth=1
	s_mov_b32 s18, 0
	s_cbranch_execz .LBB24_13
.LBB24_11:                              ;   in Loop: Header=BB24_5 Depth=1
	s_mul_u64 s[14:15], s[6:7], s[18:19]
	v_mad_u32 v36, 0x50, s18, v66
	s_add_nc_u64 s[10:11], s[14:15], s[10:11]
	s_delay_alu instid0(SALU_CYCLE_1)
	v_add_nc_u64_e32 v[34:35], s[10:11], v[0:1]
	s_sub_co_i32 s10, s30, s18
.LBB24_12:                              ;   Parent Loop BB24_5 Depth=1
                                        ; =>  This Inner Loop Header: Depth=2
	global_load_b32 v37, v[34:35], off
	s_wait_xcnt 0x0
	v_add_nc_u64_e32 v[34:35], s[6:7], v[34:35]
	s_add_co_i32 s10, s10, -1
	s_delay_alu instid0(SALU_CYCLE_1)
	s_cmp_eq_u32 s10, 0
	s_wait_loadcnt 0x0
	ds_store_b32 v36, v37
	v_add_nc_u32_e32 v36, 0x50, v36
	s_cbranch_scc0 .LBB24_12
.LBB24_13:                              ;   in Loop: Header=BB24_5 Depth=1
	v_mov_b32_e32 v34, 1.0
	s_and_b32 vcc_lo, exec_lo, s33
	s_cbranch_vccz .LBB24_15
; %bb.14:                               ;   in Loop: Header=BB24_5 Depth=1
	ds_load_b32 v34, v67
	s_wait_dscnt 0x0
	v_div_scale_f32 v35, null, v34, v34, 1.0
	s_delay_alu instid0(VALU_DEP_1) | instskip(SKIP_1) | instid1(TRANS32_DEP_1)
	v_rcp_f32_e32 v36, v35
	v_nop
	v_fma_f32 v37, -v35, v36, 1.0
	s_delay_alu instid0(VALU_DEP_1) | instskip(SKIP_1) | instid1(VALU_DEP_1)
	v_fmac_f32_e32 v36, v37, v36
	v_div_scale_f32 v37, vcc_lo, 1.0, v34, 1.0
	v_mul_f32_e32 v38, v37, v36
	s_delay_alu instid0(VALU_DEP_1) | instskip(NEXT) | instid1(VALU_DEP_1)
	v_fma_f32 v39, -v35, v38, v37
	v_fmac_f32_e32 v38, v39, v36
	s_delay_alu instid0(VALU_DEP_1) | instskip(NEXT) | instid1(VALU_DEP_1)
	v_fma_f32 v35, -v35, v38, v37
	v_div_fmas_f32 v35, v35, v36, v38
	s_delay_alu instid0(VALU_DEP_1)
	v_div_fixup_f32 v34, v35, v34, 1.0
.LBB24_15:                              ;   in Loop: Header=BB24_5 Depth=1
	ds_store_b32 v67, v34
.LBB24_16:                              ;   in Loop: Header=BB24_5 Depth=1
	s_or_b32 exec_lo, exec_lo, s12
	s_mov_b32 s10, -1
	s_wait_dscnt 0x0
	; wave barrier
                                        ; implicit-def: $vgpr34_vgpr35_vgpr36_vgpr37_vgpr38_vgpr39_vgpr40_vgpr41_vgpr42_vgpr43_vgpr44_vgpr45_vgpr46_vgpr47_vgpr48_vgpr49_vgpr50_vgpr51_vgpr52_vgpr53_vgpr54_vgpr55_vgpr56_vgpr57_vgpr58_vgpr59_vgpr60_vgpr61_vgpr62_vgpr63_vgpr64_vgpr65
	s_and_saveexec_b32 s40, s1
	s_cbranch_execz .LBB24_4
; %bb.17:                               ;   in Loop: Header=BB24_5 Depth=1
	s_mul_u64 s[10:11], s[20:21], s[2:3]
	s_and_not1_b32 vcc_lo, exec_lo, s34
	v_lshl_add_u64 v[70:71], s[10:11], 2, v[68:69]
	s_mul_u64 s[10:11], s[8:9], s[2:3]
	s_mov_b32 s3, -1
                                        ; implicit-def: $vgpr34_vgpr35_vgpr36_vgpr37_vgpr38_vgpr39_vgpr40_vgpr41_vgpr42_vgpr43_vgpr44_vgpr45_vgpr46_vgpr47_vgpr48_vgpr49_vgpr50_vgpr51_vgpr52_vgpr53_vgpr54_vgpr55_vgpr56_vgpr57_vgpr58_vgpr59_vgpr60_vgpr61_vgpr62_vgpr63_vgpr64_vgpr65
	s_cbranch_vccnz .LBB24_37
; %bb.18:                               ;   in Loop: Header=BB24_5 Depth=1
	v_mov_b64_e32 v[64:65], v[32:33]
	v_add_nc_u64_e32 v[72:73], s[10:11], v[68:69]
	v_mov_b64_e32 v[62:63], v[30:31]
	v_mov_b64_e32 v[60:61], v[28:29]
	;; [unrolled: 1-line block ×15, first 2 shown]
	s_mov_b32 s3, 0
	s_mov_b32 s12, s31
	s_load_b32 s18, s[16:17], s3 offset:0x0 scale_offset
	s_wait_kmcnt 0x0
	s_add_co_i32 s41, s18, -1
	s_delay_alu instid0(SALU_CYCLE_1)
	s_cmp_lt_i32 s12, s41
	s_cbranch_scc1 .LBB24_34
.LBB24_19:                              ;   in Loop: Header=BB24_5 Depth=1
	s_mul_i32 s13, s12, 0x50
	s_max_i32 s42, s18, 1
	s_add_co_i32 s43, s38, s13
	s_mul_i32 s44, s18, 0xffffffb0
	s_mul_i32 s45, s12, 0x54
	;; [unrolled: 1-line block ×3, first 2 shown]
	s_branch .LBB24_21
.LBB24_20:                              ;   in Loop: Header=BB24_21 Depth=2
	s_sub_co_i32 s12, s12, s18
	s_add_co_i32 s43, s43, s44
	s_add_co_i32 s45, s45, s46
	s_cmp_lt_i32 s12, s41
	s_cbranch_scc1 .LBB24_34
.LBB24_21:                              ;   Parent Loop BB24_5 Depth=1
                                        ; =>  This Loop Header: Depth=2
                                        ;       Child Loop BB24_22 Depth 3
                                        ;       Child Loop BB24_24 Depth 3
                                        ;         Child Loop BB24_25 Depth 4
                                        ;       Child Loop BB24_30 Depth 3
                                        ;         Child Loop BB24_32 Depth 4
	s_ashr_i32 s13, s12, 31
	s_mov_b64 s[14:15], 0
	s_wait_xcnt 0x0
	v_lshl_add_u64 v[74:75], s[12:13], 2, v[72:73]
.LBB24_22:                              ;   Parent Loop BB24_5 Depth=1
                                        ;     Parent Loop BB24_21 Depth=2
                                        ; =>    This Inner Loop Header: Depth=3
	global_load_b32 v76, v[74:75], off
	s_wait_xcnt 0x0
	v_add_nc_u64_e32 v[74:75], -4, v[74:75]
	s_mov_b32 m0, s14
	s_add_nc_u64 s[14:15], s[14:15], 1
	s_delay_alu instid0(SALU_CYCLE_1) | instskip(SKIP_2) | instid1(VALU_DEP_1)
	s_cmp_eq_u32 s42, s14
	s_wait_loadcnt 0x0
	v_mul_f32_e32 v76, s29, v76
	v_movreld_b32_e32 v34, v76
	s_cbranch_scc0 .LBB24_22
; %bb.23:                               ;   in Loop: Header=BB24_21 Depth=2
	s_cmp_le_i32 s31, s12
	s_mov_b32 s24, s43
	s_mov_b32 s14, s31
	s_cbranch_scc1 .LBB24_27
.LBB24_24:                              ;   Parent Loop BB24_5 Depth=1
                                        ;     Parent Loop BB24_21 Depth=2
                                        ; =>    This Loop Header: Depth=3
                                        ;         Child Loop BB24_25 Depth 4
	s_ashr_i32 s15, s14, 31
	s_mov_b64 s[22:23], 0
	v_lshl_add_u64 v[74:75], s[14:15], 2, v[70:71]
	s_mov_b32 s15, s24
	global_load_b32 v74, v[74:75], off
.LBB24_25:                              ;   Parent Loop BB24_5 Depth=1
                                        ;     Parent Loop BB24_21 Depth=2
                                        ;       Parent Loop BB24_24 Depth=3
                                        ; =>      This Inner Loop Header: Depth=4
	s_wait_xcnt 0x0
	v_mov_b32_e32 v75, s15
	s_mov_b32 m0, s22
	s_add_nc_u64 s[22:23], s[22:23], 1
	v_movrels_b32_e32 v76, v34
	s_addk_co_i32 s15, 0xffb0
	ds_load_b32 v75, v75
	s_cmp_eq_u32 s42, s22
	s_wait_loadcnt_dscnt 0x0
	v_fma_f32 v75, -v74, v75, v76
	s_delay_alu instid0(VALU_DEP_1)
	v_movreld_b32_e32 v34, v75
	s_cbranch_scc0 .LBB24_25
; %bb.26:                               ;   in Loop: Header=BB24_24 Depth=3
	s_add_co_i32 s14, s14, -1
	s_add_co_i32 s24, s24, -4
	s_cmp_le_i32 s14, s12
	s_cbranch_scc0 .LBB24_24
.LBB24_27:                              ;   in Loop: Header=BB24_21 Depth=2
	s_mov_b64 s[14:15], 0
	s_mov_b32 s47, s45
	s_branch .LBB24_30
.LBB24_28:                              ;   in Loop: Header=BB24_30 Depth=3
	s_mov_b32 s22, s12
	s_mov_b64 s[26:27], 0
	s_mov_b64 s[24:25], s[12:13]
.LBB24_29:                              ;   in Loop: Header=BB24_30 Depth=3
	s_mulk_i32 s22, 0x54
	s_mov_b32 m0, s26
	s_wait_xcnt 0x0
	v_mov_b32_e32 v74, s22
	v_movrels_b32_e32 v75, v34
	s_add_nc_u64 s[14:15], s[14:15], 1
	s_addk_co_i32 s47, 0xffb0
	s_cmp_eq_u32 s14, s42
	ds_load_b32 v74, v74
	s_wait_dscnt 0x0
	v_mul_f32_e32 v76, v75, v74
	v_lshl_add_u64 v[74:75], s[24:25], 2, v[70:71]
	s_delay_alu instid0(VALU_DEP_2)
	v_movreld_b32_e32 v34, v76
	global_store_b32 v[74:75], v76, off
	s_cbranch_scc1 .LBB24_20
.LBB24_30:                              ;   Parent Loop BB24_5 Depth=1
                                        ;     Parent Loop BB24_21 Depth=2
                                        ; =>    This Loop Header: Depth=3
                                        ;         Child Loop BB24_32 Depth 4
	s_cmp_eq_u32 s14, 0
	s_cbranch_scc1 .LBB24_28
; %bb.31:                               ;   in Loop: Header=BB24_30 Depth=3
	s_mov_b64 s[22:23], 0
	s_mov_b32 s24, s47
.LBB24_32:                              ;   Parent Loop BB24_5 Depth=1
                                        ;     Parent Loop BB24_21 Depth=2
                                        ;       Parent Loop BB24_30 Depth=3
                                        ; =>      This Inner Loop Header: Depth=4
	s_wait_xcnt 0x0
	v_mov_b32_e32 v74, s24
	s_mov_b32 m0, s22
	s_add_nc_u64 s[22:23], s[22:23], 1
	v_movrels_b32_e32 v75, v34
	s_mov_b32 m0, s14
	ds_load_b32 v74, v74
	v_movrels_b32_e32 v76, v34
	s_add_co_i32 s24, s24, -4
	s_cmp_eq_u32 s14, s22
	s_wait_dscnt 0x0
	s_delay_alu instid0(VALU_DEP_1) | instskip(NEXT) | instid1(VALU_DEP_1)
	v_fma_f32 v74, -v75, v74, v76
	v_movreld_b32_e32 v34, v74
	s_cbranch_scc0 .LBB24_32
; %bb.33:                               ;   in Loop: Header=BB24_30 Depth=3
	s_sub_co_i32 s22, s12, s14
	s_mov_b64 s[26:27], s[14:15]
	s_ashr_i32 s23, s22, 31
	s_delay_alu instid0(SALU_CYCLE_1)
	s_mov_b64 s[24:25], s[22:23]
	s_branch .LBB24_29
.LBB24_34:                              ;   Parent Loop BB24_5 Depth=1
                                        ; =>  This Inner Loop Header: Depth=2
	s_cmp_gt_i32 s12, -1
	s_cselect_b32 s14, -1, 0
	s_add_co_i32 s13, s3, 1
	s_cmp_lt_u32 s3, 2
	s_wait_xcnt 0x0
	s_cselect_b32 s3, -1, 0
	s_delay_alu instid0(SALU_CYCLE_1) | instskip(NEXT) | instid1(SALU_CYCLE_1)
	s_and_b32 s3, s14, s3
	s_and_b32 vcc_lo, exec_lo, s3
	s_cbranch_vccz .LBB24_36
; %bb.35:                               ;   in Loop: Header=BB24_34 Depth=2
	s_mov_b32 s3, s13
	s_load_b32 s18, s[16:17], s3 offset:0x0 scale_offset
	s_wait_kmcnt 0x0
	s_add_co_i32 s41, s18, -1
	s_delay_alu instid0(SALU_CYCLE_1)
	s_cmp_lt_i32 s12, s41
	s_cbranch_scc0 .LBB24_19
	s_branch .LBB24_34
.LBB24_36:                              ;   in Loop: Header=BB24_5 Depth=1
	s_mov_b32 s3, 0
.LBB24_37:                              ;   in Loop: Header=BB24_5 Depth=1
	s_delay_alu instid0(SALU_CYCLE_1)
	s_and_b32 vcc_lo, exec_lo, s3
	s_cbranch_vccz .LBB24_3
; %bb.38:                               ;   in Loop: Header=BB24_5 Depth=1
	v_add_nc_u64_e32 v[34:35], s[10:11], v[68:69]
	s_mov_b32 s10, 0
	s_mov_b32 s3, 0
.LBB24_39:                              ;   Parent Loop BB24_5 Depth=1
                                        ; =>  This Loop Header: Depth=2
                                        ;       Child Loop BB24_42 Depth 3
                                        ;         Child Loop BB24_43 Depth 4
                                        ;         Child Loop BB24_46 Depth 4
                                        ;           Child Loop BB24_47 Depth 5
                                        ;         Child Loop BB24_52 Depth 4
                                        ;           Child Loop BB24_54 Depth 5
	s_load_b32 s12, s[16:17], s3 offset:0x0 scale_offset
	s_wait_kmcnt 0x0
	s_add_co_i32 s26, s12, -1
	s_delay_alu instid0(SALU_CYCLE_1) | instskip(NEXT) | instid1(SALU_CYCLE_1)
	s_add_co_i32 s11, s26, s10
	s_cmp_ge_i32 s11, s30
	s_cbranch_scc1 .LBB24_55
; %bb.40:                               ;   in Loop: Header=BB24_39 Depth=2
	s_ashr_i32 s11, s10, 31
	s_ashr_i32 s13, s12, 31
	v_lshl_add_u64 v[36:37], s[10:11], 2, v[34:35]
	s_max_i32 s27, s12, 1
	s_lshl_b64 s[14:15], s[12:13], 2
	s_lshl_b32 s11, s10, 2
	s_lshl_b32 s13, s12, 2
	s_mul_i32 s41, s10, 0x54
	s_mul_i32 s42, s12, 0x54
	s_branch .LBB24_42
.LBB24_41:                              ;   in Loop: Header=BB24_42 Depth=3
	v_add_nc_u64_e32 v[36:37], s[14:15], v[36:37]
	s_add_co_i32 s10, s10, s12
	s_add_co_i32 s11, s11, s13
	s_add_co_i32 s18, s26, s10
	s_add_co_i32 s41, s41, s42
	s_cmp_ge_i32 s18, s30
	s_cbranch_scc1 .LBB24_55
.LBB24_42:                              ;   Parent Loop BB24_5 Depth=1
                                        ;     Parent Loop BB24_39 Depth=2
                                        ; =>    This Loop Header: Depth=3
                                        ;         Child Loop BB24_43 Depth 4
                                        ;         Child Loop BB24_46 Depth 4
                                        ;           Child Loop BB24_47 Depth 5
                                        ;         Child Loop BB24_52 Depth 4
                                        ;           Child Loop BB24_54 Depth 5
	s_wait_xcnt 0x0
	v_mov_b64_e32 v[38:39], v[36:37]
	s_mov_b64 s[22:23], 0
.LBB24_43:                              ;   Parent Loop BB24_5 Depth=1
                                        ;     Parent Loop BB24_39 Depth=2
                                        ;       Parent Loop BB24_42 Depth=3
                                        ; =>      This Inner Loop Header: Depth=4
	global_load_b32 v40, v[38:39], off
	s_wait_xcnt 0x0
	v_add_nc_u64_e32 v[38:39], 4, v[38:39]
	s_mov_b32 m0, s22
	s_add_nc_u64 s[22:23], s[22:23], 1
	s_delay_alu instid0(SALU_CYCLE_1) | instskip(SKIP_2) | instid1(VALU_DEP_1)
	s_cmp_eq_u32 s27, s22
	s_wait_loadcnt 0x0
	v_mul_f32_e32 v40, s29, v40
	v_movreld_b32_e32 v2, v40
	s_cbranch_scc0 .LBB24_43
; %bb.44:                               ;   in Loop: Header=BB24_42 Depth=3
	s_cmp_lt_i32 s10, 1
	s_cbranch_scc1 .LBB24_49
; %bb.45:                               ;   in Loop: Header=BB24_42 Depth=3
	s_mov_b32 s18, 0
	s_mov_b32 s24, s11
.LBB24_46:                              ;   Parent Loop BB24_5 Depth=1
                                        ;     Parent Loop BB24_39 Depth=2
                                        ;       Parent Loop BB24_42 Depth=3
                                        ; =>      This Loop Header: Depth=4
                                        ;           Child Loop BB24_47 Depth 5
	v_lshl_add_u64 v[38:39], s[18:19], 2, v[70:71]
	s_mov_b64 s[22:23], 0
	s_mov_b32 s25, s24
	global_load_b32 v38, v[38:39], off
.LBB24_47:                              ;   Parent Loop BB24_5 Depth=1
                                        ;     Parent Loop BB24_39 Depth=2
                                        ;       Parent Loop BB24_42 Depth=3
                                        ;         Parent Loop BB24_46 Depth=4
                                        ; =>        This Inner Loop Header: Depth=5
	s_wait_xcnt 0x0
	v_mov_b32_e32 v39, s25
	s_mov_b32 m0, s22
	s_add_nc_u64 s[22:23], s[22:23], 1
	v_movrels_b32_e32 v40, v2
	s_add_co_i32 s25, s25, 4
	ds_load_b32 v39, v39
	s_cmp_eq_u32 s27, s22
	s_wait_loadcnt_dscnt 0x0
	v_fma_f32 v39, -v38, v39, v40
	s_delay_alu instid0(VALU_DEP_1)
	v_movreld_b32_e32 v2, v39
	s_cbranch_scc0 .LBB24_47
; %bb.48:                               ;   in Loop: Header=BB24_46 Depth=4
	s_add_co_i32 s18, s18, 1
	s_addk_co_i32 s24, 0x50
	s_cmp_eq_u32 s18, s10
	s_cbranch_scc0 .LBB24_46
.LBB24_49:                              ;   in Loop: Header=BB24_42 Depth=3
	s_mov_b64 s[22:23], 0
	s_mov_b32 s18, s41
	s_branch .LBB24_52
.LBB24_50:                              ;   in Loop: Header=BB24_52 Depth=4
	s_mov_b64 s[24:25], s[22:23]
.LBB24_51:                              ;   in Loop: Header=BB24_52 Depth=4
	s_delay_alu instid0(SALU_CYCLE_1)
	s_mov_b32 m0, s24
	s_add_co_i32 s24, s22, s10
	s_wait_xcnt 0x0
	v_movrels_b32_e32 v39, v2
	s_mul_i32 s25, s24, 0x54
	s_add_nc_u64 s[22:23], s[22:23], 1
	v_mov_b32_e32 v38, s25
	s_ashr_i32 s25, s24, 31
	s_add_co_i32 s18, s18, 4
	s_cmp_eq_u32 s22, s27
	ds_load_b32 v38, v38
	s_wait_dscnt 0x0
	v_mul_f32_e32 v40, v39, v38
	v_lshl_add_u64 v[38:39], s[24:25], 2, v[70:71]
	s_delay_alu instid0(VALU_DEP_2)
	v_movreld_b32_e32 v2, v40
	global_store_b32 v[38:39], v40, off
	s_cbranch_scc1 .LBB24_41
.LBB24_52:                              ;   Parent Loop BB24_5 Depth=1
                                        ;     Parent Loop BB24_39 Depth=2
                                        ;       Parent Loop BB24_42 Depth=3
                                        ; =>      This Loop Header: Depth=4
                                        ;           Child Loop BB24_54 Depth 5
	s_mov_b64 s[24:25], 0
	s_cmp_eq_u32 s22, 0
	s_cbranch_scc1 .LBB24_51
; %bb.53:                               ;   in Loop: Header=BB24_52 Depth=4
	s_mov_b32 s43, s18
.LBB24_54:                              ;   Parent Loop BB24_5 Depth=1
                                        ;     Parent Loop BB24_39 Depth=2
                                        ;       Parent Loop BB24_42 Depth=3
                                        ;         Parent Loop BB24_52 Depth=4
                                        ; =>        This Inner Loop Header: Depth=5
	s_wait_xcnt 0x0
	v_mov_b32_e32 v38, s43
	s_mov_b32 m0, s24
	s_add_nc_u64 s[24:25], s[24:25], 1
	v_movrels_b32_e32 v39, v2
	s_mov_b32 m0, s22
	ds_load_b32 v38, v38
	v_movrels_b32_e32 v40, v2
	s_addk_co_i32 s43, 0x50
	s_cmp_eq_u32 s22, s24
	s_wait_dscnt 0x0
	s_delay_alu instid0(VALU_DEP_1) | instskip(NEXT) | instid1(VALU_DEP_1)
	v_fma_f32 v38, -v39, v38, v40
	v_movreld_b32_e32 v2, v38
	s_cbranch_scc0 .LBB24_54
	s_branch .LBB24_50
.LBB24_55:                              ;   in Loop: Header=BB24_39 Depth=2
	s_cmp_lt_i32 s10, s30
	s_cselect_b32 s12, -1, 0
	s_add_co_i32 s11, s3, 1
	s_cmp_lt_u32 s3, 2
	s_wait_xcnt 0x0
	s_cselect_b32 s3, -1, 0
	s_delay_alu instid0(SALU_CYCLE_1) | instskip(NEXT) | instid1(SALU_CYCLE_1)
	s_and_b32 s3, s12, s3
	s_and_not1_b32 vcc_lo, exec_lo, s3
	s_cbranch_vccnz .LBB24_2
; %bb.56:                               ;   in Loop: Header=BB24_39 Depth=2
	s_mov_b32 s3, s11
	s_branch .LBB24_39
.LBB24_57:
	s_sendmsg sendmsg(MSG_DEALLOC_VGPRS)
	s_endpgm
	.section	.rodata,"a",@progbits
	.p2align	6, 0x0
	.amdhsa_kernel _ZL30rocblas_trsm_small_left_deviceILi20ELi20ELb1EffPKfPfEv13rocblas_fill_18rocblas_operation_17rocblas_diagonal_iiT3_T4_lilT5_lili
		.amdhsa_group_segment_fixed_size 1600
		.amdhsa_private_segment_fixed_size 0
		.amdhsa_kernarg_size 352
		.amdhsa_user_sgpr_count 2
		.amdhsa_user_sgpr_dispatch_ptr 0
		.amdhsa_user_sgpr_queue_ptr 0
		.amdhsa_user_sgpr_kernarg_segment_ptr 1
		.amdhsa_user_sgpr_dispatch_id 0
		.amdhsa_user_sgpr_kernarg_preload_length 0
		.amdhsa_user_sgpr_kernarg_preload_offset 0
		.amdhsa_user_sgpr_private_segment_size 0
		.amdhsa_wavefront_size32 1
		.amdhsa_uses_dynamic_stack 0
		.amdhsa_enable_private_segment 0
		.amdhsa_system_sgpr_workgroup_id_x 1
		.amdhsa_system_sgpr_workgroup_id_y 0
		.amdhsa_system_sgpr_workgroup_id_z 1
		.amdhsa_system_sgpr_workgroup_info 0
		.amdhsa_system_vgpr_workitem_id 0
		.amdhsa_next_free_vgpr 77
		.amdhsa_next_free_sgpr 48
		.amdhsa_named_barrier_count 0
		.amdhsa_reserve_vcc 1
		.amdhsa_float_round_mode_32 0
		.amdhsa_float_round_mode_16_64 0
		.amdhsa_float_denorm_mode_32 3
		.amdhsa_float_denorm_mode_16_64 3
		.amdhsa_fp16_overflow 0
		.amdhsa_memory_ordered 1
		.amdhsa_forward_progress 1
		.amdhsa_inst_pref_size 19
		.amdhsa_round_robin_scheduling 0
		.amdhsa_exception_fp_ieee_invalid_op 0
		.amdhsa_exception_fp_denorm_src 0
		.amdhsa_exception_fp_ieee_div_zero 0
		.amdhsa_exception_fp_ieee_overflow 0
		.amdhsa_exception_fp_ieee_underflow 0
		.amdhsa_exception_fp_ieee_inexact 0
		.amdhsa_exception_int_div_zero 0
	.end_amdhsa_kernel
	.section	.text._ZL30rocblas_trsm_small_left_deviceILi20ELi20ELb1EffPKfPfEv13rocblas_fill_18rocblas_operation_17rocblas_diagonal_iiT3_T4_lilT5_lili,"axG",@progbits,_ZL30rocblas_trsm_small_left_deviceILi20ELi20ELb1EffPKfPfEv13rocblas_fill_18rocblas_operation_17rocblas_diagonal_iiT3_T4_lilT5_lili,comdat
.Lfunc_end24:
	.size	_ZL30rocblas_trsm_small_left_deviceILi20ELi20ELb1EffPKfPfEv13rocblas_fill_18rocblas_operation_17rocblas_diagonal_iiT3_T4_lilT5_lili, .Lfunc_end24-_ZL30rocblas_trsm_small_left_deviceILi20ELi20ELb1EffPKfPfEv13rocblas_fill_18rocblas_operation_17rocblas_diagonal_iiT3_T4_lilT5_lili
                                        ; -- End function
	.set _ZL30rocblas_trsm_small_left_deviceILi20ELi20ELb1EffPKfPfEv13rocblas_fill_18rocblas_operation_17rocblas_diagonal_iiT3_T4_lilT5_lili.num_vgpr, 77
	.set _ZL30rocblas_trsm_small_left_deviceILi20ELi20ELb1EffPKfPfEv13rocblas_fill_18rocblas_operation_17rocblas_diagonal_iiT3_T4_lilT5_lili.num_agpr, 0
	.set _ZL30rocblas_trsm_small_left_deviceILi20ELi20ELb1EffPKfPfEv13rocblas_fill_18rocblas_operation_17rocblas_diagonal_iiT3_T4_lilT5_lili.numbered_sgpr, 48
	.set _ZL30rocblas_trsm_small_left_deviceILi20ELi20ELb1EffPKfPfEv13rocblas_fill_18rocblas_operation_17rocblas_diagonal_iiT3_T4_lilT5_lili.num_named_barrier, 0
	.set _ZL30rocblas_trsm_small_left_deviceILi20ELi20ELb1EffPKfPfEv13rocblas_fill_18rocblas_operation_17rocblas_diagonal_iiT3_T4_lilT5_lili.private_seg_size, 0
	.set _ZL30rocblas_trsm_small_left_deviceILi20ELi20ELb1EffPKfPfEv13rocblas_fill_18rocblas_operation_17rocblas_diagonal_iiT3_T4_lilT5_lili.uses_vcc, 1
	.set _ZL30rocblas_trsm_small_left_deviceILi20ELi20ELb1EffPKfPfEv13rocblas_fill_18rocblas_operation_17rocblas_diagonal_iiT3_T4_lilT5_lili.uses_flat_scratch, 0
	.set _ZL30rocblas_trsm_small_left_deviceILi20ELi20ELb1EffPKfPfEv13rocblas_fill_18rocblas_operation_17rocblas_diagonal_iiT3_T4_lilT5_lili.has_dyn_sized_stack, 0
	.set _ZL30rocblas_trsm_small_left_deviceILi20ELi20ELb1EffPKfPfEv13rocblas_fill_18rocblas_operation_17rocblas_diagonal_iiT3_T4_lilT5_lili.has_recursion, 0
	.set _ZL30rocblas_trsm_small_left_deviceILi20ELi20ELb1EffPKfPfEv13rocblas_fill_18rocblas_operation_17rocblas_diagonal_iiT3_T4_lilT5_lili.has_indirect_call, 0
	.section	.AMDGPU.csdata,"",@progbits
; Kernel info:
; codeLenInByte = 2316
; TotalNumSgprs: 50
; NumVgprs: 77
; ScratchSize: 0
; MemoryBound: 0
; FloatMode: 240
; IeeeMode: 1
; LDSByteSize: 1600 bytes/workgroup (compile time only)
; SGPRBlocks: 0
; VGPRBlocks: 4
; NumSGPRsForWavesPerEU: 50
; NumVGPRsForWavesPerEU: 77
; NamedBarCnt: 0
; Occupancy: 12
; WaveLimiterHint : 0
; COMPUTE_PGM_RSRC2:SCRATCH_EN: 0
; COMPUTE_PGM_RSRC2:USER_SGPR: 2
; COMPUTE_PGM_RSRC2:TRAP_HANDLER: 0
; COMPUTE_PGM_RSRC2:TGID_X_EN: 1
; COMPUTE_PGM_RSRC2:TGID_Y_EN: 0
; COMPUTE_PGM_RSRC2:TGID_Z_EN: 1
; COMPUTE_PGM_RSRC2:TIDIG_COMP_CNT: 0
	.section	.text._ZL31rocblas_trsm_small_right_deviceIffPKfPfLi20EEv13rocblas_fill_18rocblas_operation_17rocblas_diagonal_iiT0_T1_lilT2_lili,"axG",@progbits,_ZL31rocblas_trsm_small_right_deviceIffPKfPfLi20EEv13rocblas_fill_18rocblas_operation_17rocblas_diagonal_iiT0_T1_lilT2_lili,comdat
	.globl	_ZL31rocblas_trsm_small_right_deviceIffPKfPfLi20EEv13rocblas_fill_18rocblas_operation_17rocblas_diagonal_iiT0_T1_lilT2_lili ; -- Begin function _ZL31rocblas_trsm_small_right_deviceIffPKfPfLi20EEv13rocblas_fill_18rocblas_operation_17rocblas_diagonal_iiT0_T1_lilT2_lili
	.p2align	8
	.type	_ZL31rocblas_trsm_small_right_deviceIffPKfPfLi20EEv13rocblas_fill_18rocblas_operation_17rocblas_diagonal_iiT0_T1_lilT2_lili,@function
_ZL31rocblas_trsm_small_right_deviceIffPKfPfLi20EEv13rocblas_fill_18rocblas_operation_17rocblas_diagonal_iiT0_T1_lilT2_lili: ; @_ZL31rocblas_trsm_small_right_deviceIffPKfPfLi20EEv13rocblas_fill_18rocblas_operation_17rocblas_diagonal_iiT0_T1_lilT2_lili
; %bb.0:
	s_load_b32 s28, s[0:1], 0x58
	s_bfe_u32 s2, ttmp6, 0x40014
	s_lshr_b32 s3, ttmp7, 16
	s_add_co_i32 s2, s2, 1
	s_bfe_u32 s4, ttmp6, 0x40008
	s_mul_i32 s2, s3, s2
	s_getreg_b32 s19, hwreg(HW_REG_IB_STS2, 6, 4)
	s_add_co_i32 s4, s4, s2
	s_cmp_eq_u32 s19, 0
	s_cselect_b32 s2, s3, s4
	s_mov_b32 s3, 0
	s_wait_kmcnt 0x0
	s_cmp_ge_u32 s2, s28
	s_cbranch_scc1 .LBB25_97
; %bb.1:
	s_clause 0x6
	s_load_b32 s22, s[0:1], 0x28
	s_load_b96 s[16:18], s[0:1], 0x40
	s_load_b128 s[12:15], s[0:1], 0x0
	s_load_b64 s[20:21], s[0:1], 0x10
	s_load_b32 s26, s[0:1], 0x60
	s_load_b128 s[4:7], s[0:1], 0x18
	s_load_b128 s[8:11], s[0:1], 0x30
	v_dual_mov_b32 v3, 0 :: v_dual_lshlrev_b32 v2, 2, v0
	v_mul_u32_u24_e32 v6, 0x50, v0
	s_delay_alu instid0(VALU_DEP_2)
	v_dual_mov_b32 v15, 1.0 :: v_dual_add_nc_u32 v12, 0x640, v2
	s_wait_kmcnt 0x0
	s_ashr_i32 s23, s22, 31
	s_mov_b32 s24, s18
	s_cmp_eq_u64 s[22:23], 1
	s_cselect_b32 s37, -1, 0
	s_ashr_i32 s25, s18, 31
	s_delay_alu instid0(SALU_CYCLE_1)
	s_cmp_eq_u64 s[24:25], 1
	s_cselect_b32 s40, -1, 0
	s_cmp_lg_u32 s12, 0x7a
	s_cselect_b32 s31, -1, 0
	s_bfe_u32 s18, ttmp6, 0x4000c
	s_min_i32 s29, s20, 20
	s_add_co_i32 s18, s18, 1
	s_add_co_i32 s27, s26, -1
	s_and_b32 s26, ttmp6, 15
	s_mul_i32 s18, ttmp9, s18
	s_add_co_i32 s30, s29, -1
	s_add_co_i32 s26, s26, s18
	s_cmp_eq_u32 s19, 0
	s_load_b64 s[18:19], s[0:1], 0x50
	s_cselect_b32 s26, ttmp9, s26
	s_mul_i32 s46, s29, 0x50
	s_wait_xcnt 0x0
	s_mul_i32 s0, s26, 0xffffffec
	v_add3_u32 v14, s46, v2, 0x5f0
	s_add_co_i32 s0, s15, s0
	s_cmp_ge_u32 s26, s27
	s_mul_i32 s41, s29, 0x54
	s_cselect_b32 s0, s0, 20
	s_ashr_i32 s27, s26, 31
	s_cmp_eq_u32 s14, 0x84
	v_cmp_gt_i32_e32 vcc_lo, s0, v0
	s_cselect_b32 s1, -1, 0
	s_cmp_gt_i32 s20, 0
	s_mul_u64 s[42:43], s[26:27], 0x50
	s_cselect_b32 s35, -1, 0
	s_cmp_lg_u32 s13, 0x6f
	s_mov_b32 s14, s21
	s_cselect_b32 s13, -1, 0
	s_cmp_lg_u32 s12, 0x79
	s_mov_b32 s15, s21
	s_cselect_b32 s0, -1, 0
	s_or_b32 s31, s31, s13
	s_or_b32 s33, s0, s13
	s_cmp_gt_i32 s20, 3
	v_cndmask_b32_e64 v13, 0, 1, s0
	s_cselect_b32 s34, -1, 0
	s_and_b32 s35, vcc_lo, s35
	s_cmp_gt_u32 s29, 1
	v_cmp_gt_i32_e64 s0, s29, v0
	s_cselect_b32 s12, -1, 0
	s_and_b32 s36, s29, -2
	s_and_b32 s37, s12, s37
	s_cmp_lg_u32 s29, s36
	s_cselect_b32 s38, -1, 0
	s_cmp_gt_u32 s20, 1
	s_cselect_b32 s12, -1, 0
	s_and_b32 s39, s20, 0x7ffffffe
	s_and_b32 s40, s12, s40
	s_cmp_lg_u32 s20, s39
	s_cselect_b32 s26, -1, 0
	s_lshl_b64 s[44:45], s[6:7], 2
	s_lshl_b64 s[6:7], s[8:9], 2
	;; [unrolled: 1-line block ×4, first 2 shown]
	s_add_nc_u64 s[4:5], s[4:5], s[44:45]
	s_add_nc_u64 s[22:23], s[42:43], s[22:23]
	v_add_nc_u64_e32 v[0:1], s[4:5], v[2:3]
	s_add_nc_u64 s[10:11], s[10:11], s[22:23]
	s_lshl_b64 s[16:17], s[24:25], 2
	v_add_nc_u64_e32 v[4:5], s[10:11], v[2:3]
	v_add_nc_u32_e32 v3, v2, v6
	s_lshl_b32 s25, s29, 2
	s_wait_kmcnt 0x0
	s_lshl_b64 s[12:13], s[18:19], 2
	s_add_co_i32 s18, s41, 0xffffffa0
	s_add_co_i32 s19, s46, 0xffffffb0
	;; [unrolled: 1-line block ×4, first 2 shown]
	s_add_co_i32 s24, s25, -4
	s_addk_co_i32 s25, 0xffac
	s_branch .LBB25_3
.LBB25_2:                               ;   in Loop: Header=BB25_3 Depth=1
	s_or_b32 exec_lo, exec_lo, s27
	s_add_co_i32 s2, s2, 0x10000
	s_delay_alu instid0(SALU_CYCLE_1)
	s_cmp_lt_u32 s2, s28
	s_cbranch_scc0 .LBB25_97
.LBB25_3:                               ; =>This Loop Header: Depth=1
                                        ;     Child Loop BB25_6 Depth 2
                                        ;     Child Loop BB25_10 Depth 2
	;; [unrolled: 1-line block ×5, first 2 shown]
                                        ;       Child Loop BB25_27 Depth 3
                                        ;     Child Loop BB25_33 Depth 2
                                        ;       Child Loop BB25_34 Depth 3
                                        ;     Child Loop BB25_38 Depth 2
	;; [unrolled: 2-line block ×3, first 2 shown]
                                        ;     Child Loop BB25_52 Depth 2
                                        ;       Child Loop BB25_53 Depth 3
                                        ;       Child Loop BB25_55 Depth 3
                                        ;     Child Loop BB25_59 Depth 2
                                        ;       Child Loop BB25_60 Depth 3
                                        ;     Child Loop BB25_67 Depth 2
                                        ;     Child Loop BB25_72 Depth 2
                                        ;       Child Loop BB25_73 Depth 3
                                        ;       Child Loop BB25_75 Depth 3
                                        ;     Child Loop BB25_80 Depth 2
                                        ;       Child Loop BB25_81 Depth 3
                                        ;     Child Loop BB25_87 Depth 2
	;; [unrolled: 2-line block ×3, first 2 shown]
                                        ;     Child Loop BB25_96 Depth 2
	s_and_saveexec_b32 s27, s0
	s_cbranch_execz .LBB25_13
; %bb.4:                                ;   in Loop: Header=BB25_3 Depth=1
	s_and_not1_b32 vcc_lo, exec_lo, s37
	s_mul_u64 s[4:5], s[6:7], s[2:3]
	s_cbranch_vccnz .LBB25_8
; %bb.5:                                ;   in Loop: Header=BB25_3 Depth=1
	v_add_nc_u64_e32 v[6:7], s[4:5], v[0:1]
	s_mov_b32 s11, 1
	s_mov_b32 s41, 0
	;; [unrolled: 1-line block ×3, first 2 shown]
.LBB25_6:                               ;   Parent Loop BB25_3 Depth=1
                                        ; =>  This Inner Loop Header: Depth=2
	global_load_b64 v[8:9], v[6:7], off
	v_mad_u32 v10, 0x50, s41, v2
	v_mad_u32 v11, 0x50, s11, v2
	s_wait_xcnt 0x0
	v_add_nc_u64_e32 v[6:7], 8, v[6:7]
	s_add_co_i32 s42, s42, -2
	s_add_co_i32 s41, s41, 2
	s_add_co_i32 s11, s11, 2
	s_mov_b32 s10, s36
	s_mov_b32 s43, s38
	s_cmp_lg_u32 s42, 0
	s_wait_loadcnt 0x0
	ds_store_b32 v10, v8
	ds_store_b32 v11, v9
	s_cbranch_scc1 .LBB25_6
; %bb.7:                                ;   in Loop: Header=BB25_3 Depth=1
	s_and_b32 vcc_lo, exec_lo, s43
	s_cbranch_vccnz .LBB25_9
	s_branch .LBB25_11
.LBB25_8:                               ;   in Loop: Header=BB25_3 Depth=1
	s_mov_b32 s10, 0
	s_cbranch_execz .LBB25_11
.LBB25_9:                               ;   in Loop: Header=BB25_3 Depth=1
	s_mov_b32 s11, s3
	v_mad_u32 v8, 0x50, s10, v2
	s_mul_u64 s[42:43], s[8:9], s[10:11]
	s_delay_alu instid0(SALU_CYCLE_1) | instskip(NEXT) | instid1(SALU_CYCLE_1)
	s_add_nc_u64 s[4:5], s[42:43], s[4:5]
	v_add_nc_u64_e32 v[6:7], s[4:5], v[0:1]
	s_sub_co_i32 s4, s29, s10
.LBB25_10:                              ;   Parent Loop BB25_3 Depth=1
                                        ; =>  This Inner Loop Header: Depth=2
	global_load_b32 v9, v[6:7], off
	s_wait_xcnt 0x0
	v_add_nc_u64_e32 v[6:7], s[8:9], v[6:7]
	s_add_co_i32 s4, s4, -1
	s_delay_alu instid0(SALU_CYCLE_1)
	s_cmp_eq_u32 s4, 0
	s_wait_loadcnt 0x0
	ds_store_b32 v8, v9
	v_add_nc_u32_e32 v8, 0x50, v8
	s_cbranch_scc0 .LBB25_10
.LBB25_11:                              ;   in Loop: Header=BB25_3 Depth=1
	s_and_b32 vcc_lo, exec_lo, s1
	s_cbranch_vccz .LBB25_13
; %bb.12:                               ;   in Loop: Header=BB25_3 Depth=1
	ds_store_b32 v3, v15
.LBB25_13:                              ;   in Loop: Header=BB25_3 Depth=1
	s_or_b32 exec_lo, exec_lo, s27
	s_mul_u64 s[4:5], s[12:13], s[2:3]
	s_delay_alu instid0(SALU_CYCLE_1)
	v_add_nc_u64_e32 v[6:7], s[4:5], v[4:5]
	s_and_saveexec_b32 s27, s35
	s_cbranch_execz .LBB25_21
; %bb.14:                               ;   in Loop: Header=BB25_3 Depth=1
	s_and_not1_b32 vcc_lo, exec_lo, s40
	s_cbranch_vccnz .LBB25_18
; %bb.15:                               ;   in Loop: Header=BB25_3 Depth=1
	s_delay_alu instid0(VALU_DEP_1)
	v_mov_b64_e32 v[8:9], v[6:7]
	s_mov_b32 s11, 1
	s_mov_b32 s41, 0
	;; [unrolled: 1-line block ×3, first 2 shown]
.LBB25_16:                              ;   Parent Loop BB25_3 Depth=1
                                        ; =>  This Inner Loop Header: Depth=2
	global_load_b64 v[10:11], v[8:9], off
	v_mov_b64_e32 v[16:17], s[14:15]
	v_mad_u32 v18, 0x50, s41, v12
	v_mad_u32 v19, 0x50, s11, v12
	s_wait_xcnt 0x0
	v_add_nc_u64_e32 v[8:9], 8, v[8:9]
	s_add_co_i32 s42, s42, -2
	s_add_co_i32 s41, s41, 2
	s_add_co_i32 s11, s11, 2
	s_mov_b32 s10, s39
	s_mov_b32 s43, s26
	s_cmp_lg_u32 s42, 0
	s_wait_loadcnt 0x0
	v_pk_mul_f32 v[10:11], v[16:17], v[10:11]
	ds_store_b32 v18, v10
	ds_store_b32 v19, v11
	s_cbranch_scc1 .LBB25_16
; %bb.17:                               ;   in Loop: Header=BB25_3 Depth=1
	s_and_b32 vcc_lo, exec_lo, s43
	s_cbranch_vccnz .LBB25_19
	s_branch .LBB25_21
.LBB25_18:                              ;   in Loop: Header=BB25_3 Depth=1
	s_mov_b32 s10, 0
	s_cbranch_execz .LBB25_21
.LBB25_19:                              ;   in Loop: Header=BB25_3 Depth=1
	s_mov_b32 s11, s3
	v_mad_u32 v10, 0x50, s10, v12
	s_mul_u64 s[42:43], s[16:17], s[10:11]
	s_sub_co_i32 s10, s20, s10
	s_add_nc_u64 s[42:43], s[42:43], s[4:5]
	s_delay_alu instid0(SALU_CYCLE_1)
	v_add_nc_u64_e32 v[8:9], s[42:43], v[4:5]
.LBB25_20:                              ;   Parent Loop BB25_3 Depth=1
                                        ; =>  This Inner Loop Header: Depth=2
	global_load_b32 v11, v[8:9], off
	s_wait_xcnt 0x0
	v_add_nc_u64_e32 v[8:9], s[16:17], v[8:9]
	s_add_co_i32 s10, s10, -1
	s_delay_alu instid0(SALU_CYCLE_1)
	s_cmp_lg_u32 s10, 0
	s_wait_loadcnt 0x0
	v_mul_f32_e32 v11, s21, v11
	ds_store_b32 v10, v11
	v_add_nc_u32_e32 v10, 0x50, v10
	s_cbranch_scc1 .LBB25_20
.LBB25_21:                              ;   in Loop: Header=BB25_3 Depth=1
	s_or_b32 exec_lo, exec_lo, s27
	s_delay_alu instid0(SALU_CYCLE_1)
	s_and_b32 vcc_lo, exec_lo, s33
	s_mov_b32 s10, -1
	s_wait_dscnt 0x0
	; wave barrier
	s_cbranch_vccz .LBB25_77
; %bb.22:                               ;   in Loop: Header=BB25_3 Depth=1
	s_and_b32 vcc_lo, exec_lo, s31
	s_cbranch_vccz .LBB25_57
; %bb.23:                               ;   in Loop: Header=BB25_3 Depth=1
	v_cmp_ne_u32_e32 vcc_lo, 1, v13
	s_cbranch_vccnz .LBB25_36
; %bb.24:                               ;   in Loop: Header=BB25_3 Depth=1
	s_and_not1_b32 vcc_lo, exec_lo, s34
	s_mov_b32 s27, 0
	s_cbranch_vccnz .LBB25_30
; %bb.25:                               ;   in Loop: Header=BB25_3 Depth=1
	s_mov_b32 s10, 0
	s_mov_b32 s11, 0
.LBB25_26:                              ;   Parent Loop BB25_3 Depth=1
                                        ; =>  This Loop Header: Depth=2
                                        ;       Child Loop BB25_27 Depth 3
	s_delay_alu instid0(SALU_CYCLE_1) | instskip(SKIP_3) | instid1(SALU_CYCLE_1)
	v_mad_u32 v16, 0x50, s11, v12
	s_or_b32 s27, s11, 3
	s_cmp_eq_u32 s11, 0
	s_mulk_i32 s27, 0x50
	v_dual_mov_b32 v18, v12 :: v_dual_add_nc_u32 v17, s27, v12
	s_mov_b32 s27, s10
	s_mov_b32 s41, s11
	ds_load_2addr_b32 v[10:11], v16 offset1:20
	ds_load_b32 v8, v16 offset:160
	ds_load_b32 v9, v17
	s_cbranch_scc1 .LBB25_28
.LBB25_27:                              ;   Parent Loop BB25_3 Depth=1
                                        ;     Parent Loop BB25_26 Depth=2
                                        ; =>    This Inner Loop Header: Depth=3
	v_mov_b32_e32 v19, s27
	s_add_co_i32 s41, s41, -1
	s_addk_co_i32 s27, 0x50
	s_cmp_eq_u32 s41, 0
	ds_load_b32 v24, v18
	ds_load_b128 v[20:23], v19
	v_add_nc_u32_e32 v18, 0x50, v18
	s_wait_dscnt 0x0
	v_pk_fma_f32 v[10:11], v[24:25], v[20:21], v[10:11] op_sel_hi:[0,1,1] neg_lo:[1,0,0] neg_hi:[1,0,0]
	v_pk_fma_f32 v[8:9], v[24:25], v[22:23], v[8:9] op_sel_hi:[0,1,1] neg_lo:[1,0,0] neg_hi:[1,0,0]
	s_cbranch_scc0 .LBB25_27
.LBB25_28:                              ;   in Loop: Header=BB25_26 Depth=2
	s_lshl_b32 s27, s11, 2
	s_mul_i32 s41, s11, 0x50
	s_or_b32 s42, s27, 4
	s_add_co_i32 s41, s27, s41
	s_add_co_i32 s10, s10, 16
	v_mov_b32_e32 v24, s41
	s_addk_co_i32 s41, 0x54
	ds_load_b128 v[18:21], v24
	ds_load_2addr_b32 v[22:23], v24 offset0:21 offset1:22
	s_sub_co_i32 s41, s41, s42
	s_delay_alu instid0(SALU_CYCLE_1) | instskip(SKIP_3) | instid1(VALU_DEP_2)
	s_add_co_i32 s27, s41, s27
	s_wait_dscnt 0x1
	v_div_scale_f32 v25, null, v18, v18, v10
	v_div_scale_f32 v28, vcc_lo, v10, v18, v10
	v_rcp_f32_e32 v26, v25
	v_nop
	s_delay_alu instid0(TRANS32_DEP_1) | instskip(NEXT) | instid1(VALU_DEP_1)
	v_fma_f32 v27, -v25, v26, 1.0
	v_fmac_f32_e32 v26, v27, v26
	s_delay_alu instid0(VALU_DEP_1) | instskip(NEXT) | instid1(VALU_DEP_1)
	v_mul_f32_e32 v27, v28, v26
	v_fma_f32 v29, -v25, v27, v28
	s_delay_alu instid0(VALU_DEP_1) | instskip(NEXT) | instid1(VALU_DEP_1)
	v_fmac_f32_e32 v27, v29, v26
	v_fma_f32 v25, -v25, v27, v28
	s_delay_alu instid0(VALU_DEP_1) | instskip(NEXT) | instid1(VALU_DEP_1)
	v_div_fmas_f32 v25, v25, v26, v27
	v_div_fixup_f32 v18, v25, v18, v10
	s_delay_alu instid0(VALU_DEP_1)
	v_dual_fma_f32 v19, -v18, v19, v11 :: v_dual_fma_f32 v8, -v18, v20, v8
	ds_load_b32 v20, v24 offset:252
	v_fma_f32 v9, -v18, v21, v9
	s_wait_dscnt 0x1
	v_div_scale_f32 v25, null, v22, v22, v19
	v_div_scale_f32 v27, vcc_lo, v19, v22, v19
	s_delay_alu instid0(VALU_DEP_2) | instskip(SKIP_1) | instid1(TRANS32_DEP_1)
	v_rcp_f32_e32 v26, v25
	v_nop
	v_fma_f32 v10, -v25, v26, 1.0
	s_delay_alu instid0(VALU_DEP_1) | instskip(NEXT) | instid1(VALU_DEP_1)
	v_fmac_f32_e32 v26, v10, v26
	v_mul_f32_e32 v28, v27, v26
	s_delay_alu instid0(VALU_DEP_1) | instskip(NEXT) | instid1(VALU_DEP_1)
	v_fma_f32 v10, -v25, v28, v27
	v_fmac_f32_e32 v28, v10, v26
	ds_load_b64 v[10:11], v24 offset:168
	v_fma_f32 v25, -v25, v28, v27
	s_delay_alu instid0(VALU_DEP_1) | instskip(NEXT) | instid1(VALU_DEP_1)
	v_div_fmas_f32 v25, v25, v26, v28
	v_div_fixup_f32 v19, v25, v22, v19
	s_delay_alu instid0(VALU_DEP_1) | instskip(SKIP_3) | instid1(VALU_DEP_1)
	v_fma_f32 v8, -v19, v23, v8
	ds_store_2addr_b32 v16, v18, v19 offset1:20
	s_wait_dscnt 0x1
	v_div_scale_f32 v22, null, v10, v10, v8
	v_rcp_f32_e32 v23, v22
	v_nop
	s_delay_alu instid0(TRANS32_DEP_1) | instskip(NEXT) | instid1(VALU_DEP_1)
	v_fma_f32 v24, -v22, v23, 1.0
	v_dual_fmac_f32 v23, v24, v23 :: v_dual_mov_b32 v24, s27
	v_div_scale_f32 v25, vcc_lo, v8, v10, v8
	s_add_co_i32 s27, s11, 4
	s_add_co_i32 s11, s11, 7
	ds_load_b32 v24, v24 offset:12
	v_mul_f32_e32 v26, v25, v23
	s_cmp_ge_i32 s11, s29
	s_delay_alu instid0(VALU_DEP_1) | instskip(NEXT) | instid1(VALU_DEP_1)
	v_fma_f32 v27, -v22, v26, v25
	v_fmac_f32_e32 v26, v27, v23
	s_delay_alu instid0(VALU_DEP_1) | instskip(SKIP_2) | instid1(VALU_DEP_2)
	v_fma_f32 v22, -v22, v26, v25
	s_wait_dscnt 0x0
	v_fma_f32 v9, -v19, v24, v9
	v_div_fmas_f32 v21, v22, v23, v26
	s_delay_alu instid0(VALU_DEP_1) | instskip(NEXT) | instid1(VALU_DEP_1)
	v_div_fixup_f32 v8, v21, v10, v8
	v_fma_f32 v9, -v8, v11, v9
	s_delay_alu instid0(VALU_DEP_1) | instskip(SKIP_1) | instid1(VALU_DEP_2)
	v_div_scale_f32 v10, null, v20, v20, v9
	v_div_scale_f32 v22, vcc_lo, v9, v20, v9
	v_rcp_f32_e32 v11, v10
	v_nop
	s_delay_alu instid0(TRANS32_DEP_1) | instskip(NEXT) | instid1(VALU_DEP_1)
	v_fma_f32 v21, -v10, v11, 1.0
	v_fmac_f32_e32 v11, v21, v11
	s_delay_alu instid0(VALU_DEP_1) | instskip(NEXT) | instid1(VALU_DEP_1)
	v_mul_f32_e32 v21, v22, v11
	v_fma_f32 v23, -v10, v21, v22
	s_delay_alu instid0(VALU_DEP_1) | instskip(NEXT) | instid1(VALU_DEP_1)
	v_fmac_f32_e32 v21, v23, v11
	v_fma_f32 v10, -v10, v21, v22
	s_delay_alu instid0(VALU_DEP_1) | instskip(NEXT) | instid1(VALU_DEP_1)
	v_div_fmas_f32 v10, v10, v11, v21
	v_div_fixup_f32 v9, v10, v20, v9
	ds_store_b32 v16, v8 offset:160
	ds_store_b32 v17, v9
	s_cbranch_scc1 .LBB25_30
; %bb.29:                               ;   in Loop: Header=BB25_26 Depth=2
	s_mov_b32 s11, s27
	s_branch .LBB25_26
.LBB25_30:                              ;   in Loop: Header=BB25_3 Depth=1
	s_cmp_ge_i32 s27, s29
	s_cbranch_scc1 .LBB25_35
; %bb.31:                               ;   in Loop: Header=BB25_3 Depth=1
	s_lshl_b32 s10, s27, 2
	s_branch .LBB25_33
.LBB25_32:                              ;   in Loop: Header=BB25_33 Depth=2
	s_lshl_b32 s41, s27, 2
	s_add_co_i32 s27, s27, 1
	s_add_co_i32 s11, s41, s11
	;; [unrolled: 1-line block ×3, first 2 shown]
	v_mov_b32_e32 v10, s11
	s_cmp_ge_i32 s27, s29
	ds_load_b32 v10, v10
	s_wait_dscnt 0x0
	v_div_scale_f32 v11, null, v10, v10, v9
	s_delay_alu instid0(VALU_DEP_1) | instskip(SKIP_1) | instid1(TRANS32_DEP_1)
	v_rcp_f32_e32 v16, v11
	v_nop
	v_fma_f32 v17, -v11, v16, 1.0
	s_delay_alu instid0(VALU_DEP_1) | instskip(SKIP_1) | instid1(VALU_DEP_1)
	v_fmac_f32_e32 v16, v17, v16
	v_div_scale_f32 v17, vcc_lo, v9, v10, v9
	v_mul_f32_e32 v18, v17, v16
	s_delay_alu instid0(VALU_DEP_1) | instskip(NEXT) | instid1(VALU_DEP_1)
	v_fma_f32 v19, -v11, v18, v17
	v_fmac_f32_e32 v18, v19, v16
	s_delay_alu instid0(VALU_DEP_1) | instskip(NEXT) | instid1(VALU_DEP_1)
	v_fma_f32 v11, -v11, v18, v17
	v_div_fmas_f32 v11, v11, v16, v18
	s_delay_alu instid0(VALU_DEP_1)
	v_div_fixup_f32 v9, v11, v10, v9
	ds_store_b32 v8, v9
	s_cbranch_scc1 .LBB25_35
.LBB25_33:                              ;   Parent Loop BB25_3 Depth=1
                                        ; =>  This Loop Header: Depth=2
                                        ;       Child Loop BB25_34 Depth 3
	s_mul_i32 s11, s27, 0x50
	s_cmp_eq_u32 s27, 0
	v_dual_add_nc_u32 v8, s11, v12 :: v_dual_mov_b32 v10, v12
	s_mov_b32 s41, s10
	s_mov_b32 s42, s27
	ds_load_b32 v9, v8
	s_cbranch_scc1 .LBB25_32
.LBB25_34:                              ;   Parent Loop BB25_3 Depth=1
                                        ;     Parent Loop BB25_33 Depth=2
                                        ; =>    This Inner Loop Header: Depth=3
	v_mov_b32_e32 v11, s41
	s_add_co_i32 s42, s42, -1
	s_addk_co_i32 s41, 0x50
	s_cmp_eq_u32 s42, 0
	ds_load_b32 v16, v10
	ds_load_b32 v11, v11
	v_add_nc_u32_e32 v10, 0x50, v10
	s_wait_dscnt 0x0
	v_fma_f32 v9, -v16, v11, v9
	s_cbranch_scc0 .LBB25_34
	s_branch .LBB25_32
.LBB25_35:                              ;   in Loop: Header=BB25_3 Depth=1
	s_mov_b32 s10, 0
.LBB25_36:                              ;   in Loop: Header=BB25_3 Depth=1
	s_delay_alu instid0(SALU_CYCLE_1)
	s_and_b32 vcc_lo, exec_lo, s10
	s_cbranch_vccz .LBB25_56
; %bb.37:                               ;   in Loop: Header=BB25_3 Depth=1
	s_mov_b32 s27, s30
	s_and_not1_b32 vcc_lo, exec_lo, s34
	s_mov_b32 s10, s18
	s_mov_b32 s11, s30
	s_cbranch_vccnz .LBB25_43
.LBB25_38:                              ;   Parent Loop BB25_3 Depth=1
                                        ; =>  This Loop Header: Depth=2
                                        ;       Child Loop BB25_39 Depth 3
	s_mul_i32 s27, s11, 0x50
	s_mov_b32 s41, s10
	v_add_nc_u32_e32 v16, s27, v12
	s_addk_co_i32 s27, 0xff10
	s_cmp_le_i32 s30, s11
	v_add_nc_u32_e32 v19, s27, v12
	s_mov_b32 s42, s30
	v_dual_mov_b32 v20, v14 :: v_dual_add_nc_u32 v17, 0xffffffb0, v16
	v_add_nc_u32_e32 v18, 0xffffff60, v16
	ds_load_b32 v11, v16
	ds_load_b32 v10, v17
	;; [unrolled: 1-line block ×4, first 2 shown]
	s_cbranch_scc1 .LBB25_40
.LBB25_39:                              ;   Parent Loop BB25_3 Depth=1
                                        ;     Parent Loop BB25_38 Depth=2
                                        ; =>    This Inner Loop Header: Depth=3
	v_mov_b32_e32 v21, s41
	s_add_co_i32 s42, s42, -1
	s_addk_co_i32 s41, 0xffb0
	s_cmp_le_i32 s42, s11
	ds_load_b32 v22, v20
	ds_load_2addr_b32 v[24:25], v21 offset0:2 offset1:3
	ds_load_2addr_b32 v[26:27], v21 offset1:1
	v_add_nc_u32_e32 v20, 0xffffffb0, v20
	s_wait_dscnt 0x1
	v_pk_fma_f32 v[10:11], v[22:23], v[24:25], v[10:11] op_sel_hi:[0,1,1] neg_lo:[1,0,0] neg_hi:[1,0,0]
	s_wait_dscnt 0x0
	v_pk_fma_f32 v[8:9], v[22:23], v[26:27], v[8:9] op_sel_hi:[0,1,1] neg_lo:[1,0,0] neg_hi:[1,0,0]
	s_cbranch_scc0 .LBB25_39
.LBB25_40:                              ;   in Loop: Header=BB25_38 Depth=2
	s_add_co_i32 s41, s11, -3
; %bb.41:                               ;   in Loop: Header=BB25_38 Depth=2
	s_mul_i32 s42, s11, 0x54
	s_lshl_b32 s41, s41, 2
	s_add_co_i32 s43, s42, -4
	s_add_co_i32 s42, s42, -12
	v_mov_b32_e32 v20, s43
	s_add_co_i32 s43, s11, -1
	s_add_co_i32 s27, s41, s27
	s_lshl_b32 s44, s43, 2
	s_mulk_i32 s43, 0x50
	s_add_co_i32 s10, s10, -16
	s_add_co_i32 s44, s44, s43
	s_add_co_i32 s43, s41, s43
	v_mov_b32_e32 v22, s44
	ds_load_2addr_b32 v[20:21], v20 offset1:1
	v_dual_mov_b32 v23, s42 :: v_dual_mov_b32 v24, s43
	s_lshl_b32 s42, s11, 2
	ds_load_b32 v26, v22
	ds_load_2addr_b32 v[22:23], v23 offset1:1
	ds_load_2addr_b32 v[24:25], v24 offset1:1
	s_sub_co_i32 s42, s44, s42
	s_delay_alu instid0(SALU_CYCLE_1) | instskip(NEXT) | instid1(SALU_CYCLE_1)
	s_add_co_i32 s42, s42, s41
	s_addk_co_i32 s42, 0xffb4
	s_wait_dscnt 0x3
	v_div_scale_f32 v27, null, v21, v21, v11
	v_div_scale_f32 v30, vcc_lo, v11, v21, v11
	s_delay_alu instid0(VALU_DEP_2) | instskip(SKIP_1) | instid1(TRANS32_DEP_1)
	v_rcp_f32_e32 v28, v27
	v_nop
	v_fma_f32 v29, -v27, v28, 1.0
	s_delay_alu instid0(VALU_DEP_1) | instskip(NEXT) | instid1(VALU_DEP_1)
	v_fmac_f32_e32 v28, v29, v28
	v_mul_f32_e32 v29, v30, v28
	s_delay_alu instid0(VALU_DEP_1) | instskip(NEXT) | instid1(VALU_DEP_1)
	v_fma_f32 v31, -v27, v29, v30
	v_fmac_f32_e32 v29, v31, v28
	s_delay_alu instid0(VALU_DEP_1) | instskip(NEXT) | instid1(VALU_DEP_1)
	v_fma_f32 v27, -v27, v29, v30
	v_div_fmas_f32 v27, v27, v28, v29
	s_delay_alu instid0(VALU_DEP_1) | instskip(NEXT) | instid1(VALU_DEP_1)
	v_div_fixup_f32 v21, v27, v21, v11
	v_dual_mov_b32 v11, s42 :: v_dual_fma_f32 v20, -v21, v20, v10
	s_wait_dscnt 0x1
	v_dual_fma_f32 v8, -v21, v22, v8 :: v_dual_fma_f32 v9, -v21, v23, v9
	v_mov_b32_e32 v23, s27
	s_add_co_i32 s27, s11, -4
	v_div_scale_f32 v27, null, v26, v26, v20
	v_div_scale_f32 v29, vcc_lo, v20, v26, v20
	s_cmp_lt_i32 s11, 7
	v_rcp_f32_e32 v28, v27
	ds_load_b32 v23, v23
	v_nop
	v_fma_f32 v10, -v27, v28, 1.0
	s_delay_alu instid0(VALU_DEP_1) | instskip(NEXT) | instid1(VALU_DEP_1)
	v_fmac_f32_e32 v28, v10, v28
	v_mul_f32_e32 v30, v29, v28
	s_delay_alu instid0(VALU_DEP_1) | instskip(NEXT) | instid1(VALU_DEP_1)
	v_fma_f32 v10, -v27, v30, v29
	v_fmac_f32_e32 v30, v10, v28
	ds_load_2addr_b32 v[10:11], v11 offset1:1
	v_fma_f32 v27, -v27, v30, v29
	s_delay_alu instid0(VALU_DEP_1) | instskip(NEXT) | instid1(VALU_DEP_1)
	v_div_fmas_f32 v27, v27, v28, v30
	v_div_fixup_f32 v20, v27, v26, v20
	s_wait_dscnt 0x2
	s_delay_alu instid0(VALU_DEP_1) | instskip(SKIP_1) | instid1(VALU_DEP_1)
	v_dual_fma_f32 v9, -v20, v25, v9 :: v_dual_fma_f32 v8, -v20, v24, v8
	s_wait_dscnt 0x0
	v_div_scale_f32 v25, null, v11, v11, v9
	s_delay_alu instid0(VALU_DEP_1) | instskip(SKIP_1) | instid1(TRANS32_DEP_1)
	v_rcp_f32_e32 v26, v25
	v_nop
	v_fma_f32 v27, -v25, v26, 1.0
	s_delay_alu instid0(VALU_DEP_1) | instskip(SKIP_1) | instid1(VALU_DEP_1)
	v_fmac_f32_e32 v26, v27, v26
	v_div_scale_f32 v28, vcc_lo, v9, v11, v9
	v_mul_f32_e32 v27, v28, v26
	s_delay_alu instid0(VALU_DEP_1) | instskip(NEXT) | instid1(VALU_DEP_1)
	v_fma_f32 v29, -v25, v27, v28
	v_fmac_f32_e32 v27, v29, v26
	s_delay_alu instid0(VALU_DEP_1) | instskip(NEXT) | instid1(VALU_DEP_1)
	v_fma_f32 v25, -v25, v27, v28
	v_div_fmas_f32 v22, v25, v26, v27
	s_delay_alu instid0(VALU_DEP_1) | instskip(NEXT) | instid1(VALU_DEP_1)
	v_div_fixup_f32 v9, v22, v11, v9
	v_fma_f32 v8, -v9, v10, v8
	s_delay_alu instid0(VALU_DEP_1) | instskip(SKIP_1) | instid1(VALU_DEP_2)
	v_div_scale_f32 v10, null, v23, v23, v8
	v_div_scale_f32 v24, vcc_lo, v8, v23, v8
	v_rcp_f32_e32 v11, v10
	v_nop
	s_delay_alu instid0(TRANS32_DEP_1) | instskip(NEXT) | instid1(VALU_DEP_1)
	v_fma_f32 v22, -v10, v11, 1.0
	v_fmac_f32_e32 v11, v22, v11
	s_delay_alu instid0(VALU_DEP_1) | instskip(NEXT) | instid1(VALU_DEP_1)
	v_mul_f32_e32 v22, v24, v11
	v_fma_f32 v25, -v10, v22, v24
	s_delay_alu instid0(VALU_DEP_1) | instskip(NEXT) | instid1(VALU_DEP_1)
	v_fmac_f32_e32 v22, v25, v11
	v_fma_f32 v10, -v10, v22, v24
	s_delay_alu instid0(VALU_DEP_1) | instskip(NEXT) | instid1(VALU_DEP_1)
	v_div_fmas_f32 v10, v10, v11, v22
	v_div_fixup_f32 v8, v10, v23, v8
	ds_store_b32 v16, v21
	ds_store_b32 v17, v20
	ds_store_b32 v18, v9
	ds_store_b32 v19, v8
	s_cbranch_scc1 .LBB25_43
; %bb.42:                               ;   in Loop: Header=BB25_38 Depth=2
	s_mov_b32 s11, s27
	s_branch .LBB25_38
.LBB25_43:                              ;   in Loop: Header=BB25_3 Depth=1
	s_cmp_lt_i32 s27, 0
	s_cbranch_scc1 .LBB25_56
; %bb.44:                               ;   in Loop: Header=BB25_3 Depth=1
	s_bitcmp1_b32 s27, 0
	s_cselect_b32 s10, -1, 0
	s_delay_alu instid0(SALU_CYCLE_1)
	s_and_b32 vcc_lo, exec_lo, s10
	s_mov_b32 s10, s27
	s_cbranch_vccnz .LBB25_49
; %bb.45:                               ;   in Loop: Header=BB25_3 Depth=1
	s_mul_i32 s10, s27, 0x50
	s_cmp_le_i32 s30, s27
	v_add_nc_u32_e32 v8, s10, v12
	ds_load_b32 v9, v8
	s_cbranch_scc1 .LBB25_48
; %bb.46:                               ;   in Loop: Header=BB25_3 Depth=1
	v_mov_b32_e32 v10, v14
	s_lshl_b32 s11, s27, 2
	s_mov_b32 s41, s30
	s_add_co_i32 s11, s19, s11
.LBB25_47:                              ;   Parent Loop BB25_3 Depth=1
                                        ; =>  This Inner Loop Header: Depth=2
	s_delay_alu instid0(SALU_CYCLE_1)
	v_mov_b32_e32 v11, s11
	s_add_co_i32 s41, s41, -1
	s_addk_co_i32 s11, 0xffb0
	s_cmp_gt_i32 s41, s27
	ds_load_b32 v16, v10
	ds_load_b32 v11, v11
	v_add_nc_u32_e32 v10, 0xffffffb0, v10
	s_wait_dscnt 0x0
	v_fma_f32 v9, -v16, v11, v9
	s_cbranch_scc1 .LBB25_47
.LBB25_48:                              ;   in Loop: Header=BB25_3 Depth=1
	s_lshl_b32 s11, s27, 2
	s_delay_alu instid0(SALU_CYCLE_1) | instskip(NEXT) | instid1(SALU_CYCLE_1)
	s_add_co_i32 s10, s11, s10
	v_mov_b32_e32 v10, s10
	s_add_co_i32 s10, s27, -1
	ds_load_b32 v10, v10
	s_wait_dscnt 0x0
	v_div_scale_f32 v11, null, v10, v10, v9
	s_delay_alu instid0(VALU_DEP_1) | instskip(SKIP_1) | instid1(TRANS32_DEP_1)
	v_rcp_f32_e32 v16, v11
	v_nop
	v_fma_f32 v17, -v11, v16, 1.0
	s_delay_alu instid0(VALU_DEP_1) | instskip(SKIP_1) | instid1(VALU_DEP_1)
	v_fmac_f32_e32 v16, v17, v16
	v_div_scale_f32 v17, vcc_lo, v9, v10, v9
	v_mul_f32_e32 v18, v17, v16
	s_delay_alu instid0(VALU_DEP_1) | instskip(NEXT) | instid1(VALU_DEP_1)
	v_fma_f32 v19, -v11, v18, v17
	v_fmac_f32_e32 v18, v19, v16
	s_delay_alu instid0(VALU_DEP_1) | instskip(NEXT) | instid1(VALU_DEP_1)
	v_fma_f32 v11, -v11, v18, v17
	v_div_fmas_f32 v11, v11, v16, v18
	s_delay_alu instid0(VALU_DEP_1)
	v_div_fixup_f32 v9, v11, v10, v9
	ds_store_b32 v8, v9
.LBB25_49:                              ;   in Loop: Header=BB25_3 Depth=1
	s_cmp_eq_u32 s27, 0
	s_cbranch_scc1 .LBB25_56
; %bb.50:                               ;   in Loop: Header=BB25_3 Depth=1
	s_lshl_b32 s27, s10, 2
	s_delay_alu instid0(SALU_CYCLE_1)
	s_add_co_i32 s11, s19, s27
	s_add_co_i32 s27, s22, s27
	s_branch .LBB25_52
.LBB25_51:                              ;   in Loop: Header=BB25_52 Depth=2
	s_addk_co_i32 s41, 0xffac
	s_add_co_i32 s11, s11, -8
	v_mov_b32_e32 v8, s41
	s_add_co_i32 s41, s10, -2
	s_add_co_i32 s27, s27, -8
	s_cmp_lt_i32 s10, 2
	s_mov_b32 s10, s41
	ds_load_b32 v8, v8
	s_wait_dscnt 0x0
	v_div_scale_f32 v10, null, v8, v8, v11
	v_div_scale_f32 v18, vcc_lo, v11, v8, v11
	s_delay_alu instid0(VALU_DEP_2) | instskip(SKIP_1) | instid1(TRANS32_DEP_1)
	v_rcp_f32_e32 v16, v10
	v_nop
	v_fma_f32 v17, -v10, v16, 1.0
	s_delay_alu instid0(VALU_DEP_1) | instskip(NEXT) | instid1(VALU_DEP_1)
	v_fmac_f32_e32 v16, v17, v16
	v_mul_f32_e32 v17, v18, v16
	s_delay_alu instid0(VALU_DEP_1) | instskip(NEXT) | instid1(VALU_DEP_1)
	v_fma_f32 v19, -v10, v17, v18
	v_fmac_f32_e32 v17, v19, v16
	s_delay_alu instid0(VALU_DEP_1) | instskip(NEXT) | instid1(VALU_DEP_1)
	v_fma_f32 v10, -v10, v17, v18
	v_div_fmas_f32 v10, v10, v16, v17
	s_delay_alu instid0(VALU_DEP_1)
	v_div_fixup_f32 v8, v10, v8, v11
	ds_store_b32 v9, v8
	s_cbranch_scc1 .LBB25_56
.LBB25_52:                              ;   Parent Loop BB25_3 Depth=1
                                        ; =>  This Loop Header: Depth=2
                                        ;       Child Loop BB25_53 Depth 3
                                        ;       Child Loop BB25_55 Depth 3
	s_mul_i32 s42, s10, 0x50
	s_cmp_le_i32 s30, s10
	v_dual_mov_b32 v9, v14 :: v_dual_add_nc_u32 v8, s42, v12
	s_mov_b32 s41, s11
	s_mov_b32 s43, s30
	ds_load_b32 v10, v8
	s_cbranch_scc1 .LBB25_54
.LBB25_53:                              ;   Parent Loop BB25_3 Depth=1
                                        ;     Parent Loop BB25_52 Depth=2
                                        ; =>    This Inner Loop Header: Depth=3
	v_mov_b32_e32 v11, s41
	s_add_co_i32 s43, s43, -1
	s_addk_co_i32 s41, 0xffb0
	s_cmp_le_i32 s43, s10
	ds_load_b32 v16, v9
	ds_load_b32 v11, v11
	v_add_nc_u32_e32 v9, 0xffffffb0, v9
	s_wait_dscnt 0x0
	v_fma_f32 v10, -v16, v11, v10
	s_cbranch_scc0 .LBB25_53
.LBB25_54:                              ;   in Loop: Header=BB25_52 Depth=2
	s_lshl_b32 s41, s10, 2
	s_mov_b32 s43, s29
	s_add_co_i32 s41, s41, s42
	s_addk_co_i32 s42, 0xffb0
	v_mov_b32_e32 v9, s41
	s_cmp_le_i32 s29, s10
	ds_load_b32 v16, v9
	s_wait_dscnt 0x0
	v_div_scale_f32 v17, null, v16, v16, v10
	s_delay_alu instid0(VALU_DEP_1) | instskip(SKIP_1) | instid1(TRANS32_DEP_1)
	v_rcp_f32_e32 v18, v17
	v_nop
	v_fma_f32 v19, -v17, v18, 1.0
	s_delay_alu instid0(VALU_DEP_1) | instskip(SKIP_3) | instid1(VALU_DEP_2)
	v_fmac_f32_e32 v18, v19, v18
	v_div_scale_f32 v19, vcc_lo, v10, v16, v10
	v_add_nc_u32_e32 v9, s42, v12
	s_mov_b32 s42, s27
	v_mul_f32_e32 v20, v19, v18
	ds_load_b32 v11, v9
	v_fma_f32 v21, -v17, v20, v19
	s_delay_alu instid0(VALU_DEP_1) | instskip(NEXT) | instid1(VALU_DEP_1)
	v_fmac_f32_e32 v20, v21, v18
	v_fma_f32 v17, -v17, v20, v19
	s_delay_alu instid0(VALU_DEP_1) | instskip(NEXT) | instid1(VALU_DEP_1)
	v_div_fmas_f32 v17, v17, v18, v20
	v_div_fixup_f32 v16, v17, v16, v10
	v_mov_b32_e32 v10, v14
	ds_store_b32 v8, v16
	s_cbranch_scc1 .LBB25_51
.LBB25_55:                              ;   Parent Loop BB25_3 Depth=1
                                        ;     Parent Loop BB25_52 Depth=2
                                        ; =>    This Inner Loop Header: Depth=3
	v_mov_b32_e32 v8, s42
	s_add_co_i32 s43, s43, -1
	s_addk_co_i32 s42, 0xffb0
	s_cmp_gt_i32 s43, s10
	ds_load_b32 v16, v10
	ds_load_b32 v8, v8
	v_add_nc_u32_e32 v10, 0xffffffb0, v10
	s_wait_dscnt 0x0
	v_fma_f32 v11, -v16, v8, v11
	s_cbranch_scc1 .LBB25_55
	s_branch .LBB25_51
.LBB25_56:                              ;   in Loop: Header=BB25_3 Depth=1
	s_mov_b32 s10, 0
.LBB25_57:                              ;   in Loop: Header=BB25_3 Depth=1
	s_delay_alu instid0(SALU_CYCLE_1)
	s_and_not1_b32 vcc_lo, exec_lo, s10
	s_cbranch_vccnz .LBB25_76
; %bb.58:                               ;   in Loop: Header=BB25_3 Depth=1
	s_mov_b32 s27, s30
	s_and_not1_b32 vcc_lo, exec_lo, s34
	s_mov_b32 s10, s23
	s_mov_b32 s11, s30
	s_cbranch_vccnz .LBB25_63
.LBB25_59:                              ;   Parent Loop BB25_3 Depth=1
                                        ; =>  This Loop Header: Depth=2
                                        ;       Child Loop BB25_60 Depth 3
	s_mul_i32 s27, s11, 20
	s_cmp_le_i32 s30, s11
	v_lshl_add_u32 v16, s27, 2, v12
	s_mov_b32 s41, s10
	s_mov_b32 s42, s30
	s_delay_alu instid0(VALU_DEP_1)
	v_dual_mov_b32 v20, v14 :: v_dual_add_nc_u32 v17, 0xffffffb0, v16
	v_add_nc_u32_e32 v18, 0xffffff60, v16
	v_add_nc_u32_e32 v19, 0xffffff10, v16
	ds_load_b32 v10, v16
	ds_load_b32 v11, v17
	;; [unrolled: 1-line block ×4, first 2 shown]
	s_cbranch_scc1 .LBB25_61
.LBB25_60:                              ;   Parent Loop BB25_3 Depth=1
                                        ;     Parent Loop BB25_59 Depth=2
                                        ; =>    This Inner Loop Header: Depth=3
	v_mov_b32_e32 v21, s41
	s_add_co_i32 s42, s42, -1
	s_add_co_i32 s41, s41, -4
	s_cmp_le_i32 s42, s11
	ds_load_2addr_b32 v[22:23], v21 offset0:40 offset1:60
	ds_load_2addr_b32 v[24:25], v21 offset1:20
	ds_load_b32 v26, v20
	v_add_nc_u32_e32 v20, 0xffffffb0, v20
	s_wait_dscnt 0x2
	v_dual_mov_b32 v28, v23 :: v_dual_mov_b32 v29, v22
	s_wait_dscnt 0x1
	v_dual_mov_b32 v22, v25 :: v_dual_mov_b32 v23, v24
	s_wait_dscnt 0x0
	s_delay_alu instid0(VALU_DEP_2) | instskip(NEXT) | instid1(VALU_DEP_2)
	v_pk_fma_f32 v[10:11], v[26:27], v[28:29], v[10:11] op_sel_hi:[0,1,1] neg_lo:[1,0,0] neg_hi:[1,0,0]
	v_pk_fma_f32 v[8:9], v[26:27], v[22:23], v[8:9] op_sel_hi:[0,1,1] neg_lo:[1,0,0] neg_hi:[1,0,0]
	s_cbranch_scc0 .LBB25_60
.LBB25_61:                              ;   in Loop: Header=BB25_59 Depth=2
	s_mul_i32 s41, s11, 0x54
	s_lshl_b32 s27, s27, 2
	v_mov_b32_e32 v20, s41
	s_lshl_b32 s41, s11, 2
	s_addk_co_i32 s10, 0xfec0
	s_add_co_i32 s27, s27, s41
	s_delay_alu instid0(SALU_CYCLE_1) | instskip(SKIP_4) | instid1(SALU_CYCLE_1)
	s_add_co_i32 s42, s27, 0xffffff60
	s_add_co_i32 s41, s27, 0xffffffac
	v_mov_b32_e32 v22, s42
	ds_load_b32 v24, v20
	s_add_co_i32 s43, s27, 0xffffff58
	v_dual_mov_b32 v20, s41 :: v_dual_mov_b32 v23, s43
	ds_load_2addr_b32 v[20:21], v20 offset1:1
	ds_load_b32 v25, v22
	ds_load_2addr_b32 v[22:23], v23 offset1:1
	s_add_co_i32 s41, s27, 0xffffff0c
	s_addk_co_i32 s27, 0xff04
	s_wait_dscnt 0x3
	v_div_scale_f32 v26, null, v24, v24, v10
	v_div_scale_f32 v29, vcc_lo, v10, v24, v10
	s_delay_alu instid0(VALU_DEP_2) | instskip(SKIP_1) | instid1(TRANS32_DEP_1)
	v_rcp_f32_e32 v27, v26
	v_nop
	v_fma_f32 v28, -v26, v27, 1.0
	s_delay_alu instid0(VALU_DEP_1) | instskip(NEXT) | instid1(VALU_DEP_1)
	v_fmac_f32_e32 v27, v28, v27
	v_mul_f32_e32 v28, v29, v27
	s_delay_alu instid0(VALU_DEP_1) | instskip(NEXT) | instid1(VALU_DEP_1)
	v_fma_f32 v30, -v26, v28, v29
	v_fmac_f32_e32 v28, v30, v27
	s_delay_alu instid0(VALU_DEP_1) | instskip(NEXT) | instid1(VALU_DEP_1)
	v_fma_f32 v26, -v26, v28, v29
	v_div_fmas_f32 v26, v26, v27, v28
	s_delay_alu instid0(VALU_DEP_1) | instskip(SKIP_1) | instid1(VALU_DEP_1)
	v_div_fixup_f32 v24, v26, v24, v10
	s_wait_dscnt 0x2
	v_fma_f32 v10, -v24, v21, v11
	s_wait_dscnt 0x1
	v_fma_f32 v8, -v24, v25, v8
	s_delay_alu instid0(VALU_DEP_2) | instskip(SKIP_1) | instid1(VALU_DEP_2)
	v_div_scale_f32 v11, null, v20, v20, v10
	v_div_scale_f32 v27, vcc_lo, v10, v20, v10
	v_rcp_f32_e32 v21, v11
	v_nop
	s_delay_alu instid0(TRANS32_DEP_1) | instskip(NEXT) | instid1(VALU_DEP_1)
	v_fma_f32 v26, -v11, v21, 1.0
	v_fmac_f32_e32 v21, v26, v21
	s_delay_alu instid0(VALU_DEP_1) | instskip(NEXT) | instid1(VALU_DEP_1)
	v_mul_f32_e32 v26, v27, v21
	v_fma_f32 v28, -v11, v26, v27
	s_delay_alu instid0(VALU_DEP_1) | instskip(NEXT) | instid1(VALU_DEP_1)
	v_fmac_f32_e32 v26, v28, v21
	v_fma_f32 v11, -v11, v26, v27
	s_delay_alu instid0(VALU_DEP_1) | instskip(NEXT) | instid1(VALU_DEP_1)
	v_div_fmas_f32 v11, v11, v21, v26
	v_div_fixup_f32 v25, v11, v20, v10
	s_wait_dscnt 0x0
	s_delay_alu instid0(VALU_DEP_1) | instskip(NEXT) | instid1(VALU_DEP_1)
	v_fma_f32 v8, -v25, v23, v8
	v_div_scale_f32 v23, null, v22, v22, v8
	v_div_scale_f32 v27, vcc_lo, v8, v22, v8
	s_delay_alu instid0(VALU_DEP_2) | instskip(SKIP_1) | instid1(TRANS32_DEP_1)
	v_rcp_f32_e32 v26, v23
	v_nop
	v_fma_f32 v10, -v23, v26, 1.0
	s_delay_alu instid0(VALU_DEP_1) | instskip(NEXT) | instid1(VALU_DEP_1)
	v_dual_fmac_f32 v26, v10, v26 :: v_dual_mov_b32 v11, s41
	v_mul_f32_e32 v28, v27, v26
	ds_load_2addr_b32 v[10:11], v11 offset1:1
	v_mov_b32_e32 v20, s27
	s_add_co_i32 s27, s11, -4
	s_cmp_lt_i32 s11, 7
	v_fma_f32 v29, -v23, v28, v27
	ds_load_2addr_b32 v[20:21], v20 offset1:1
	s_wait_dscnt 0x1
	v_dual_fmac_f32 v28, v29, v26 :: v_dual_fma_f32 v9, -v24, v11, v9
	s_delay_alu instid0(VALU_DEP_1) | instskip(NEXT) | instid1(VALU_DEP_1)
	v_dual_fma_f32 v23, -v23, v28, v27 :: v_dual_fma_f32 v9, -v25, v10, v9
	v_div_fmas_f32 v11, v23, v26, v28
	s_delay_alu instid0(VALU_DEP_1) | instskip(SKIP_1) | instid1(VALU_DEP_1)
	v_div_fixup_f32 v8, v11, v22, v8
	s_wait_dscnt 0x0
	v_fma_f32 v9, -v8, v21, v9
	s_delay_alu instid0(VALU_DEP_1) | instskip(NEXT) | instid1(VALU_DEP_1)
	v_div_scale_f32 v10, null, v20, v20, v9
	v_rcp_f32_e32 v11, v10
	v_nop
	s_delay_alu instid0(TRANS32_DEP_1) | instskip(NEXT) | instid1(VALU_DEP_1)
	v_fma_f32 v21, -v10, v11, 1.0
	v_fmac_f32_e32 v11, v21, v11
	v_div_scale_f32 v22, vcc_lo, v9, v20, v9
	s_delay_alu instid0(VALU_DEP_1) | instskip(NEXT) | instid1(VALU_DEP_1)
	v_mul_f32_e32 v21, v22, v11
	v_fma_f32 v23, -v10, v21, v22
	s_delay_alu instid0(VALU_DEP_1) | instskip(NEXT) | instid1(VALU_DEP_1)
	v_fmac_f32_e32 v21, v23, v11
	v_fma_f32 v10, -v10, v21, v22
	s_delay_alu instid0(VALU_DEP_1) | instskip(NEXT) | instid1(VALU_DEP_1)
	v_div_fmas_f32 v10, v10, v11, v21
	v_div_fixup_f32 v9, v10, v20, v9
	ds_store_b32 v16, v24
	ds_store_b32 v17, v25
	;; [unrolled: 1-line block ×4, first 2 shown]
	s_cbranch_scc1 .LBB25_63
; %bb.62:                               ;   in Loop: Header=BB25_59 Depth=2
	s_mov_b32 s11, s27
	s_branch .LBB25_59
.LBB25_63:                              ;   in Loop: Header=BB25_3 Depth=1
	s_cmp_lt_i32 s27, 0
	s_cbranch_scc1 .LBB25_76
; %bb.64:                               ;   in Loop: Header=BB25_3 Depth=1
	s_bitcmp1_b32 s27, 0
	s_cselect_b32 s10, -1, 0
	s_delay_alu instid0(SALU_CYCLE_1)
	s_and_b32 vcc_lo, exec_lo, s10
	s_mov_b32 s10, s27
	s_cbranch_vccnz .LBB25_69
; %bb.65:                               ;   in Loop: Header=BB25_3 Depth=1
	v_mad_u32 v8, 0x50, s27, v12
	s_cmp_le_i32 s30, s27
	ds_load_b32 v9, v8
	s_cbranch_scc1 .LBB25_68
; %bb.66:                               ;   in Loop: Header=BB25_3 Depth=1
	v_mov_b32_e32 v10, v14
	s_mul_i32 s10, s27, 0x50
	s_mov_b32 s11, s30
	s_add_co_i32 s10, s24, s10
.LBB25_67:                              ;   Parent Loop BB25_3 Depth=1
                                        ; =>  This Inner Loop Header: Depth=2
	s_delay_alu instid0(SALU_CYCLE_1)
	v_mov_b32_e32 v11, s10
	s_add_co_i32 s11, s11, -1
	s_add_co_i32 s10, s10, -4
	s_cmp_gt_u32 s11, s27
	ds_load_b32 v16, v10
	ds_load_b32 v11, v11
	v_add_nc_u32_e32 v10, 0xffffffb0, v10
	s_wait_dscnt 0x0
	v_fma_f32 v9, -v16, v11, v9
	s_cbranch_scc1 .LBB25_67
.LBB25_68:                              ;   in Loop: Header=BB25_3 Depth=1
	s_mul_i32 s10, s27, 0x54
	s_delay_alu instid0(SALU_CYCLE_1) | instskip(SKIP_4) | instid1(VALU_DEP_1)
	v_mov_b32_e32 v10, s10
	s_add_co_i32 s10, s27, -1
	ds_load_b32 v10, v10
	s_wait_dscnt 0x0
	v_div_scale_f32 v11, null, v10, v10, v9
	v_rcp_f32_e32 v16, v11
	v_nop
	s_delay_alu instid0(TRANS32_DEP_1) | instskip(NEXT) | instid1(VALU_DEP_1)
	v_fma_f32 v17, -v11, v16, 1.0
	v_fmac_f32_e32 v16, v17, v16
	v_div_scale_f32 v17, vcc_lo, v9, v10, v9
	s_delay_alu instid0(VALU_DEP_1) | instskip(NEXT) | instid1(VALU_DEP_1)
	v_mul_f32_e32 v18, v17, v16
	v_fma_f32 v19, -v11, v18, v17
	s_delay_alu instid0(VALU_DEP_1) | instskip(NEXT) | instid1(VALU_DEP_1)
	v_fmac_f32_e32 v18, v19, v16
	v_fma_f32 v11, -v11, v18, v17
	s_delay_alu instid0(VALU_DEP_1) | instskip(NEXT) | instid1(VALU_DEP_1)
	v_div_fmas_f32 v11, v11, v16, v18
	v_div_fixup_f32 v9, v11, v10, v9
	ds_store_b32 v8, v9
.LBB25_69:                              ;   in Loop: Header=BB25_3 Depth=1
	s_cmp_eq_u32 s27, 0
	s_cbranch_scc1 .LBB25_76
; %bb.70:                               ;   in Loop: Header=BB25_3 Depth=1
	s_mul_i32 s27, s10, 0x50
	s_delay_alu instid0(SALU_CYCLE_1)
	s_add_co_i32 s11, s24, s27
	s_add_co_i32 s27, s25, s27
	s_branch .LBB25_72
.LBB25_71:                              ;   in Loop: Header=BB25_72 Depth=2
	s_addk_co_i32 s41, 0xffac
	s_add_co_i32 s10, s10, -2
	v_mov_b32_e32 v8, s41
	s_addk_co_i32 s11, 0xff60
	s_addk_co_i32 s27, 0xff60
	s_cmp_eq_u32 s42, 0
	ds_load_b32 v8, v8
	s_wait_dscnt 0x0
	v_div_scale_f32 v10, null, v8, v8, v11
	v_div_scale_f32 v18, vcc_lo, v11, v8, v11
	s_delay_alu instid0(VALU_DEP_2) | instskip(SKIP_1) | instid1(TRANS32_DEP_1)
	v_rcp_f32_e32 v16, v10
	v_nop
	v_fma_f32 v17, -v10, v16, 1.0
	s_delay_alu instid0(VALU_DEP_1) | instskip(NEXT) | instid1(VALU_DEP_1)
	v_fmac_f32_e32 v16, v17, v16
	v_mul_f32_e32 v17, v18, v16
	s_delay_alu instid0(VALU_DEP_1) | instskip(NEXT) | instid1(VALU_DEP_1)
	v_fma_f32 v19, -v10, v17, v18
	v_fmac_f32_e32 v17, v19, v16
	s_delay_alu instid0(VALU_DEP_1) | instskip(NEXT) | instid1(VALU_DEP_1)
	v_fma_f32 v10, -v10, v17, v18
	v_div_fmas_f32 v10, v10, v16, v17
	s_delay_alu instid0(VALU_DEP_1)
	v_div_fixup_f32 v8, v10, v8, v11
	ds_store_b32 v9, v8
	s_cbranch_scc1 .LBB25_76
.LBB25_72:                              ;   Parent Loop BB25_3 Depth=1
                                        ; =>  This Loop Header: Depth=2
                                        ;       Child Loop BB25_73 Depth 3
                                        ;       Child Loop BB25_75 Depth 3
	v_mad_u32 v8, 0x50, s10, v12
	v_mov_b32_e32 v9, v14
	s_cmp_le_i32 s30, s10
	s_mov_b32 s41, s11
	s_mov_b32 s42, s30
	ds_load_b32 v10, v8
	s_cbranch_scc1 .LBB25_74
.LBB25_73:                              ;   Parent Loop BB25_3 Depth=1
                                        ;     Parent Loop BB25_72 Depth=2
                                        ; =>    This Inner Loop Header: Depth=3
	v_mov_b32_e32 v11, s41
	s_add_co_i32 s42, s42, -1
	s_add_co_i32 s41, s41, -4
	s_cmp_le_u32 s42, s10
	ds_load_b32 v16, v9
	ds_load_b32 v11, v11
	v_add_nc_u32_e32 v9, 0xffffffb0, v9
	s_wait_dscnt 0x0
	v_fma_f32 v10, -v16, v11, v10
	s_cbranch_scc0 .LBB25_73
.LBB25_74:                              ;   in Loop: Header=BB25_72 Depth=2
	s_mul_i32 s41, s10, 0x54
	s_add_co_i32 s42, s10, -1
	v_mov_b32_e32 v9, s41
	s_cmp_le_i32 s29, s10
	s_mov_b32 s43, s27
	s_mov_b32 s44, s30
	ds_load_b32 v16, v9
	v_add_nc_u32_e32 v9, 0xffffffb0, v8
	s_wait_dscnt 0x0
	v_div_scale_f32 v17, null, v16, v16, v10
	v_div_scale_f32 v20, vcc_lo, v10, v16, v10
	s_delay_alu instid0(VALU_DEP_2) | instskip(SKIP_1) | instid1(TRANS32_DEP_1)
	v_rcp_f32_e32 v18, v17
	v_nop
	v_fma_f32 v19, -v17, v18, 1.0
	s_delay_alu instid0(VALU_DEP_1) | instskip(NEXT) | instid1(VALU_DEP_1)
	v_fmac_f32_e32 v18, v19, v18
	v_mul_f32_e32 v19, v20, v18
	s_delay_alu instid0(VALU_DEP_1) | instskip(NEXT) | instid1(VALU_DEP_1)
	v_fma_f32 v21, -v17, v19, v20
	v_fmac_f32_e32 v19, v21, v18
	s_delay_alu instid0(VALU_DEP_1) | instskip(NEXT) | instid1(VALU_DEP_1)
	v_fma_f32 v17, -v17, v19, v20
	v_div_fmas_f32 v17, v17, v18, v19
	s_delay_alu instid0(VALU_DEP_1)
	v_div_fixup_f32 v16, v17, v16, v10
	v_mov_b32_e32 v10, v14
	ds_load_b32 v11, v9
	ds_store_b32 v8, v16
	s_cbranch_scc1 .LBB25_71
.LBB25_75:                              ;   Parent Loop BB25_3 Depth=1
                                        ;     Parent Loop BB25_72 Depth=2
                                        ; =>    This Inner Loop Header: Depth=3
	v_mov_b32_e32 v8, s43
	s_add_co_i32 s44, s44, -1
	s_add_co_i32 s43, s43, -4
	s_cmp_gt_u32 s44, s42
	ds_load_b32 v16, v10
	ds_load_b32 v8, v8
	v_add_nc_u32_e32 v10, 0xffffffb0, v10
	s_wait_dscnt 0x0
	v_fma_f32 v11, -v16, v8, v11
	s_cbranch_scc1 .LBB25_75
	s_branch .LBB25_71
.LBB25_76:                              ;   in Loop: Header=BB25_3 Depth=1
	s_mov_b32 s10, 0
.LBB25_77:                              ;   in Loop: Header=BB25_3 Depth=1
	s_delay_alu instid0(SALU_CYCLE_1)
	s_and_not1_b32 vcc_lo, exec_lo, s10
	s_cbranch_vccnz .LBB25_89
; %bb.78:                               ;   in Loop: Header=BB25_3 Depth=1
	s_and_not1_b32 vcc_lo, exec_lo, s34
	s_mov_b32 s27, 0
	s_cbranch_vccnz .LBB25_84
; %bb.79:                               ;   in Loop: Header=BB25_3 Depth=1
	s_mov_b32 s10, 0
	s_mov_b32 s11, 0
.LBB25_80:                              ;   Parent Loop BB25_3 Depth=1
                                        ; =>  This Loop Header: Depth=2
                                        ;       Child Loop BB25_81 Depth 3
	s_delay_alu instid0(SALU_CYCLE_1)
	s_mul_i32 s27, s11, 20
	v_mov_b32_e32 v17, v12
	v_lshl_add_u32 v16, s27, 2, v12
	s_cmp_eq_u32 s11, 0
	s_mov_b32 s41, s10
	s_mov_b32 s42, s11
	ds_load_2addr_b32 v[10:11], v16 offset1:20
	ds_load_2addr_b32 v[8:9], v16 offset0:40 offset1:60
	s_cbranch_scc1 .LBB25_82
.LBB25_81:                              ;   Parent Loop BB25_3 Depth=1
                                        ;     Parent Loop BB25_80 Depth=2
                                        ; =>    This Inner Loop Header: Depth=3
	v_mov_b32_e32 v19, s41
	s_add_co_i32 s42, s42, -1
	s_add_co_i32 s41, s41, 4
	s_cmp_eq_u32 s42, 0
	ds_load_b32 v18, v17
	ds_load_2addr_b32 v[20:21], v19 offset1:20
	ds_load_2addr_b32 v[22:23], v19 offset0:40 offset1:60
	v_add_nc_u32_e32 v17, 0x50, v17
	s_wait_dscnt 0x1
	v_pk_fma_f32 v[10:11], v[18:19], v[20:21], v[10:11] op_sel_hi:[0,1,1] neg_lo:[1,0,0] neg_hi:[1,0,0]
	s_wait_dscnt 0x0
	v_pk_fma_f32 v[8:9], v[18:19], v[22:23], v[8:9] op_sel_hi:[0,1,1] neg_lo:[1,0,0] neg_hi:[1,0,0]
	s_cbranch_scc0 .LBB25_81
.LBB25_82:                              ;   in Loop: Header=BB25_80 Depth=2
	s_mul_i32 s41, s11, 0x54
	s_lshl_b32 s27, s27, 2
	v_mov_b32_e32 v17, s41
	s_lshl_b32 s41, s11, 2
	s_addk_co_i32 s10, 0x140
	s_add_co_i32 s27, s27, s41
	s_delay_alu instid0(SALU_CYCLE_1)
	v_mov_b32_e32 v23, s27
	ds_load_b32 v17, v17
	s_add_co_i32 s27, s11, 4
	s_add_co_i32 s11, s11, 7
	ds_load_b64 v[18:19], v23 offset:80
	ds_load_b96 v[20:22], v23 offset:160
	s_cmp_ge_i32 s11, s29
	s_wait_dscnt 0x2
	v_div_scale_f32 v24, null, v17, v17, v10
	v_div_scale_f32 v27, vcc_lo, v10, v17, v10
	s_delay_alu instid0(VALU_DEP_2) | instskip(SKIP_1) | instid1(TRANS32_DEP_1)
	v_rcp_f32_e32 v25, v24
	v_nop
	v_fma_f32 v26, -v24, v25, 1.0
	s_delay_alu instid0(VALU_DEP_1) | instskip(NEXT) | instid1(VALU_DEP_1)
	v_fmac_f32_e32 v25, v26, v25
	v_mul_f32_e32 v26, v27, v25
	s_delay_alu instid0(VALU_DEP_1) | instskip(NEXT) | instid1(VALU_DEP_1)
	v_fma_f32 v28, -v24, v26, v27
	v_fmac_f32_e32 v26, v28, v25
	s_delay_alu instid0(VALU_DEP_1) | instskip(NEXT) | instid1(VALU_DEP_1)
	v_fma_f32 v24, -v24, v26, v27
	v_div_fmas_f32 v24, v24, v25, v26
	s_delay_alu instid0(VALU_DEP_1) | instskip(SKIP_1) | instid1(VALU_DEP_1)
	v_div_fixup_f32 v10, v24, v17, v10
	s_wait_dscnt 0x0
	v_dual_fma_f32 v11, -v10, v18, v11 :: v_dual_fma_f32 v8, -v10, v20, v8
	s_delay_alu instid0(VALU_DEP_1) | instskip(SKIP_1) | instid1(VALU_DEP_2)
	v_div_scale_f32 v17, null, v19, v19, v11
	v_div_scale_f32 v25, vcc_lo, v11, v19, v11
	v_rcp_f32_e32 v18, v17
	v_nop
	s_delay_alu instid0(TRANS32_DEP_1) | instskip(NEXT) | instid1(VALU_DEP_1)
	v_fma_f32 v24, -v17, v18, 1.0
	v_fmac_f32_e32 v18, v24, v18
	s_delay_alu instid0(VALU_DEP_1) | instskip(NEXT) | instid1(VALU_DEP_1)
	v_mul_f32_e32 v24, v25, v18
	v_fma_f32 v26, -v17, v24, v25
	s_delay_alu instid0(VALU_DEP_1) | instskip(NEXT) | instid1(VALU_DEP_1)
	v_fmac_f32_e32 v24, v26, v18
	v_fma_f32 v17, -v17, v24, v25
	s_delay_alu instid0(VALU_DEP_1) | instskip(NEXT) | instid1(VALU_DEP_1)
	v_div_fmas_f32 v17, v17, v18, v24
	v_div_fixup_f32 v11, v17, v19, v11
	s_delay_alu instid0(VALU_DEP_1) | instskip(NEXT) | instid1(VALU_DEP_1)
	v_fma_f32 v8, -v11, v21, v8
	v_div_scale_f32 v17, null, v22, v22, v8
	v_div_scale_f32 v25, vcc_lo, v8, v22, v8
	s_delay_alu instid0(VALU_DEP_2) | instskip(SKIP_1) | instid1(TRANS32_DEP_1)
	v_rcp_f32_e32 v24, v17
	v_nop
	v_fma_f32 v18, -v17, v24, 1.0
	s_delay_alu instid0(VALU_DEP_1) | instskip(SKIP_3) | instid1(VALU_DEP_1)
	v_fmac_f32_e32 v24, v18, v24
	ds_load_b128 v[18:21], v23 offset:240
	s_wait_dscnt 0x0
	v_dual_mul_f32 v23, v25, v24 :: v_dual_fma_f32 v9, -v10, v18, v9
	v_fma_f32 v26, -v17, v23, v25
	s_delay_alu instid0(VALU_DEP_1) | instskip(NEXT) | instid1(VALU_DEP_1)
	v_dual_fma_f32 v9, -v11, v19, v9 :: v_dual_fmac_f32 v23, v26, v24
	v_fma_f32 v17, -v17, v23, v25
	s_delay_alu instid0(VALU_DEP_1) | instskip(NEXT) | instid1(VALU_DEP_1)
	v_div_fmas_f32 v17, v17, v24, v23
	v_div_fixup_f32 v8, v17, v22, v8
	s_delay_alu instid0(VALU_DEP_1) | instskip(NEXT) | instid1(VALU_DEP_1)
	v_fma_f32 v9, -v8, v20, v9
	v_div_scale_f32 v17, null, v21, v21, v9
	s_delay_alu instid0(VALU_DEP_1) | instskip(SKIP_1) | instid1(TRANS32_DEP_1)
	v_rcp_f32_e32 v18, v17
	v_nop
	v_fma_f32 v19, -v17, v18, 1.0
	s_delay_alu instid0(VALU_DEP_1) | instskip(SKIP_1) | instid1(VALU_DEP_1)
	v_fmac_f32_e32 v18, v19, v18
	v_div_scale_f32 v20, vcc_lo, v9, v21, v9
	v_mul_f32_e32 v19, v20, v18
	s_delay_alu instid0(VALU_DEP_1) | instskip(NEXT) | instid1(VALU_DEP_1)
	v_fma_f32 v22, -v17, v19, v20
	v_fmac_f32_e32 v19, v22, v18
	s_delay_alu instid0(VALU_DEP_1) | instskip(NEXT) | instid1(VALU_DEP_1)
	v_fma_f32 v17, -v17, v19, v20
	v_div_fmas_f32 v17, v17, v18, v19
	s_delay_alu instid0(VALU_DEP_1)
	v_div_fixup_f32 v9, v17, v21, v9
	ds_store_2addr_b32 v16, v10, v11 offset1:20
	ds_store_2addr_b32 v16, v8, v9 offset0:40 offset1:60
	s_cbranch_scc1 .LBB25_84
; %bb.83:                               ;   in Loop: Header=BB25_80 Depth=2
	s_mov_b32 s11, s27
	s_branch .LBB25_80
.LBB25_84:                              ;   in Loop: Header=BB25_3 Depth=1
	s_cmp_ge_i32 s27, s29
	s_cbranch_scc1 .LBB25_89
; %bb.85:                               ;   in Loop: Header=BB25_3 Depth=1
	s_mul_i32 s10, s27, 0x50
	s_branch .LBB25_87
.LBB25_86:                              ;   in Loop: Header=BB25_87 Depth=2
	s_mul_i32 s11, s27, 0x54
	s_add_co_i32 s27, s27, 1
	v_mov_b32_e32 v10, s11
	s_addk_co_i32 s10, 0x50
	s_cmp_ge_i32 s27, s29
	ds_load_b32 v10, v10
	s_wait_dscnt 0x0
	v_div_scale_f32 v11, null, v10, v10, v9
	s_delay_alu instid0(VALU_DEP_1) | instskip(SKIP_1) | instid1(TRANS32_DEP_1)
	v_rcp_f32_e32 v16, v11
	v_nop
	v_fma_f32 v17, -v11, v16, 1.0
	s_delay_alu instid0(VALU_DEP_1) | instskip(SKIP_1) | instid1(VALU_DEP_1)
	v_fmac_f32_e32 v16, v17, v16
	v_div_scale_f32 v17, vcc_lo, v9, v10, v9
	v_mul_f32_e32 v18, v17, v16
	s_delay_alu instid0(VALU_DEP_1) | instskip(NEXT) | instid1(VALU_DEP_1)
	v_fma_f32 v19, -v11, v18, v17
	v_fmac_f32_e32 v18, v19, v16
	s_delay_alu instid0(VALU_DEP_1) | instskip(NEXT) | instid1(VALU_DEP_1)
	v_fma_f32 v11, -v11, v18, v17
	v_div_fmas_f32 v11, v11, v16, v18
	s_delay_alu instid0(VALU_DEP_1)
	v_div_fixup_f32 v9, v11, v10, v9
	ds_store_b32 v8, v9
	s_cbranch_scc1 .LBB25_89
.LBB25_87:                              ;   Parent Loop BB25_3 Depth=1
                                        ; =>  This Loop Header: Depth=2
                                        ;       Child Loop BB25_88 Depth 3
	v_mad_u32 v8, 0x50, s27, v12
	v_mov_b32_e32 v10, v12
	s_cmp_eq_u32 s27, 0
	s_mov_b32 s11, s10
	s_mov_b32 s41, s27
	ds_load_b32 v9, v8
	s_cbranch_scc1 .LBB25_86
.LBB25_88:                              ;   Parent Loop BB25_3 Depth=1
                                        ;     Parent Loop BB25_87 Depth=2
                                        ; =>    This Inner Loop Header: Depth=3
	v_mov_b32_e32 v11, s11
	s_add_co_i32 s41, s41, -1
	s_add_co_i32 s11, s11, 4
	s_cmp_eq_u32 s41, 0
	ds_load_b32 v16, v10
	ds_load_b32 v11, v11
	v_add_nc_u32_e32 v10, 0x50, v10
	s_wait_dscnt 0x0
	v_fma_f32 v9, -v16, v11, v9
	s_cbranch_scc0 .LBB25_88
	s_branch .LBB25_86
.LBB25_89:                              ;   in Loop: Header=BB25_3 Depth=1
	s_and_saveexec_b32 s27, s35
	s_cbranch_execz .LBB25_2
; %bb.90:                               ;   in Loop: Header=BB25_3 Depth=1
	s_and_not1_b32 vcc_lo, exec_lo, s40
	s_cbranch_vccnz .LBB25_94
; %bb.91:                               ;   in Loop: Header=BB25_3 Depth=1
	s_mov_b32 s11, 1
	s_mov_b32 s41, 0
	;; [unrolled: 1-line block ×3, first 2 shown]
.LBB25_92:                              ;   Parent Loop BB25_3 Depth=1
                                        ; =>  This Inner Loop Header: Depth=2
	v_mad_u32 v8, 0x50, s41, v12
	v_mad_u32 v9, 0x50, s11, v12
	s_add_co_i32 s42, s42, -2
	s_add_co_i32 s41, s41, 2
	s_add_co_i32 s11, s11, 2
	s_mov_b32 s10, s39
	s_cmp_lg_u32 s42, 0
	s_mov_b32 s43, s26
	ds_load_b32 v8, v8
	ds_load_b32 v9, v9
	s_wait_dscnt 0x0
	global_store_b64 v[6:7], v[8:9], off
	s_wait_xcnt 0x0
	v_add_nc_u64_e32 v[6:7], 8, v[6:7]
	s_cbranch_scc1 .LBB25_92
; %bb.93:                               ;   in Loop: Header=BB25_3 Depth=1
	s_and_b32 vcc_lo, exec_lo, s43
	s_cbranch_vccz .LBB25_2
	s_branch .LBB25_95
.LBB25_94:                              ;   in Loop: Header=BB25_3 Depth=1
	s_mov_b32 s10, 0
	s_cbranch_execz .LBB25_2
.LBB25_95:                              ;   in Loop: Header=BB25_3 Depth=1
	s_mov_b32 s11, s3
	v_mad_u32 v8, 0x50, s10, v12
	s_mul_u64 s[42:43], s[16:17], s[10:11]
	s_delay_alu instid0(SALU_CYCLE_1) | instskip(NEXT) | instid1(SALU_CYCLE_1)
	s_add_nc_u64 s[4:5], s[42:43], s[4:5]
	v_add_nc_u64_e32 v[6:7], s[4:5], v[4:5]
	s_sub_co_i32 s4, s20, s10
.LBB25_96:                              ;   Parent Loop BB25_3 Depth=1
                                        ; =>  This Inner Loop Header: Depth=2
	ds_load_b32 v9, v8
	v_add_nc_u32_e32 v8, 0x50, v8
	s_add_co_i32 s4, s4, -1
	s_delay_alu instid0(SALU_CYCLE_1)
	s_cmp_lg_u32 s4, 0
	s_wait_dscnt 0x0
	global_store_b32 v[6:7], v9, off
	s_wait_xcnt 0x0
	v_add_nc_u64_e32 v[6:7], s[16:17], v[6:7]
	s_cbranch_scc1 .LBB25_96
	s_branch .LBB25_2
.LBB25_97:
	s_endpgm
	.section	.rodata,"a",@progbits
	.p2align	6, 0x0
	.amdhsa_kernel _ZL31rocblas_trsm_small_right_deviceIffPKfPfLi20EEv13rocblas_fill_18rocblas_operation_17rocblas_diagonal_iiT0_T1_lilT2_lili
		.amdhsa_group_segment_fixed_size 3200
		.amdhsa_private_segment_fixed_size 0
		.amdhsa_kernarg_size 352
		.amdhsa_user_sgpr_count 2
		.amdhsa_user_sgpr_dispatch_ptr 0
		.amdhsa_user_sgpr_queue_ptr 0
		.amdhsa_user_sgpr_kernarg_segment_ptr 1
		.amdhsa_user_sgpr_dispatch_id 0
		.amdhsa_user_sgpr_kernarg_preload_length 0
		.amdhsa_user_sgpr_kernarg_preload_offset 0
		.amdhsa_user_sgpr_private_segment_size 0
		.amdhsa_wavefront_size32 1
		.amdhsa_uses_dynamic_stack 0
		.amdhsa_enable_private_segment 0
		.amdhsa_system_sgpr_workgroup_id_x 1
		.amdhsa_system_sgpr_workgroup_id_y 0
		.amdhsa_system_sgpr_workgroup_id_z 1
		.amdhsa_system_sgpr_workgroup_info 0
		.amdhsa_system_vgpr_workitem_id 0
		.amdhsa_next_free_vgpr 32
		.amdhsa_next_free_sgpr 47
		.amdhsa_named_barrier_count 0
		.amdhsa_reserve_vcc 1
		.amdhsa_float_round_mode_32 0
		.amdhsa_float_round_mode_16_64 0
		.amdhsa_float_denorm_mode_32 3
		.amdhsa_float_denorm_mode_16_64 3
		.amdhsa_fp16_overflow 0
		.amdhsa_memory_ordered 1
		.amdhsa_forward_progress 1
		.amdhsa_inst_pref_size 52
		.amdhsa_round_robin_scheduling 0
		.amdhsa_exception_fp_ieee_invalid_op 0
		.amdhsa_exception_fp_denorm_src 0
		.amdhsa_exception_fp_ieee_div_zero 0
		.amdhsa_exception_fp_ieee_overflow 0
		.amdhsa_exception_fp_ieee_underflow 0
		.amdhsa_exception_fp_ieee_inexact 0
		.amdhsa_exception_int_div_zero 0
	.end_amdhsa_kernel
	.section	.text._ZL31rocblas_trsm_small_right_deviceIffPKfPfLi20EEv13rocblas_fill_18rocblas_operation_17rocblas_diagonal_iiT0_T1_lilT2_lili,"axG",@progbits,_ZL31rocblas_trsm_small_right_deviceIffPKfPfLi20EEv13rocblas_fill_18rocblas_operation_17rocblas_diagonal_iiT0_T1_lilT2_lili,comdat
.Lfunc_end25:
	.size	_ZL31rocblas_trsm_small_right_deviceIffPKfPfLi20EEv13rocblas_fill_18rocblas_operation_17rocblas_diagonal_iiT0_T1_lilT2_lili, .Lfunc_end25-_ZL31rocblas_trsm_small_right_deviceIffPKfPfLi20EEv13rocblas_fill_18rocblas_operation_17rocblas_diagonal_iiT0_T1_lilT2_lili
                                        ; -- End function
	.set _ZL31rocblas_trsm_small_right_deviceIffPKfPfLi20EEv13rocblas_fill_18rocblas_operation_17rocblas_diagonal_iiT0_T1_lilT2_lili.num_vgpr, 32
	.set _ZL31rocblas_trsm_small_right_deviceIffPKfPfLi20EEv13rocblas_fill_18rocblas_operation_17rocblas_diagonal_iiT0_T1_lilT2_lili.num_agpr, 0
	.set _ZL31rocblas_trsm_small_right_deviceIffPKfPfLi20EEv13rocblas_fill_18rocblas_operation_17rocblas_diagonal_iiT0_T1_lilT2_lili.numbered_sgpr, 47
	.set _ZL31rocblas_trsm_small_right_deviceIffPKfPfLi20EEv13rocblas_fill_18rocblas_operation_17rocblas_diagonal_iiT0_T1_lilT2_lili.num_named_barrier, 0
	.set _ZL31rocblas_trsm_small_right_deviceIffPKfPfLi20EEv13rocblas_fill_18rocblas_operation_17rocblas_diagonal_iiT0_T1_lilT2_lili.private_seg_size, 0
	.set _ZL31rocblas_trsm_small_right_deviceIffPKfPfLi20EEv13rocblas_fill_18rocblas_operation_17rocblas_diagonal_iiT0_T1_lilT2_lili.uses_vcc, 1
	.set _ZL31rocblas_trsm_small_right_deviceIffPKfPfLi20EEv13rocblas_fill_18rocblas_operation_17rocblas_diagonal_iiT0_T1_lilT2_lili.uses_flat_scratch, 0
	.set _ZL31rocblas_trsm_small_right_deviceIffPKfPfLi20EEv13rocblas_fill_18rocblas_operation_17rocblas_diagonal_iiT0_T1_lilT2_lili.has_dyn_sized_stack, 0
	.set _ZL31rocblas_trsm_small_right_deviceIffPKfPfLi20EEv13rocblas_fill_18rocblas_operation_17rocblas_diagonal_iiT0_T1_lilT2_lili.has_recursion, 0
	.set _ZL31rocblas_trsm_small_right_deviceIffPKfPfLi20EEv13rocblas_fill_18rocblas_operation_17rocblas_diagonal_iiT0_T1_lilT2_lili.has_indirect_call, 0
	.section	.AMDGPU.csdata,"",@progbits
; Kernel info:
; codeLenInByte = 6612
; TotalNumSgprs: 49
; NumVgprs: 32
; ScratchSize: 0
; MemoryBound: 0
; FloatMode: 240
; IeeeMode: 1
; LDSByteSize: 3200 bytes/workgroup (compile time only)
; SGPRBlocks: 0
; VGPRBlocks: 1
; NumSGPRsForWavesPerEU: 49
; NumVGPRsForWavesPerEU: 32
; NamedBarCnt: 0
; Occupancy: 16
; WaveLimiterHint : 0
; COMPUTE_PGM_RSRC2:SCRATCH_EN: 0
; COMPUTE_PGM_RSRC2:USER_SGPR: 2
; COMPUTE_PGM_RSRC2:TRAP_HANDLER: 0
; COMPUTE_PGM_RSRC2:TGID_X_EN: 1
; COMPUTE_PGM_RSRC2:TGID_Y_EN: 0
; COMPUTE_PGM_RSRC2:TGID_Z_EN: 1
; COMPUTE_PGM_RSRC2:TIDIG_COMP_CNT: 0
	.section	.text._ZL38rocblas_trsm_small_left_device_sharedBILi24ELi24ELb0EffPKfPfEv13rocblas_fill_18rocblas_operation_17rocblas_diagonal_iiT3_T4_lilT5_lili,"axG",@progbits,_ZL38rocblas_trsm_small_left_device_sharedBILi24ELi24ELb0EffPKfPfEv13rocblas_fill_18rocblas_operation_17rocblas_diagonal_iiT3_T4_lilT5_lili,comdat
	.globl	_ZL38rocblas_trsm_small_left_device_sharedBILi24ELi24ELb0EffPKfPfEv13rocblas_fill_18rocblas_operation_17rocblas_diagonal_iiT3_T4_lilT5_lili ; -- Begin function _ZL38rocblas_trsm_small_left_device_sharedBILi24ELi24ELb0EffPKfPfEv13rocblas_fill_18rocblas_operation_17rocblas_diagonal_iiT3_T4_lilT5_lili
	.p2align	8
	.type	_ZL38rocblas_trsm_small_left_device_sharedBILi24ELi24ELb0EffPKfPfEv13rocblas_fill_18rocblas_operation_17rocblas_diagonal_iiT3_T4_lilT5_lili,@function
_ZL38rocblas_trsm_small_left_device_sharedBILi24ELi24ELb0EffPKfPfEv13rocblas_fill_18rocblas_operation_17rocblas_diagonal_iiT3_T4_lilT5_lili: ; @_ZL38rocblas_trsm_small_left_device_sharedBILi24ELi24ELb0EffPKfPfEv13rocblas_fill_18rocblas_operation_17rocblas_diagonal_iiT3_T4_lilT5_lili
; %bb.0:
	s_load_b32 s19, s[0:1], 0x58
	s_bfe_u32 s2, ttmp6, 0x40014
	s_lshr_b32 s3, ttmp7, 16
	s_add_co_i32 s2, s2, 1
	s_bfe_u32 s4, ttmp6, 0x40008
	s_mul_i32 s2, s3, s2
	s_getreg_b32 s21, hwreg(HW_REG_IB_STS2, 6, 4)
	s_add_co_i32 s4, s4, s2
	s_cmp_eq_u32 s21, 0
	s_cselect_b32 s2, s3, s4
	s_mov_b32 s3, 0
	s_wait_kmcnt 0x0
	s_cmp_ge_u32 s2, s19
	s_cbranch_scc1 .LBB26_72
; %bb.1:
	s_clause 0x6
	s_load_b32 s22, s[0:1], 0x28
	s_load_b96 s[16:18], s[0:1], 0x40
	s_load_b128 s[12:15], s[0:1], 0x4
	s_load_b32 s24, s[0:1], 0x60
	s_load_b128 s[4:7], s[0:1], 0x18
	s_load_b128 s[8:11], s[0:1], 0x30
	s_load_b32 s20, s[0:1], 0x14
	v_dual_mov_b32 v67, 0 :: v_dual_lshlrev_b32 v66, 2, v0
	v_mul_u32_u24_e32 v26, 0x60, v0
	s_delay_alu instid0(VALU_DEP_2) | instskip(NEXT) | instid1(VALU_DEP_3)
	v_or_b32_e32 v72, 0x900, v66
	v_dual_mov_b32 v2, v67 :: v_dual_mov_b32 v3, v67
	v_dual_mov_b32 v4, v67 :: v_dual_mov_b32 v5, v67
	;; [unrolled: 1-line block ×4, first 2 shown]
	s_wait_kmcnt 0x0
	s_ashr_i32 s23, s22, 31
	v_dual_mov_b32 v10, v67 :: v_dual_mov_b32 v11, v67
	s_cmp_eq_u64 s[22:23], 1
	v_dual_mov_b32 v12, v67 :: v_dual_mov_b32 v13, v67
	s_cselect_b32 s31, -1, 0
	s_bfe_u32 s25, ttmp6, 0x4000c
	s_min_i32 s26, s14, 24
	s_add_co_i32 s25, s25, 1
	s_add_co_i32 s28, s24, -1
	s_and_b32 s24, ttmp6, 15
	s_mul_i32 s25, ttmp9, s25
	s_ashr_i32 s38, s18, 31
	s_add_co_i32 s27, s26, -1
	s_add_co_i32 s29, s24, s25
	s_cmp_eq_u32 s21, 0
	s_load_b64 s[24:25], s[0:1], 0x50
	s_wait_xcnt 0x0
	s_cselect_b32 s0, ttmp9, s29
	v_dual_mov_b32 v14, v67 :: v_dual_mov_b32 v15, v67
	s_mul_i32 s1, s0, 0xffffffe8
	s_mul_i32 s36, s0, 24
	s_add_co_i32 s1, s15, s1
	s_cmp_ge_u32 s0, s28
	v_dual_mov_b32 v16, v67 :: v_dual_mov_b32 v17, v67
	s_cselect_b32 s0, s1, 24
	s_ashr_i32 s37, s36, 31
	s_cmp_lg_u32 s13, 0x84
	v_cmp_gt_i32_e32 vcc_lo, s0, v0
	s_cselect_b32 s1, -1, 0
	s_cmp_gt_i32 s14, 0
	v_lshl_add_u64 v[22:23], s[36:37], 2, v[66:67]
	s_cselect_b32 s0, -1, 0
	s_cmp_lg_u32 s12, 0x6f
	v_dual_mov_b32 v18, v67 :: v_dual_mov_b32 v19, v67
	s_cselect_b32 s28, -1, 0
	s_and_b32 s29, vcc_lo, s0
	s_cmp_gt_u32 s26, 1
	v_mov_b32_e32 v20, v67
	s_cselect_b32 s0, -1, 0
	s_and_b32 s30, s26, -2
	s_and_b32 s31, s0, s31
	s_cmp_lg_u32 s26, s30
	v_cmp_gt_i32_e64 s0, s26, v0
	s_cselect_b32 s33, -1, 0
	s_cmp_gt_i32 s14, 1
	v_dual_mov_b32 v24, v67 :: v_dual_mov_b32 v25, v67
	s_cselect_b32 s34, -1, 0
	s_and_b32 s35, s26, 30
	s_mov_b32 s21, s20
	s_cmp_lg_u32 s26, s35
	s_cselect_b32 s36, -1, 0
	s_lshl_b64 s[12:13], s[16:17], 2
	s_delay_alu instid0(SALU_CYCLE_1) | instskip(NEXT) | instid1(SALU_CYCLE_1)
	s_add_nc_u64 s[10:11], s[10:11], s[12:13]
	v_mad_nc_u64_u32 v[68:69], v22, s18, s[10:11]
	s_lshl_b64 s[10:11], s[6:7], 2
	s_lshl_b64 s[6:7], s[8:9], 2
	s_add_nc_u64 s[8:9], s[4:5], s[10:11]
	s_lshl_b64 s[4:5], s[22:23], 2
	v_add_nc_u64_e32 v[0:1], s[8:9], v[66:67]
	s_wait_kmcnt 0x0
	s_lshl_b64 s[10:11], s[24:25], 2
	s_get_pc_i64 s[8:9]
	s_add_nc_u64 s[8:9], s[8:9], __const._ZL38rocblas_trsm_small_left_device_sharedBILi24ELi24ELb0EffPKfPfEv13rocblas_fill_18rocblas_operation_17rocblas_diagonal_iiT3_T4_lilT5_lili.step_sizes@rel64+4
	s_delay_alu instid0(VALU_DEP_2) | instskip(SKIP_2) | instid1(SALU_CYCLE_1)
	v_mad_u32 v21, v23, s18, v69
	v_mov_b32_e32 v23, v67
	s_mul_i32 s18, s26, 0x60
	s_addk_co_i32 s18, 0xffa0
	s_delay_alu instid0(VALU_DEP_2)
	v_mad_u32 v69, v22, s38, v21
	v_dual_mov_b32 v21, v67 :: v_dual_mov_b32 v22, v67
	v_add_nc_u32_e32 v67, v66, v26
	s_branch .LBB26_3
.LBB26_2:                               ;   in Loop: Header=BB26_3 Depth=1
	s_or_b32 exec_lo, exec_lo, s14
	s_add_co_i32 s2, s2, 0x10000
	s_delay_alu instid0(SALU_CYCLE_1)
	s_cmp_lt_u32 s2, s19
	s_cbranch_scc0 .LBB26_72
.LBB26_3:                               ; =>This Loop Header: Depth=1
                                        ;     Child Loop BB26_6 Depth 2
                                        ;     Child Loop BB26_10 Depth 2
	;; [unrolled: 1-line block ×5, first 2 shown]
                                        ;       Child Loop BB26_27 Depth 3
                                        ;         Child Loop BB26_28 Depth 4
                                        ;         Child Loop BB26_31 Depth 4
                                        ;           Child Loop BB26_32 Depth 5
                                        ;         Child Loop BB26_37 Depth 4
                                        ;           Child Loop BB26_39 Depth 5
                                        ;     Child Loop BB26_48 Depth 2
                                        ;       Child Loop BB26_49 Depth 3
                                        ;       Child Loop BB26_51 Depth 3
                                        ;         Child Loop BB26_52 Depth 4
                                        ;       Child Loop BB26_57 Depth 3
                                        ;         Child Loop BB26_59 Depth 4
                                        ;     Child Loop BB26_61 Depth 2
                                        ;     Child Loop BB26_67 Depth 2
	;; [unrolled: 1-line block ×3, first 2 shown]
	s_and_saveexec_b32 s16, s0
	s_cbranch_execz .LBB26_14
; %bb.4:                                ;   in Loop: Header=BB26_3 Depth=1
	s_and_not1_b32 vcc_lo, exec_lo, s31
	s_mul_u64 s[12:13], s[6:7], s[2:3]
	s_cbranch_vccnz .LBB26_8
; %bb.5:                                ;   in Loop: Header=BB26_3 Depth=1
	v_add_nc_u64_e32 v[34:35], s[12:13], v[0:1]
	s_mov_b32 s15, 1
	s_mov_b32 s17, 0
	;; [unrolled: 1-line block ×3, first 2 shown]
.LBB26_6:                               ;   Parent Loop BB26_3 Depth=1
                                        ; =>  This Inner Loop Header: Depth=2
	global_load_b64 v[36:37], v[34:35], off
	v_mad_u32 v38, 0x60, s17, v66
	v_mad_u32 v39, 0x60, s15, v66
	s_wait_xcnt 0x0
	v_add_nc_u64_e32 v[34:35], 8, v[34:35]
	s_add_co_i32 s22, s22, -2
	s_add_co_i32 s17, s17, 2
	s_add_co_i32 s15, s15, 2
	s_mov_b32 s14, s30
	s_mov_b32 s23, s33
	s_cmp_lg_u32 s22, 0
	s_wait_loadcnt 0x0
	ds_store_b32 v38, v36
	ds_store_b32 v39, v37
	s_cbranch_scc1 .LBB26_6
; %bb.7:                                ;   in Loop: Header=BB26_3 Depth=1
	s_and_b32 vcc_lo, exec_lo, s23
	s_cbranch_vccnz .LBB26_9
	s_branch .LBB26_11
.LBB26_8:                               ;   in Loop: Header=BB26_3 Depth=1
	s_wait_xcnt 0x0
	s_mov_b32 s14, 0
	s_cbranch_execz .LBB26_11
.LBB26_9:                               ;   in Loop: Header=BB26_3 Depth=1
	s_mov_b32 s15, s3
	v_mad_u32 v36, 0x60, s14, v66
	s_mul_u64 s[22:23], s[4:5], s[14:15]
	s_delay_alu instid0(SALU_CYCLE_1) | instskip(NEXT) | instid1(SALU_CYCLE_1)
	s_add_nc_u64 s[12:13], s[22:23], s[12:13]
	v_add_nc_u64_e32 v[34:35], s[12:13], v[0:1]
	s_sub_co_i32 s12, s26, s14
.LBB26_10:                              ;   Parent Loop BB26_3 Depth=1
                                        ; =>  This Inner Loop Header: Depth=2
	global_load_b32 v37, v[34:35], off
	s_wait_xcnt 0x0
	v_add_nc_u64_e32 v[34:35], s[4:5], v[34:35]
	s_add_co_i32 s12, s12, -1
	s_delay_alu instid0(SALU_CYCLE_1)
	s_cmp_eq_u32 s12, 0
	s_wait_loadcnt 0x0
	ds_store_b32 v36, v37
	v_add_nc_u32_e32 v36, 0x60, v36
	s_cbranch_scc0 .LBB26_10
.LBB26_11:                              ;   in Loop: Header=BB26_3 Depth=1
	v_mov_b32_e32 v34, 1.0
	s_and_b32 vcc_lo, exec_lo, s1
	s_cbranch_vccz .LBB26_13
; %bb.12:                               ;   in Loop: Header=BB26_3 Depth=1
	ds_load_b32 v34, v67
	s_wait_dscnt 0x0
	v_div_scale_f32 v35, null, v34, v34, 1.0
	s_delay_alu instid0(VALU_DEP_1) | instskip(SKIP_1) | instid1(TRANS32_DEP_1)
	v_rcp_f32_e32 v36, v35
	v_nop
	v_fma_f32 v37, -v35, v36, 1.0
	s_delay_alu instid0(VALU_DEP_1) | instskip(SKIP_1) | instid1(VALU_DEP_1)
	v_fmac_f32_e32 v36, v37, v36
	v_div_scale_f32 v37, vcc_lo, 1.0, v34, 1.0
	v_mul_f32_e32 v38, v37, v36
	s_delay_alu instid0(VALU_DEP_1) | instskip(NEXT) | instid1(VALU_DEP_1)
	v_fma_f32 v39, -v35, v38, v37
	v_fmac_f32_e32 v38, v39, v36
	s_delay_alu instid0(VALU_DEP_1) | instskip(NEXT) | instid1(VALU_DEP_1)
	v_fma_f32 v35, -v35, v38, v37
	v_div_fmas_f32 v35, v35, v36, v38
	s_delay_alu instid0(VALU_DEP_1)
	v_div_fixup_f32 v34, v35, v34, 1.0
.LBB26_13:                              ;   in Loop: Header=BB26_3 Depth=1
	ds_store_b32 v67, v34
.LBB26_14:                              ;   in Loop: Header=BB26_3 Depth=1
	s_or_b32 exec_lo, exec_lo, s16
	s_mul_u64 s[12:13], s[10:11], s[2:3]
	s_delay_alu instid0(VALU_DEP_3) | instid1(SALU_CYCLE_1)
	v_add_nc_u64_e32 v[70:71], s[12:13], v[68:69]
	s_and_saveexec_b32 s14, s29
	s_cbranch_execz .LBB26_22
; %bb.15:                               ;   in Loop: Header=BB26_3 Depth=1
	s_and_not1_b32 vcc_lo, exec_lo, s34
	s_cbranch_vccnz .LBB26_19
; %bb.16:                               ;   in Loop: Header=BB26_3 Depth=1
	s_delay_alu instid0(VALU_DEP_1)
	v_mov_b64_e32 v[34:35], v[70:71]
	s_mov_b32 s15, 1
	s_mov_b32 s16, 0
	;; [unrolled: 1-line block ×3, first 2 shown]
.LBB26_17:                              ;   Parent Loop BB26_3 Depth=1
                                        ; =>  This Inner Loop Header: Depth=2
	global_load_b64 v[36:37], v[34:35], off
	v_mov_b64_e32 v[38:39], s[20:21]
	v_mad_u32 v40, 0x60, s16, v72
	v_mad_u32 v41, 0x60, s15, v72
	s_wait_xcnt 0x0
	v_add_nc_u64_e32 v[34:35], 8, v[34:35]
	s_add_co_i32 s17, s17, -2
	s_add_co_i32 s16, s16, 2
	s_add_co_i32 s15, s15, 2
	s_mov_b32 s22, s35
	s_mov_b32 s23, s36
	s_cmp_lg_u32 s17, 0
	s_wait_loadcnt 0x0
	v_pk_mul_f32 v[36:37], v[38:39], v[36:37]
	ds_store_b32 v40, v36
	ds_store_b32 v41, v37
	s_cbranch_scc1 .LBB26_17
; %bb.18:                               ;   in Loop: Header=BB26_3 Depth=1
	s_and_b32 vcc_lo, exec_lo, s23
	s_cbranch_vccnz .LBB26_20
	s_branch .LBB26_22
.LBB26_19:                              ;   in Loop: Header=BB26_3 Depth=1
	s_wait_xcnt 0x0
	s_mov_b32 s22, 0
	s_cbranch_execz .LBB26_22
.LBB26_20:                              ;   in Loop: Header=BB26_3 Depth=1
	s_lshl_b32 s16, s22, 2
	s_mov_b32 s17, s3
	v_mad_u32 v36, 0x60, s22, v72
	s_add_nc_u64 s[16:17], s[12:13], s[16:17]
	s_sub_co_i32 s15, s26, s22
	v_add_nc_u64_e32 v[34:35], s[16:17], v[68:69]
.LBB26_21:                              ;   Parent Loop BB26_3 Depth=1
                                        ; =>  This Inner Loop Header: Depth=2
	global_load_b32 v37, v[34:35], off
	s_wait_xcnt 0x0
	v_add_nc_u64_e32 v[34:35], 4, v[34:35]
	s_add_co_i32 s15, s15, -1
	s_delay_alu instid0(SALU_CYCLE_1)
	s_cmp_lg_u32 s15, 0
	s_wait_loadcnt 0x0
	v_mul_f32_e32 v37, s20, v37
	ds_store_b32 v36, v37
	v_add_nc_u32_e32 v36, 0x60, v36
	s_cbranch_scc1 .LBB26_21
.LBB26_22:                              ;   in Loop: Header=BB26_3 Depth=1
	s_or_b32 exec_lo, exec_lo, s14
	s_delay_alu instid0(SALU_CYCLE_1)
	s_and_not1_b32 vcc_lo, exec_lo, s28
	s_mov_b32 s14, -1
	s_wait_dscnt 0x0
	; wave barrier
                                        ; implicit-def: $vgpr34_vgpr35_vgpr36_vgpr37_vgpr38_vgpr39_vgpr40_vgpr41_vgpr42_vgpr43_vgpr44_vgpr45_vgpr46_vgpr47_vgpr48_vgpr49_vgpr50_vgpr51_vgpr52_vgpr53_vgpr54_vgpr55_vgpr56_vgpr57_vgpr58_vgpr59_vgpr60_vgpr61_vgpr62_vgpr63_vgpr64_vgpr65
	s_cbranch_vccnz .LBB26_44
; %bb.23:                               ;   in Loop: Header=BB26_3 Depth=1
	v_mov_b64_e32 v[64:65], v[32:33]
	v_mov_b64_e32 v[62:63], v[30:31]
	;; [unrolled: 1-line block ×16, first 2 shown]
	s_wait_xcnt 0x0
	s_mov_b32 s23, 0
	s_mov_b32 s22, 0
.LBB26_24:                              ;   Parent Loop BB26_3 Depth=1
                                        ; =>  This Loop Header: Depth=2
                                        ;       Child Loop BB26_27 Depth 3
                                        ;         Child Loop BB26_28 Depth 4
                                        ;         Child Loop BB26_31 Depth 4
                                        ;           Child Loop BB26_32 Depth 5
                                        ;         Child Loop BB26_37 Depth 4
                                        ;           Child Loop BB26_39 Depth 5
	s_load_b32 s24, s[8:9], s23 offset:0x0 scale_offset
	s_wait_kmcnt 0x0
	s_add_co_i32 s25, s24, -1
	s_delay_alu instid0(SALU_CYCLE_1) | instskip(NEXT) | instid1(SALU_CYCLE_1)
	s_add_co_i32 s14, s25, s22
	s_cmp_ge_i32 s14, s26
	s_cbranch_scc1 .LBB26_41
; %bb.25:                               ;   in Loop: Header=BB26_24 Depth=2
	s_mul_i32 s37, s22, 0x60
	s_max_i32 s38, s24, 1
	v_add_nc_u32_e32 v73, s37, v72
	s_mul_i32 s39, s24, 0x60
	s_mul_i32 s40, s22, 0x64
	;; [unrolled: 1-line block ×3, first 2 shown]
	s_branch .LBB26_27
.LBB26_26:                              ;   in Loop: Header=BB26_27 Depth=3
	s_add_co_i32 s22, s22, s24
	v_add_nc_u32_e32 v73, s39, v73
	s_add_co_i32 s14, s25, s22
	s_add_co_i32 s37, s37, s39
	;; [unrolled: 1-line block ×3, first 2 shown]
	s_cmp_ge_i32 s14, s26
	s_cbranch_scc1 .LBB26_41
.LBB26_27:                              ;   Parent Loop BB26_3 Depth=1
                                        ;     Parent Loop BB26_24 Depth=2
                                        ; =>    This Loop Header: Depth=3
                                        ;         Child Loop BB26_28 Depth 4
                                        ;         Child Loop BB26_31 Depth 4
                                        ;           Child Loop BB26_32 Depth 5
                                        ;         Child Loop BB26_37 Depth 4
                                        ;           Child Loop BB26_39 Depth 5
	v_mov_b32_e32 v74, v73
	s_mov_b64 s[14:15], 0
.LBB26_28:                              ;   Parent Loop BB26_3 Depth=1
                                        ;     Parent Loop BB26_24 Depth=2
                                        ;       Parent Loop BB26_27 Depth=3
                                        ; =>      This Inner Loop Header: Depth=4
	ds_load_b32 v75, v74
	v_add_nc_u32_e32 v74, 0x60, v74
	s_mov_b32 m0, s14
	s_add_nc_u64 s[14:15], s[14:15], 1
	s_delay_alu instid0(SALU_CYCLE_1)
	s_cmp_eq_u32 s38, s14
	s_wait_dscnt 0x0
	v_movreld_b32_e32 v34, v75
	s_cbranch_scc0 .LBB26_28
; %bb.29:                               ;   in Loop: Header=BB26_27 Depth=3
	s_cmp_lt_i32 s22, 1
	s_cbranch_scc1 .LBB26_34
; %bb.30:                               ;   in Loop: Header=BB26_27 Depth=3
	s_mov_b32 s16, 0
	s_mov_b32 s17, s37
.LBB26_31:                              ;   Parent Loop BB26_3 Depth=1
                                        ;     Parent Loop BB26_24 Depth=2
                                        ;       Parent Loop BB26_27 Depth=3
                                        ; =>      This Loop Header: Depth=4
                                        ;           Child Loop BB26_32 Depth 5
	v_mad_u32 v74, 0x60, s16, v72
	s_mov_b64 s[14:15], 0
	s_mov_b32 s42, s17
	ds_load_b32 v74, v74
.LBB26_32:                              ;   Parent Loop BB26_3 Depth=1
                                        ;     Parent Loop BB26_24 Depth=2
                                        ;       Parent Loop BB26_27 Depth=3
                                        ;         Parent Loop BB26_31 Depth=4
                                        ; =>        This Inner Loop Header: Depth=5
	v_mov_b32_e32 v75, s42
	s_mov_b32 m0, s14
	s_add_nc_u64 s[14:15], s[14:15], 1
	v_movrels_b32_e32 v76, v34
	s_addk_co_i32 s42, 0x60
	ds_load_b32 v75, v75
	s_cmp_eq_u32 s38, s14
	s_wait_dscnt 0x0
	v_fma_f32 v75, -v74, v75, v76
	s_delay_alu instid0(VALU_DEP_1)
	v_movreld_b32_e32 v34, v75
	s_cbranch_scc0 .LBB26_32
; %bb.33:                               ;   in Loop: Header=BB26_31 Depth=4
	s_add_co_i32 s16, s16, 1
	s_add_co_i32 s17, s17, 4
	s_cmp_eq_u32 s16, s22
	s_cbranch_scc0 .LBB26_31
.LBB26_34:                              ;   in Loop: Header=BB26_27 Depth=3
	s_mul_i32 s42, s22, 0x60
	s_mov_b64 s[14:15], 0
	s_mov_b32 s43, s40
	s_branch .LBB26_37
.LBB26_35:                              ;   in Loop: Header=BB26_37 Depth=4
	s_mov_b32 s45, s22
	s_mov_b64 s[16:17], 0
	s_mov_b32 s44, s42
.LBB26_36:                              ;   in Loop: Header=BB26_37 Depth=4
	s_mov_b32 m0, s16
	s_mul_i32 s16, s45, 0x64
	v_movrels_b32_e32 v75, v34
	v_mov_b32_e32 v74, s16
	s_add_nc_u64 s[14:15], s[14:15], 1
	s_addk_co_i32 s43, 0x60
	s_cmp_eq_u32 s14, s38
	ds_load_b32 v74, v74
	s_wait_dscnt 0x0
	v_dual_mul_f32 v74, v75, v74 :: v_dual_add_nc_u32 v75, s44, v72
	s_delay_alu instid0(VALU_DEP_1)
	v_movreld_b32_e32 v34, v74
	ds_store_b32 v75, v74
	s_cbranch_scc1 .LBB26_26
.LBB26_37:                              ;   Parent Loop BB26_3 Depth=1
                                        ;     Parent Loop BB26_24 Depth=2
                                        ;       Parent Loop BB26_27 Depth=3
                                        ; =>      This Loop Header: Depth=4
                                        ;           Child Loop BB26_39 Depth 5
	s_cmp_eq_u32 s14, 0
	s_cbranch_scc1 .LBB26_35
; %bb.38:                               ;   in Loop: Header=BB26_37 Depth=4
	s_add_co_i32 s45, s14, s22
	s_mov_b64 s[16:17], 0
	s_mul_i32 s44, s45, 0x60
	s_mov_b32 s46, s43
.LBB26_39:                              ;   Parent Loop BB26_3 Depth=1
                                        ;     Parent Loop BB26_24 Depth=2
                                        ;       Parent Loop BB26_27 Depth=3
                                        ;         Parent Loop BB26_37 Depth=4
                                        ; =>        This Inner Loop Header: Depth=5
	s_delay_alu instid0(SALU_CYCLE_1)
	v_mov_b32_e32 v74, s46
	s_mov_b32 m0, s16
	s_add_nc_u64 s[16:17], s[16:17], 1
	v_movrels_b32_e32 v75, v34
	s_mov_b32 m0, s14
	ds_load_b32 v74, v74
	v_movrels_b32_e32 v76, v34
	s_add_co_i32 s46, s46, 4
	s_cmp_eq_u32 s14, s16
	s_wait_dscnt 0x0
	s_delay_alu instid0(VALU_DEP_1) | instskip(NEXT) | instid1(VALU_DEP_1)
	v_fma_f32 v74, -v75, v74, v76
	v_movreld_b32_e32 v34, v74
	s_cbranch_scc0 .LBB26_39
; %bb.40:                               ;   in Loop: Header=BB26_37 Depth=4
	s_mov_b64 s[16:17], s[14:15]
	s_branch .LBB26_36
.LBB26_41:                              ;   in Loop: Header=BB26_24 Depth=2
	s_cmp_lt_i32 s22, s26
	s_cselect_b32 s15, -1, 0
	s_add_co_i32 s14, s23, 1
	s_cmp_lt_u32 s23, 2
	s_cselect_b32 s16, -1, 0
	s_delay_alu instid0(SALU_CYCLE_1) | instskip(NEXT) | instid1(SALU_CYCLE_1)
	s_and_b32 s15, s15, s16
	s_and_b32 vcc_lo, exec_lo, s15
	s_cbranch_vccz .LBB26_43
; %bb.42:                               ;   in Loop: Header=BB26_24 Depth=2
	s_wait_xcnt 0x0
	s_mov_b32 s23, s14
	s_branch .LBB26_24
.LBB26_43:                              ;   in Loop: Header=BB26_3 Depth=1
	s_mov_b32 s14, 0
.LBB26_44:                              ;   in Loop: Header=BB26_3 Depth=1
	s_delay_alu instid0(SALU_CYCLE_1)
	s_and_b32 vcc_lo, exec_lo, s14
	s_cbranch_vccz .LBB26_64
; %bb.45:                               ;   in Loop: Header=BB26_3 Depth=1
	s_wait_xcnt 0x0
	s_mov_b32 s23, 0
	s_mov_b32 s22, s27
	s_load_b32 s24, s[8:9], s23 offset:0x0 scale_offset
	s_wait_kmcnt 0x0
	s_add_co_i32 s25, s24, -1
	s_delay_alu instid0(SALU_CYCLE_1)
	s_cmp_lt_i32 s22, s25
	s_cbranch_scc1 .LBB26_61
.LBB26_46:                              ;   in Loop: Header=BB26_3 Depth=1
	v_mad_u32 v34, 0x60, s22, v72
	s_lshl_b32 s14, s22, 2
	s_lshl_b32 s15, s24, 2
	s_max_i32 s37, s24, 1
	s_mul_i32 s38, s24, 0xffffffa0
	s_add_co_i32 s39, s18, s14
	s_sub_co_i32 s40, 0, s15
	s_mul_i32 s41, s22, 0x64
	s_mul_i32 s42, s24, 0xffffff9c
	s_branch .LBB26_48
.LBB26_47:                              ;   in Loop: Header=BB26_48 Depth=2
	v_add_nc_u32_e32 v34, s38, v34
	s_sub_co_i32 s22, s22, s24
	s_add_co_i32 s39, s39, s40
	s_add_co_i32 s41, s41, s42
	s_cmp_lt_i32 s22, s25
	s_cbranch_scc1 .LBB26_61
.LBB26_48:                              ;   Parent Loop BB26_3 Depth=1
                                        ; =>  This Loop Header: Depth=2
                                        ;       Child Loop BB26_49 Depth 3
                                        ;       Child Loop BB26_51 Depth 3
                                        ;         Child Loop BB26_52 Depth 4
                                        ;       Child Loop BB26_57 Depth 3
                                        ;         Child Loop BB26_59 Depth 4
	s_delay_alu instid0(VALU_DEP_1)
	v_mov_b32_e32 v35, v34
	s_mov_b64 s[14:15], 0
.LBB26_49:                              ;   Parent Loop BB26_3 Depth=1
                                        ;     Parent Loop BB26_48 Depth=2
                                        ; =>    This Inner Loop Header: Depth=3
	ds_load_b32 v36, v35
	v_add_nc_u32_e32 v35, 0xffffffa0, v35
	s_mov_b32 m0, s14
	s_add_nc_u64 s[14:15], s[14:15], 1
	s_delay_alu instid0(SALU_CYCLE_1)
	s_cmp_eq_u32 s37, s14
	s_wait_dscnt 0x0
	v_movreld_b32_e32 v2, v36
	s_cbranch_scc0 .LBB26_49
; %bb.50:                               ;   in Loop: Header=BB26_48 Depth=2
	s_cmp_le_i32 s27, s22
	s_mov_b32 s16, s39
	s_mov_b32 s17, s27
	s_cbranch_scc1 .LBB26_54
.LBB26_51:                              ;   Parent Loop BB26_3 Depth=1
                                        ;     Parent Loop BB26_48 Depth=2
                                        ; =>    This Loop Header: Depth=3
                                        ;         Child Loop BB26_52 Depth 4
	v_mad_u32 v35, 0x60, s17, v72
	s_mov_b64 s[14:15], 0
	s_mov_b32 s43, s16
	ds_load_b32 v35, v35
.LBB26_52:                              ;   Parent Loop BB26_3 Depth=1
                                        ;     Parent Loop BB26_48 Depth=2
                                        ;       Parent Loop BB26_51 Depth=3
                                        ; =>      This Inner Loop Header: Depth=4
	v_mov_b32_e32 v36, s43
	s_mov_b32 m0, s14
	s_add_nc_u64 s[14:15], s[14:15], 1
	v_movrels_b32_e32 v37, v2
	s_add_co_i32 s43, s43, -4
	ds_load_b32 v36, v36
	s_cmp_eq_u32 s37, s14
	s_wait_dscnt 0x0
	v_fma_f32 v36, -v35, v36, v37
	s_delay_alu instid0(VALU_DEP_1)
	v_movreld_b32_e32 v2, v36
	s_cbranch_scc0 .LBB26_52
; %bb.53:                               ;   in Loop: Header=BB26_51 Depth=3
	s_add_co_i32 s17, s17, -1
	s_addk_co_i32 s16, 0xffa0
	s_cmp_le_i32 s17, s22
	s_cbranch_scc0 .LBB26_51
.LBB26_54:                              ;   in Loop: Header=BB26_48 Depth=2
	s_mov_b64 s[14:15], 0
	s_mov_b32 s43, s41
	s_branch .LBB26_57
.LBB26_55:                              ;   in Loop: Header=BB26_57 Depth=3
	s_mov_b32 s44, s22
	s_mov_b64 s[16:17], 0
.LBB26_56:                              ;   in Loop: Header=BB26_57 Depth=3
	s_delay_alu instid0(SALU_CYCLE_1)
	s_mov_b32 m0, s16
	s_mul_i32 s16, s44, 0x64
	v_mad_u32 v37, 0x60, s44, v72
	v_mov_b32_e32 v35, s16
	v_movrels_b32_e32 v36, v2
	s_add_nc_u64 s[14:15], s[14:15], 1
	s_add_co_i32 s43, s43, -4
	s_cmp_eq_u32 s14, s37
	ds_load_b32 v35, v35
	s_wait_dscnt 0x0
	v_mul_f32_e32 v35, v36, v35
	s_delay_alu instid0(VALU_DEP_1)
	v_movreld_b32_e32 v2, v35
	ds_store_b32 v37, v35
	s_cbranch_scc1 .LBB26_47
.LBB26_57:                              ;   Parent Loop BB26_3 Depth=1
                                        ;     Parent Loop BB26_48 Depth=2
                                        ; =>    This Loop Header: Depth=3
                                        ;         Child Loop BB26_59 Depth 4
	s_cmp_eq_u32 s14, 0
	s_cbranch_scc1 .LBB26_55
; %bb.58:                               ;   in Loop: Header=BB26_57 Depth=3
	s_sub_co_i32 s44, s22, s14
	s_mov_b64 s[16:17], 0
	s_mov_b32 s45, s43
.LBB26_59:                              ;   Parent Loop BB26_3 Depth=1
                                        ;     Parent Loop BB26_48 Depth=2
                                        ;       Parent Loop BB26_57 Depth=3
                                        ; =>      This Inner Loop Header: Depth=4
	s_delay_alu instid0(SALU_CYCLE_1)
	v_mov_b32_e32 v35, s45
	s_mov_b32 m0, s16
	s_add_nc_u64 s[16:17], s[16:17], 1
	v_movrels_b32_e32 v36, v2
	s_mov_b32 m0, s14
	ds_load_b32 v35, v35
	v_movrels_b32_e32 v37, v2
	s_addk_co_i32 s45, 0xffa0
	s_cmp_eq_u32 s14, s16
	s_wait_dscnt 0x0
	s_delay_alu instid0(VALU_DEP_1) | instskip(NEXT) | instid1(VALU_DEP_1)
	v_fma_f32 v35, -v36, v35, v37
	v_movreld_b32_e32 v2, v35
	s_cbranch_scc0 .LBB26_59
; %bb.60:                               ;   in Loop: Header=BB26_57 Depth=3
	s_mov_b64 s[16:17], s[14:15]
	s_branch .LBB26_56
.LBB26_61:                              ;   Parent Loop BB26_3 Depth=1
                                        ; =>  This Inner Loop Header: Depth=2
	s_cmp_gt_i32 s22, -1
	s_cselect_b32 s15, -1, 0
	s_add_co_i32 s14, s23, 1
	s_cmp_lt_u32 s23, 2
	s_cselect_b32 s16, -1, 0
	s_delay_alu instid0(SALU_CYCLE_1) | instskip(NEXT) | instid1(SALU_CYCLE_1)
	s_and_b32 s15, s15, s16
	s_and_not1_b32 vcc_lo, exec_lo, s15
	s_cbranch_vccnz .LBB26_63
; %bb.62:                               ;   in Loop: Header=BB26_61 Depth=2
	s_wait_xcnt 0x0
	s_mov_b32 s23, s14
	s_load_b32 s24, s[8:9], s23 offset:0x0 scale_offset
	s_wait_kmcnt 0x0
	s_add_co_i32 s25, s24, -1
	s_delay_alu instid0(SALU_CYCLE_1)
	s_cmp_lt_i32 s22, s25
	s_cbranch_scc0 .LBB26_46
	s_branch .LBB26_61
.LBB26_63:                              ;   in Loop: Header=BB26_3 Depth=1
	v_mov_b64_e32 v[64:65], v[32:33]
	v_mov_b64_e32 v[62:63], v[30:31]
	;; [unrolled: 1-line block ×16, first 2 shown]
.LBB26_64:                              ;   in Loop: Header=BB26_3 Depth=1
	s_delay_alu instid0(VALU_DEP_1) | instskip(NEXT) | instid1(VALU_DEP_3)
	v_mov_b64_e32 v[2:3], v[34:35]
	v_mov_b64_e32 v[4:5], v[36:37]
	;; [unrolled: 1-line block ×16, first 2 shown]
	s_wait_dscnt 0x0
	; wave barrier
	s_and_saveexec_b32 s14, s29
	s_cbranch_execz .LBB26_2
; %bb.65:                               ;   in Loop: Header=BB26_3 Depth=1
	s_and_not1_b32 vcc_lo, exec_lo, s34
	s_cbranch_vccnz .LBB26_69
; %bb.66:                               ;   in Loop: Header=BB26_3 Depth=1
	s_mov_b32 s15, 1
	s_mov_b32 s16, 0
	;; [unrolled: 1-line block ×3, first 2 shown]
.LBB26_67:                              ;   Parent Loop BB26_3 Depth=1
                                        ; =>  This Inner Loop Header: Depth=2
	v_mad_u32 v34, 0x60, s16, v72
	v_mad_u32 v35, 0x60, s15, v72
	s_add_co_i32 s17, s17, -2
	s_add_co_i32 s16, s16, 2
	s_add_co_i32 s15, s15, 2
	s_mov_b32 s22, s35
	s_cmp_lg_u32 s17, 0
	s_wait_xcnt 0x0
	s_mov_b32 s23, s36
	ds_load_b32 v34, v34
	ds_load_b32 v35, v35
	s_wait_dscnt 0x0
	global_store_b64 v[70:71], v[34:35], off
	s_wait_xcnt 0x0
	v_add_nc_u64_e32 v[70:71], 8, v[70:71]
	s_cbranch_scc1 .LBB26_67
; %bb.68:                               ;   in Loop: Header=BB26_3 Depth=1
	s_and_b32 vcc_lo, exec_lo, s23
	s_cbranch_vccz .LBB26_2
	s_branch .LBB26_70
.LBB26_69:                              ;   in Loop: Header=BB26_3 Depth=1
	s_wait_xcnt 0x0
	s_mov_b32 s22, 0
	s_cbranch_execz .LBB26_2
.LBB26_70:                              ;   in Loop: Header=BB26_3 Depth=1
	s_lshl_b32 s16, s22, 2
	s_mov_b32 s17, s3
	v_mad_u32 v36, 0x60, s22, v72
	s_add_nc_u64 s[12:13], s[12:13], s[16:17]
	s_delay_alu instid0(SALU_CYCLE_1)
	v_add_nc_u64_e32 v[34:35], s[12:13], v[68:69]
	s_sub_co_i32 s12, s26, s22
.LBB26_71:                              ;   Parent Loop BB26_3 Depth=1
                                        ; =>  This Inner Loop Header: Depth=2
	ds_load_b32 v37, v36
	v_add_nc_u32_e32 v36, 0x60, v36
	s_add_co_i32 s12, s12, -1
	s_delay_alu instid0(SALU_CYCLE_1)
	s_cmp_lg_u32 s12, 0
	s_wait_dscnt 0x0
	global_store_b32 v[34:35], v37, off
	s_wait_xcnt 0x0
	v_add_nc_u64_e32 v[34:35], 4, v[34:35]
	s_cbranch_scc1 .LBB26_71
	s_branch .LBB26_2
.LBB26_72:
	s_sendmsg sendmsg(MSG_DEALLOC_VGPRS)
	s_endpgm
	.section	.rodata,"a",@progbits
	.p2align	6, 0x0
	.amdhsa_kernel _ZL38rocblas_trsm_small_left_device_sharedBILi24ELi24ELb0EffPKfPfEv13rocblas_fill_18rocblas_operation_17rocblas_diagonal_iiT3_T4_lilT5_lili
		.amdhsa_group_segment_fixed_size 4608
		.amdhsa_private_segment_fixed_size 0
		.amdhsa_kernarg_size 352
		.amdhsa_user_sgpr_count 2
		.amdhsa_user_sgpr_dispatch_ptr 0
		.amdhsa_user_sgpr_queue_ptr 0
		.amdhsa_user_sgpr_kernarg_segment_ptr 1
		.amdhsa_user_sgpr_dispatch_id 0
		.amdhsa_user_sgpr_kernarg_preload_length 0
		.amdhsa_user_sgpr_kernarg_preload_offset 0
		.amdhsa_user_sgpr_private_segment_size 0
		.amdhsa_wavefront_size32 1
		.amdhsa_uses_dynamic_stack 0
		.amdhsa_enable_private_segment 0
		.amdhsa_system_sgpr_workgroup_id_x 1
		.amdhsa_system_sgpr_workgroup_id_y 0
		.amdhsa_system_sgpr_workgroup_id_z 1
		.amdhsa_system_sgpr_workgroup_info 0
		.amdhsa_system_vgpr_workitem_id 0
		.amdhsa_next_free_vgpr 77
		.amdhsa_next_free_sgpr 47
		.amdhsa_named_barrier_count 0
		.amdhsa_reserve_vcc 1
		.amdhsa_float_round_mode_32 0
		.amdhsa_float_round_mode_16_64 0
		.amdhsa_float_denorm_mode_32 3
		.amdhsa_float_denorm_mode_16_64 3
		.amdhsa_fp16_overflow 0
		.amdhsa_memory_ordered 1
		.amdhsa_forward_progress 1
		.amdhsa_inst_pref_size 23
		.amdhsa_round_robin_scheduling 0
		.amdhsa_exception_fp_ieee_invalid_op 0
		.amdhsa_exception_fp_denorm_src 0
		.amdhsa_exception_fp_ieee_div_zero 0
		.amdhsa_exception_fp_ieee_overflow 0
		.amdhsa_exception_fp_ieee_underflow 0
		.amdhsa_exception_fp_ieee_inexact 0
		.amdhsa_exception_int_div_zero 0
	.end_amdhsa_kernel
	.section	.text._ZL38rocblas_trsm_small_left_device_sharedBILi24ELi24ELb0EffPKfPfEv13rocblas_fill_18rocblas_operation_17rocblas_diagonal_iiT3_T4_lilT5_lili,"axG",@progbits,_ZL38rocblas_trsm_small_left_device_sharedBILi24ELi24ELb0EffPKfPfEv13rocblas_fill_18rocblas_operation_17rocblas_diagonal_iiT3_T4_lilT5_lili,comdat
.Lfunc_end26:
	.size	_ZL38rocblas_trsm_small_left_device_sharedBILi24ELi24ELb0EffPKfPfEv13rocblas_fill_18rocblas_operation_17rocblas_diagonal_iiT3_T4_lilT5_lili, .Lfunc_end26-_ZL38rocblas_trsm_small_left_device_sharedBILi24ELi24ELb0EffPKfPfEv13rocblas_fill_18rocblas_operation_17rocblas_diagonal_iiT3_T4_lilT5_lili
                                        ; -- End function
	.set _ZL38rocblas_trsm_small_left_device_sharedBILi24ELi24ELb0EffPKfPfEv13rocblas_fill_18rocblas_operation_17rocblas_diagonal_iiT3_T4_lilT5_lili.num_vgpr, 77
	.set _ZL38rocblas_trsm_small_left_device_sharedBILi24ELi24ELb0EffPKfPfEv13rocblas_fill_18rocblas_operation_17rocblas_diagonal_iiT3_T4_lilT5_lili.num_agpr, 0
	.set _ZL38rocblas_trsm_small_left_device_sharedBILi24ELi24ELb0EffPKfPfEv13rocblas_fill_18rocblas_operation_17rocblas_diagonal_iiT3_T4_lilT5_lili.numbered_sgpr, 47
	.set _ZL38rocblas_trsm_small_left_device_sharedBILi24ELi24ELb0EffPKfPfEv13rocblas_fill_18rocblas_operation_17rocblas_diagonal_iiT3_T4_lilT5_lili.num_named_barrier, 0
	.set _ZL38rocblas_trsm_small_left_device_sharedBILi24ELi24ELb0EffPKfPfEv13rocblas_fill_18rocblas_operation_17rocblas_diagonal_iiT3_T4_lilT5_lili.private_seg_size, 0
	.set _ZL38rocblas_trsm_small_left_device_sharedBILi24ELi24ELb0EffPKfPfEv13rocblas_fill_18rocblas_operation_17rocblas_diagonal_iiT3_T4_lilT5_lili.uses_vcc, 1
	.set _ZL38rocblas_trsm_small_left_device_sharedBILi24ELi24ELb0EffPKfPfEv13rocblas_fill_18rocblas_operation_17rocblas_diagonal_iiT3_T4_lilT5_lili.uses_flat_scratch, 0
	.set _ZL38rocblas_trsm_small_left_device_sharedBILi24ELi24ELb0EffPKfPfEv13rocblas_fill_18rocblas_operation_17rocblas_diagonal_iiT3_T4_lilT5_lili.has_dyn_sized_stack, 0
	.set _ZL38rocblas_trsm_small_left_device_sharedBILi24ELi24ELb0EffPKfPfEv13rocblas_fill_18rocblas_operation_17rocblas_diagonal_iiT3_T4_lilT5_lili.has_recursion, 0
	.set _ZL38rocblas_trsm_small_left_device_sharedBILi24ELi24ELb0EffPKfPfEv13rocblas_fill_18rocblas_operation_17rocblas_diagonal_iiT3_T4_lilT5_lili.has_indirect_call, 0
	.section	.AMDGPU.csdata,"",@progbits
; Kernel info:
; codeLenInByte = 2840
; TotalNumSgprs: 49
; NumVgprs: 77
; ScratchSize: 0
; MemoryBound: 0
; FloatMode: 240
; IeeeMode: 1
; LDSByteSize: 4608 bytes/workgroup (compile time only)
; SGPRBlocks: 0
; VGPRBlocks: 4
; NumSGPRsForWavesPerEU: 49
; NumVGPRsForWavesPerEU: 77
; NamedBarCnt: 0
; Occupancy: 12
; WaveLimiterHint : 0
; COMPUTE_PGM_RSRC2:SCRATCH_EN: 0
; COMPUTE_PGM_RSRC2:USER_SGPR: 2
; COMPUTE_PGM_RSRC2:TRAP_HANDLER: 0
; COMPUTE_PGM_RSRC2:TGID_X_EN: 1
; COMPUTE_PGM_RSRC2:TGID_Y_EN: 0
; COMPUTE_PGM_RSRC2:TGID_Z_EN: 1
; COMPUTE_PGM_RSRC2:TIDIG_COMP_CNT: 0
	.section	.text._ZL30rocblas_trsm_small_left_deviceILi24ELi24ELb0EffPKfPfEv13rocblas_fill_18rocblas_operation_17rocblas_diagonal_iiT3_T4_lilT5_lili,"axG",@progbits,_ZL30rocblas_trsm_small_left_deviceILi24ELi24ELb0EffPKfPfEv13rocblas_fill_18rocblas_operation_17rocblas_diagonal_iiT3_T4_lilT5_lili,comdat
	.globl	_ZL30rocblas_trsm_small_left_deviceILi24ELi24ELb0EffPKfPfEv13rocblas_fill_18rocblas_operation_17rocblas_diagonal_iiT3_T4_lilT5_lili ; -- Begin function _ZL30rocblas_trsm_small_left_deviceILi24ELi24ELb0EffPKfPfEv13rocblas_fill_18rocblas_operation_17rocblas_diagonal_iiT3_T4_lilT5_lili
	.p2align	8
	.type	_ZL30rocblas_trsm_small_left_deviceILi24ELi24ELb0EffPKfPfEv13rocblas_fill_18rocblas_operation_17rocblas_diagonal_iiT3_T4_lilT5_lili,@function
_ZL30rocblas_trsm_small_left_deviceILi24ELi24ELb0EffPKfPfEv13rocblas_fill_18rocblas_operation_17rocblas_diagonal_iiT3_T4_lilT5_lili: ; @_ZL30rocblas_trsm_small_left_deviceILi24ELi24ELb0EffPKfPfEv13rocblas_fill_18rocblas_operation_17rocblas_diagonal_iiT3_T4_lilT5_lili
; %bb.0:
	s_load_b32 s30, s[0:1], 0x58
	s_bfe_u32 s2, ttmp6, 0x40014
	s_lshr_b32 s4, ttmp7, 16
	s_add_co_i32 s2, s2, 1
	s_bfe_u32 s5, ttmp6, 0x40008
	s_mul_i32 s2, s4, s2
	s_getreg_b32 s3, hwreg(HW_REG_IB_STS2, 6, 4)
	s_add_co_i32 s5, s5, s2
	s_cmp_eq_u32 s3, 0
	s_mov_b32 s19, 0
	s_cselect_b32 s2, s4, s5
	s_wait_kmcnt 0x0
	s_cmp_ge_u32 s2, s30
	s_cbranch_scc1 .LBB27_58
; %bb.1:
	s_clause 0x7
	s_load_b32 s24, s[0:1], 0x28
	s_load_b96 s[16:18], s[0:1], 0x40
	s_load_b128 s[4:7], s[0:1], 0x4
	s_load_b32 s26, s[0:1], 0x60
	s_load_b128 s[8:11], s[0:1], 0x18
	s_load_b128 s[12:15], s[0:1], 0x30
	s_load_b64 s[20:21], s[0:1], 0x50
	s_load_b32 s31, s[0:1], 0x14
	v_dual_mov_b32 v67, 0 :: v_dual_lshlrev_b32 v66, 2, v0
	v_mul_u32_u24_e32 v28, 0x60, v0
	s_mov_b32 s41, 0
	s_get_pc_i64 s[22:23]
	s_add_nc_u64 s[22:23], s[22:23], __const._ZL30rocblas_trsm_small_left_deviceILi24ELi24ELb0EffPKfPfEv13rocblas_fill_18rocblas_operation_17rocblas_diagonal_iiT3_T4_lilT5_lili.step_sizes@rel64+4
	v_dual_mov_b32 v2, v67 :: v_dual_mov_b32 v3, v67
	v_dual_mov_b32 v4, v67 :: v_dual_mov_b32 v5, v67
	;; [unrolled: 1-line block ×3, first 2 shown]
	s_wait_kmcnt 0x0
	s_ashr_i32 s25, s24, 31
	v_dual_mov_b32 v8, v67 :: v_dual_mov_b32 v9, v67
	s_cmp_eq_u64 s[24:25], 1
	v_dual_mov_b32 v10, v67 :: v_dual_mov_b32 v11, v67
	s_cselect_b32 s27, -1, 0
	s_bfe_u32 s0, ttmp6, 0x4000c
	s_min_i32 s33, s6, 24
	s_add_co_i32 s0, s0, 1
	s_and_b32 s6, ttmp6, 15
	s_mul_i32 s0, ttmp9, s0
	s_ashr_i32 s1, s18, 31
	s_lshl_b64 s[16:17], s[16:17], 2
	s_add_co_i32 s26, s26, -1
	s_add_co_i32 s34, s33, -1
	s_add_co_i32 s6, s6, s0
	s_cmp_eq_u32 s3, 0
	s_mov_b32 s0, s18
	s_cselect_b32 s3, ttmp9, s6
	s_add_nc_u64 s[14:15], s[14:15], s[16:17]
	v_mad_u32 v18, s3, 24, v0
	v_dual_mov_b32 v14, v67 :: v_dual_mov_b32 v12, v67
	v_dual_mov_b32 v13, v67 :: v_dual_mov_b32 v15, v67
	;; [unrolled: 1-line block ×5, first 2 shown]
	v_dual_mov_b32 v20, v67 :: v_dual_ashrrev_i32 v19, 31, v18
	v_mov_b32_e32 v25, v67
	s_mul_i32 s40, s33, 0x60
	s_delay_alu instid0(VALU_DEP_2)
	v_mul_u64_e32 v[26:27], s[0:1], v[18:19]
	s_mul_i32 s0, s3, 0xffffffe8
	v_mov_b32_e32 v18, v67
	s_add_co_i32 s0, s7, s0
	s_cmp_ge_u32 s3, s26
	v_mov_b32_e32 v19, v67
	s_cselect_b32 s1, s0, 24
	s_cmp_lg_u32 s5, 0x84
	v_cmp_gt_i32_e64 s0, s33, v0
	s_cselect_b32 s35, -1, 0
	s_cmp_lg_u32 s4, 0x6f
	v_cmp_gt_i32_e64 s1, s1, v0
	s_cselect_b32 s36, -1, 0
	s_cmp_gt_u32 s33, 1
	s_cselect_b32 s3, -1, 0
	s_and_b32 s37, s33, -2
	s_and_b32 s38, s3, s27
	s_cmp_lg_u32 s33, s37
	s_cselect_b32 s39, -1, 0
	s_lshl_b64 s[6:7], s[10:11], 2
	s_lshl_b64 s[4:5], s[12:13], 2
	s_add_nc_u64 s[8:9], s[8:9], s[6:7]
	s_lshl_b64 s[6:7], s[24:25], 2
	v_add_nc_u64_e32 v[0:1], s[8:9], v[66:67]
	v_add_nc_u32_e32 v67, v66, v28
	s_lshl_b64 s[8:9], s[20:21], 2
	s_addk_co_i32 s40, 0xffa0
	v_lshl_add_u64 v[68:69], v[26:27], 2, s[14:15]
	s_branch .LBB27_5
.LBB27_2:                               ;   in Loop: Header=BB27_5 Depth=1
	s_wait_xcnt 0x0
	v_mov_b64_e32 v[64:65], v[32:33]
	v_mov_b64_e32 v[62:63], v[30:31]
	;; [unrolled: 1-line block ×16, first 2 shown]
.LBB27_3:                               ;   in Loop: Header=BB27_5 Depth=1
	s_add_co_i32 s2, s2, 0x10000
	s_delay_alu instid0(SALU_CYCLE_1) | instskip(SKIP_1) | instid1(SALU_CYCLE_1)
	s_cmp_ge_u32 s2, s30
	s_cselect_b32 s3, -1, 0
	s_or_not1_b32 s10, s3, exec_lo
.LBB27_4:                               ;   in Loop: Header=BB27_5 Depth=1
	s_wait_xcnt 0x0
	s_or_b32 exec_lo, exec_lo, s42
	v_mov_b64_e32 v[2:3], v[34:35]
	v_mov_b64_e32 v[4:5], v[36:37]
	;; [unrolled: 1-line block ×16, first 2 shown]
	s_and_b32 s3, exec_lo, s10
	s_delay_alu instid0(SALU_CYCLE_1) | instskip(NEXT) | instid1(SALU_CYCLE_1)
	s_or_b32 s41, s3, s41
	s_and_not1_b32 exec_lo, exec_lo, s41
	s_cbranch_execz .LBB27_58
.LBB27_5:                               ; =>This Loop Header: Depth=1
                                        ;     Child Loop BB27_8 Depth 2
                                        ;     Child Loop BB27_12 Depth 2
	;; [unrolled: 1-line block ×3, first 2 shown]
                                        ;       Child Loop BB27_22 Depth 3
                                        ;         Child Loop BB27_23 Depth 4
                                        ;         Child Loop BB27_26 Depth 4
                                        ;           Child Loop BB27_27 Depth 5
                                        ;         Child Loop BB27_32 Depth 4
                                        ;           Child Loop BB27_34 Depth 5
                                        ;     Child Loop BB27_43 Depth 2
                                        ;       Child Loop BB27_44 Depth 3
                                        ;       Child Loop BB27_46 Depth 3
                                        ;         Child Loop BB27_47 Depth 4
                                        ;       Child Loop BB27_52 Depth 3
                                        ;         Child Loop BB27_54 Depth 4
                                        ;     Child Loop BB27_56 Depth 2
	s_mov_b32 s3, s19
	s_and_saveexec_b32 s12, s0
	s_cbranch_execz .LBB27_16
; %bb.6:                                ;   in Loop: Header=BB27_5 Depth=1
	s_and_not1_b32 vcc_lo, exec_lo, s38
	s_mul_u64 s[10:11], s[4:5], s[2:3]
	s_cbranch_vccnz .LBB27_10
; %bb.7:                                ;   in Loop: Header=BB27_5 Depth=1
	v_add_nc_u64_e32 v[34:35], s[10:11], v[0:1]
	s_mov_b32 s13, 1
	s_mov_b32 s14, 0
	;; [unrolled: 1-line block ×3, first 2 shown]
.LBB27_8:                               ;   Parent Loop BB27_5 Depth=1
                                        ; =>  This Inner Loop Header: Depth=2
	global_load_b64 v[36:37], v[34:35], off
	v_mad_u32 v38, 0x60, s14, v66
	v_mad_u32 v39, 0x60, s13, v66
	s_wait_xcnt 0x0
	v_add_nc_u64_e32 v[34:35], 8, v[34:35]
	s_add_co_i32 s15, s15, -2
	s_add_co_i32 s14, s14, 2
	s_add_co_i32 s13, s13, 2
	s_mov_b32 s18, s37
	s_mov_b32 s16, s39
	s_cmp_lg_u32 s15, 0
	s_wait_loadcnt 0x0
	ds_store_b32 v38, v36
	ds_store_b32 v39, v37
	s_cbranch_scc1 .LBB27_8
; %bb.9:                                ;   in Loop: Header=BB27_5 Depth=1
	s_and_b32 vcc_lo, exec_lo, s16
	s_cbranch_vccnz .LBB27_11
	s_branch .LBB27_13
.LBB27_10:                              ;   in Loop: Header=BB27_5 Depth=1
	s_mov_b32 s18, 0
	s_cbranch_execz .LBB27_13
.LBB27_11:                              ;   in Loop: Header=BB27_5 Depth=1
	s_mul_u64 s[14:15], s[6:7], s[18:19]
	v_mad_u32 v36, 0x60, s18, v66
	s_add_nc_u64 s[10:11], s[14:15], s[10:11]
	s_delay_alu instid0(SALU_CYCLE_1)
	v_add_nc_u64_e32 v[34:35], s[10:11], v[0:1]
	s_sub_co_i32 s10, s33, s18
.LBB27_12:                              ;   Parent Loop BB27_5 Depth=1
                                        ; =>  This Inner Loop Header: Depth=2
	global_load_b32 v37, v[34:35], off
	s_wait_xcnt 0x0
	v_add_nc_u64_e32 v[34:35], s[6:7], v[34:35]
	s_add_co_i32 s10, s10, -1
	s_delay_alu instid0(SALU_CYCLE_1)
	s_cmp_eq_u32 s10, 0
	s_wait_loadcnt 0x0
	ds_store_b32 v36, v37
	v_add_nc_u32_e32 v36, 0x60, v36
	s_cbranch_scc0 .LBB27_12
.LBB27_13:                              ;   in Loop: Header=BB27_5 Depth=1
	v_mov_b32_e32 v34, 1.0
	s_and_b32 vcc_lo, exec_lo, s35
	s_cbranch_vccz .LBB27_15
; %bb.14:                               ;   in Loop: Header=BB27_5 Depth=1
	ds_load_b32 v34, v67
	s_wait_dscnt 0x0
	v_div_scale_f32 v35, null, v34, v34, 1.0
	s_delay_alu instid0(VALU_DEP_1) | instskip(SKIP_1) | instid1(TRANS32_DEP_1)
	v_rcp_f32_e32 v36, v35
	v_nop
	v_fma_f32 v37, -v35, v36, 1.0
	s_delay_alu instid0(VALU_DEP_1) | instskip(SKIP_1) | instid1(VALU_DEP_1)
	v_fmac_f32_e32 v36, v37, v36
	v_div_scale_f32 v37, vcc_lo, 1.0, v34, 1.0
	v_mul_f32_e32 v38, v37, v36
	s_delay_alu instid0(VALU_DEP_1) | instskip(NEXT) | instid1(VALU_DEP_1)
	v_fma_f32 v39, -v35, v38, v37
	v_fmac_f32_e32 v38, v39, v36
	s_delay_alu instid0(VALU_DEP_1) | instskip(NEXT) | instid1(VALU_DEP_1)
	v_fma_f32 v35, -v35, v38, v37
	v_div_fmas_f32 v35, v35, v36, v38
	s_delay_alu instid0(VALU_DEP_1)
	v_div_fixup_f32 v34, v35, v34, 1.0
.LBB27_15:                              ;   in Loop: Header=BB27_5 Depth=1
	ds_store_b32 v67, v34
.LBB27_16:                              ;   in Loop: Header=BB27_5 Depth=1
	s_or_b32 exec_lo, exec_lo, s12
	s_mov_b32 s10, -1
	s_wait_dscnt 0x0
	; wave barrier
                                        ; implicit-def: $vgpr34_vgpr35_vgpr36_vgpr37_vgpr38_vgpr39_vgpr40_vgpr41_vgpr42_vgpr43_vgpr44_vgpr45_vgpr46_vgpr47_vgpr48_vgpr49_vgpr50_vgpr51_vgpr52_vgpr53_vgpr54_vgpr55_vgpr56_vgpr57_vgpr58_vgpr59_vgpr60_vgpr61_vgpr62_vgpr63_vgpr64_vgpr65
	s_and_saveexec_b32 s42, s1
	s_cbranch_execz .LBB27_4
; %bb.17:                               ;   in Loop: Header=BB27_5 Depth=1
	s_mul_u64 s[10:11], s[20:21], s[2:3]
	s_and_not1_b32 vcc_lo, exec_lo, s36
	v_lshl_add_u64 v[70:71], s[10:11], 2, v[68:69]
	s_mul_u64 s[10:11], s[8:9], s[2:3]
	s_mov_b32 s3, -1
                                        ; implicit-def: $vgpr34_vgpr35_vgpr36_vgpr37_vgpr38_vgpr39_vgpr40_vgpr41_vgpr42_vgpr43_vgpr44_vgpr45_vgpr46_vgpr47_vgpr48_vgpr49_vgpr50_vgpr51_vgpr52_vgpr53_vgpr54_vgpr55_vgpr56_vgpr57_vgpr58_vgpr59_vgpr60_vgpr61_vgpr62_vgpr63_vgpr64_vgpr65
	s_cbranch_vccnz .LBB27_39
; %bb.18:                               ;   in Loop: Header=BB27_5 Depth=1
	v_mov_b64_e32 v[64:65], v[32:33]
	v_add_nc_u64_e32 v[72:73], s[10:11], v[68:69]
	v_mov_b64_e32 v[62:63], v[30:31]
	v_mov_b64_e32 v[60:61], v[28:29]
	;; [unrolled: 1-line block ×15, first 2 shown]
	s_mov_b32 s3, 0
	s_mov_b32 s12, 0
.LBB27_19:                              ;   Parent Loop BB27_5 Depth=1
                                        ; =>  This Loop Header: Depth=2
                                        ;       Child Loop BB27_22 Depth 3
                                        ;         Child Loop BB27_23 Depth 4
                                        ;         Child Loop BB27_26 Depth 4
                                        ;           Child Loop BB27_27 Depth 5
                                        ;         Child Loop BB27_32 Depth 4
                                        ;           Child Loop BB27_34 Depth 5
	s_load_b32 s14, s[22:23], s3 offset:0x0 scale_offset
	s_wait_kmcnt 0x0
	s_add_co_i32 s43, s14, -1
	s_delay_alu instid0(SALU_CYCLE_1) | instskip(NEXT) | instid1(SALU_CYCLE_1)
	s_add_co_i32 s13, s43, s12
	s_cmp_ge_i32 s13, s33
	s_cbranch_scc1 .LBB27_36
; %bb.20:                               ;   in Loop: Header=BB27_19 Depth=2
	s_ashr_i32 s13, s12, 31
	s_ashr_i32 s15, s14, 31
	v_lshl_add_u64 v[74:75], s[12:13], 2, v[72:73]
	s_max_i32 s44, s14, 1
	s_lshl_b64 s[16:17], s[14:15], 2
	s_mul_i32 s13, s12, 0x60
	s_mul_i32 s15, s14, 0x60
	;; [unrolled: 1-line block ×4, first 2 shown]
	s_branch .LBB27_22
.LBB27_21:                              ;   in Loop: Header=BB27_22 Depth=3
	v_add_nc_u64_e32 v[74:75], s[16:17], v[74:75]
	s_add_co_i32 s12, s12, s14
	s_add_co_i32 s13, s13, s15
	;; [unrolled: 1-line block ×4, first 2 shown]
	s_cmp_ge_i32 s18, s33
	s_cbranch_scc1 .LBB27_36
.LBB27_22:                              ;   Parent Loop BB27_5 Depth=1
                                        ;     Parent Loop BB27_19 Depth=2
                                        ; =>    This Loop Header: Depth=3
                                        ;         Child Loop BB27_23 Depth 4
                                        ;         Child Loop BB27_26 Depth 4
                                        ;           Child Loop BB27_27 Depth 5
                                        ;         Child Loop BB27_32 Depth 4
                                        ;           Child Loop BB27_34 Depth 5
	s_wait_xcnt 0x0
	v_mov_b64_e32 v[76:77], v[74:75]
	s_mov_b64 s[24:25], 0
.LBB27_23:                              ;   Parent Loop BB27_5 Depth=1
                                        ;     Parent Loop BB27_19 Depth=2
                                        ;       Parent Loop BB27_22 Depth=3
                                        ; =>      This Inner Loop Header: Depth=4
	global_load_b32 v78, v[76:77], off
	s_wait_xcnt 0x0
	v_add_nc_u64_e32 v[76:77], 4, v[76:77]
	s_mov_b32 m0, s24
	s_add_nc_u64 s[24:25], s[24:25], 1
	s_delay_alu instid0(SALU_CYCLE_1) | instskip(SKIP_2) | instid1(VALU_DEP_1)
	s_cmp_eq_u32 s44, s24
	s_wait_loadcnt 0x0
	v_mul_f32_e32 v78, s31, v78
	v_movreld_b32_e32 v34, v78
	s_cbranch_scc0 .LBB27_23
; %bb.24:                               ;   in Loop: Header=BB27_22 Depth=3
	s_cmp_lt_i32 s12, 1
	s_cbranch_scc1 .LBB27_29
; %bb.25:                               ;   in Loop: Header=BB27_22 Depth=3
	s_mov_b32 s18, 0
	s_mov_b32 s26, s13
.LBB27_26:                              ;   Parent Loop BB27_5 Depth=1
                                        ;     Parent Loop BB27_19 Depth=2
                                        ;       Parent Loop BB27_22 Depth=3
                                        ; =>      This Loop Header: Depth=4
                                        ;           Child Loop BB27_27 Depth 5
	v_lshl_add_u64 v[76:77], s[18:19], 2, v[70:71]
	s_mov_b64 s[24:25], 0
	s_mov_b32 s27, s26
	global_load_b32 v76, v[76:77], off
.LBB27_27:                              ;   Parent Loop BB27_5 Depth=1
                                        ;     Parent Loop BB27_19 Depth=2
                                        ;       Parent Loop BB27_22 Depth=3
                                        ;         Parent Loop BB27_26 Depth=4
                                        ; =>        This Inner Loop Header: Depth=5
	s_wait_xcnt 0x0
	v_mov_b32_e32 v77, s27
	s_mov_b32 m0, s24
	s_add_nc_u64 s[24:25], s[24:25], 1
	v_movrels_b32_e32 v78, v34
	s_addk_co_i32 s27, 0x60
	ds_load_b32 v77, v77
	s_cmp_eq_u32 s44, s24
	s_wait_loadcnt_dscnt 0x0
	v_fma_f32 v77, -v76, v77, v78
	s_delay_alu instid0(VALU_DEP_1)
	v_movreld_b32_e32 v34, v77
	s_cbranch_scc0 .LBB27_27
; %bb.28:                               ;   in Loop: Header=BB27_26 Depth=4
	s_add_co_i32 s18, s18, 1
	s_add_co_i32 s26, s26, 4
	s_cmp_eq_u32 s18, s12
	s_cbranch_scc0 .LBB27_26
.LBB27_29:                              ;   in Loop: Header=BB27_22 Depth=3
	s_mov_b64 s[24:25], 0
	s_mov_b32 s18, s45
	s_branch .LBB27_32
.LBB27_30:                              ;   in Loop: Header=BB27_32 Depth=4
	s_mov_b32 s26, s12
	s_mov_b64 s[28:29], 0
.LBB27_31:                              ;   in Loop: Header=BB27_32 Depth=4
	s_mul_i32 s27, s26, 0x64
	s_mov_b32 m0, s28
	s_wait_xcnt 0x0
	v_mov_b32_e32 v76, s27
	v_movrels_b32_e32 v77, v34
	s_ashr_i32 s27, s26, 31
	s_add_nc_u64 s[24:25], s[24:25], 1
	s_addk_co_i32 s18, 0x60
	ds_load_b32 v76, v76
	s_cmp_eq_u32 s24, s44
	s_wait_dscnt 0x0
	v_mul_f32_e32 v78, v77, v76
	v_lshl_add_u64 v[76:77], s[26:27], 2, v[70:71]
	s_delay_alu instid0(VALU_DEP_2)
	v_movreld_b32_e32 v34, v78
	global_store_b32 v[76:77], v78, off
	s_cbranch_scc1 .LBB27_21
.LBB27_32:                              ;   Parent Loop BB27_5 Depth=1
                                        ;     Parent Loop BB27_19 Depth=2
                                        ;       Parent Loop BB27_22 Depth=3
                                        ; =>      This Loop Header: Depth=4
                                        ;           Child Loop BB27_34 Depth 5
	s_cmp_eq_u32 s24, 0
	s_cbranch_scc1 .LBB27_30
; %bb.33:                               ;   in Loop: Header=BB27_32 Depth=4
	s_add_co_i32 s26, s24, s12
	s_mov_b64 s[28:29], 0
	s_mov_b32 s27, s18
.LBB27_34:                              ;   Parent Loop BB27_5 Depth=1
                                        ;     Parent Loop BB27_19 Depth=2
                                        ;       Parent Loop BB27_22 Depth=3
                                        ;         Parent Loop BB27_32 Depth=4
                                        ; =>        This Inner Loop Header: Depth=5
	s_wait_xcnt 0x0
	v_mov_b32_e32 v76, s27
	s_mov_b32 m0, s28
	s_add_nc_u64 s[28:29], s[28:29], 1
	v_movrels_b32_e32 v77, v34
	s_mov_b32 m0, s24
	ds_load_b32 v76, v76
	v_movrels_b32_e32 v78, v34
	s_add_co_i32 s27, s27, 4
	s_cmp_eq_u32 s24, s28
	s_wait_dscnt 0x0
	s_delay_alu instid0(VALU_DEP_1) | instskip(NEXT) | instid1(VALU_DEP_1)
	v_fma_f32 v76, -v77, v76, v78
	v_movreld_b32_e32 v34, v76
	s_cbranch_scc0 .LBB27_34
; %bb.35:                               ;   in Loop: Header=BB27_32 Depth=4
	s_mov_b64 s[28:29], s[24:25]
	s_branch .LBB27_31
.LBB27_36:                              ;   in Loop: Header=BB27_19 Depth=2
	s_cmp_lt_i32 s12, s33
	s_cselect_b32 s14, -1, 0
	s_add_co_i32 s13, s3, 1
	s_cmp_lt_u32 s3, 2
	s_wait_xcnt 0x0
	s_cselect_b32 s3, -1, 0
	s_delay_alu instid0(SALU_CYCLE_1) | instskip(NEXT) | instid1(SALU_CYCLE_1)
	s_and_b32 s3, s14, s3
	s_and_b32 vcc_lo, exec_lo, s3
	s_cbranch_vccz .LBB27_38
; %bb.37:                               ;   in Loop: Header=BB27_19 Depth=2
	s_mov_b32 s3, s13
	s_branch .LBB27_19
.LBB27_38:                              ;   in Loop: Header=BB27_5 Depth=1
	s_mov_b32 s3, 0
.LBB27_39:                              ;   in Loop: Header=BB27_5 Depth=1
	s_delay_alu instid0(SALU_CYCLE_1)
	s_and_b32 vcc_lo, exec_lo, s3
	s_cbranch_vccz .LBB27_3
; %bb.40:                               ;   in Loop: Header=BB27_5 Depth=1
	v_add_nc_u64_e32 v[34:35], s[10:11], v[68:69]
	s_mov_b32 s3, 0
	s_mov_b32 s10, s34
	s_load_b32 s18, s[22:23], s3 offset:0x0 scale_offset
	s_wait_kmcnt 0x0
	s_add_co_i32 s26, s18, -1
	s_delay_alu instid0(SALU_CYCLE_1)
	s_cmp_lt_i32 s10, s26
	s_cbranch_scc1 .LBB27_56
.LBB27_41:                              ;   in Loop: Header=BB27_5 Depth=1
	s_lshl_b32 s11, s10, 2
	s_lshl_b32 s12, s18, 2
	s_max_i32 s27, s18, 1
	s_add_co_i32 s28, s40, s11
	s_sub_co_i32 s29, 0, s12
	s_mul_i32 s43, s10, 0x64
	s_mul_i32 s44, s18, 0xffffff9c
	s_branch .LBB27_43
.LBB27_42:                              ;   in Loop: Header=BB27_43 Depth=2
	s_sub_co_i32 s10, s10, s18
	s_add_co_i32 s28, s28, s29
	s_add_co_i32 s43, s43, s44
	s_cmp_lt_i32 s10, s26
	s_cbranch_scc1 .LBB27_56
.LBB27_43:                              ;   Parent Loop BB27_5 Depth=1
                                        ; =>  This Loop Header: Depth=2
                                        ;       Child Loop BB27_44 Depth 3
                                        ;       Child Loop BB27_46 Depth 3
                                        ;         Child Loop BB27_47 Depth 4
                                        ;       Child Loop BB27_52 Depth 3
                                        ;         Child Loop BB27_54 Depth 4
	s_ashr_i32 s11, s10, 31
	s_mov_b64 s[12:13], 0
	s_wait_xcnt 0x0
	v_lshl_add_u64 v[36:37], s[10:11], 2, v[34:35]
.LBB27_44:                              ;   Parent Loop BB27_5 Depth=1
                                        ;     Parent Loop BB27_43 Depth=2
                                        ; =>    This Inner Loop Header: Depth=3
	global_load_b32 v38, v[36:37], off
	s_wait_xcnt 0x0
	v_add_nc_u64_e32 v[36:37], -4, v[36:37]
	s_mov_b32 m0, s12
	s_add_nc_u64 s[12:13], s[12:13], 1
	s_delay_alu instid0(SALU_CYCLE_1) | instskip(SKIP_2) | instid1(VALU_DEP_1)
	s_cmp_eq_u32 s27, s12
	s_wait_loadcnt 0x0
	v_mul_f32_e32 v38, s31, v38
	v_movreld_b32_e32 v2, v38
	s_cbranch_scc0 .LBB27_44
; %bb.45:                               ;   in Loop: Header=BB27_43 Depth=2
	s_cmp_le_i32 s34, s10
	s_mov_b32 s16, s28
	s_mov_b32 s12, s34
	s_cbranch_scc1 .LBB27_49
.LBB27_46:                              ;   Parent Loop BB27_5 Depth=1
                                        ;     Parent Loop BB27_43 Depth=2
                                        ; =>    This Loop Header: Depth=3
                                        ;         Child Loop BB27_47 Depth 4
	s_ashr_i32 s13, s12, 31
	s_mov_b64 s[14:15], 0
	v_lshl_add_u64 v[36:37], s[12:13], 2, v[70:71]
	s_mov_b32 s13, s16
	global_load_b32 v36, v[36:37], off
.LBB27_47:                              ;   Parent Loop BB27_5 Depth=1
                                        ;     Parent Loop BB27_43 Depth=2
                                        ;       Parent Loop BB27_46 Depth=3
                                        ; =>      This Inner Loop Header: Depth=4
	s_wait_xcnt 0x0
	v_mov_b32_e32 v37, s13
	s_mov_b32 m0, s14
	s_add_nc_u64 s[14:15], s[14:15], 1
	v_movrels_b32_e32 v38, v2
	s_add_co_i32 s13, s13, -4
	ds_load_b32 v37, v37
	s_cmp_eq_u32 s27, s14
	s_wait_loadcnt_dscnt 0x0
	v_fma_f32 v37, -v36, v37, v38
	s_delay_alu instid0(VALU_DEP_1)
	v_movreld_b32_e32 v2, v37
	s_cbranch_scc0 .LBB27_47
; %bb.48:                               ;   in Loop: Header=BB27_46 Depth=3
	s_add_co_i32 s12, s12, -1
	s_addk_co_i32 s16, 0xffa0
	s_cmp_le_i32 s12, s10
	s_cbranch_scc0 .LBB27_46
.LBB27_49:                              ;   in Loop: Header=BB27_43 Depth=2
	s_mov_b64 s[12:13], 0
	s_mov_b32 s45, s43
	s_branch .LBB27_52
.LBB27_50:                              ;   in Loop: Header=BB27_52 Depth=3
	s_mov_b32 s14, s10
	s_mov_b64 s[24:25], 0
	s_mov_b64 s[16:17], s[10:11]
.LBB27_51:                              ;   in Loop: Header=BB27_52 Depth=3
	s_mulk_i32 s14, 0x64
	s_mov_b32 m0, s24
	s_wait_xcnt 0x0
	v_mov_b32_e32 v36, s14
	v_movrels_b32_e32 v37, v2
	s_add_nc_u64 s[12:13], s[12:13], 1
	s_add_co_i32 s45, s45, -4
	s_cmp_eq_u32 s12, s27
	ds_load_b32 v36, v36
	s_wait_dscnt 0x0
	v_mul_f32_e32 v38, v37, v36
	v_lshl_add_u64 v[36:37], s[16:17], 2, v[70:71]
	s_delay_alu instid0(VALU_DEP_2)
	v_movreld_b32_e32 v2, v38
	global_store_b32 v[36:37], v38, off
	s_cbranch_scc1 .LBB27_42
.LBB27_52:                              ;   Parent Loop BB27_5 Depth=1
                                        ;     Parent Loop BB27_43 Depth=2
                                        ; =>    This Loop Header: Depth=3
                                        ;         Child Loop BB27_54 Depth 4
	s_cmp_eq_u32 s12, 0
	s_cbranch_scc1 .LBB27_50
; %bb.53:                               ;   in Loop: Header=BB27_52 Depth=3
	s_mov_b64 s[14:15], 0
	s_mov_b32 s16, s45
.LBB27_54:                              ;   Parent Loop BB27_5 Depth=1
                                        ;     Parent Loop BB27_43 Depth=2
                                        ;       Parent Loop BB27_52 Depth=3
                                        ; =>      This Inner Loop Header: Depth=4
	s_wait_xcnt 0x0
	v_mov_b32_e32 v36, s16
	s_mov_b32 m0, s14
	s_add_nc_u64 s[14:15], s[14:15], 1
	v_movrels_b32_e32 v37, v2
	s_mov_b32 m0, s12
	ds_load_b32 v36, v36
	v_movrels_b32_e32 v38, v2
	s_addk_co_i32 s16, 0xffa0
	s_cmp_eq_u32 s12, s14
	s_wait_dscnt 0x0
	s_delay_alu instid0(VALU_DEP_1) | instskip(NEXT) | instid1(VALU_DEP_1)
	v_fma_f32 v36, -v37, v36, v38
	v_movreld_b32_e32 v2, v36
	s_cbranch_scc0 .LBB27_54
; %bb.55:                               ;   in Loop: Header=BB27_52 Depth=3
	s_sub_co_i32 s14, s10, s12
	s_mov_b64 s[24:25], s[12:13]
	s_ashr_i32 s15, s14, 31
	s_delay_alu instid0(SALU_CYCLE_1)
	s_mov_b64 s[16:17], s[14:15]
	s_branch .LBB27_51
.LBB27_56:                              ;   Parent Loop BB27_5 Depth=1
                                        ; =>  This Inner Loop Header: Depth=2
	s_cmp_gt_i32 s10, -1
	s_cselect_b32 s12, -1, 0
	s_add_co_i32 s11, s3, 1
	s_cmp_lt_u32 s3, 2
	s_cselect_b32 s3, -1, 0
	s_delay_alu instid0(SALU_CYCLE_1) | instskip(NEXT) | instid1(SALU_CYCLE_1)
	s_and_b32 s3, s12, s3
	s_and_not1_b32 vcc_lo, exec_lo, s3
	s_cbranch_vccnz .LBB27_2
; %bb.57:                               ;   in Loop: Header=BB27_56 Depth=2
	s_mov_b32 s3, s11
	s_load_b32 s18, s[22:23], s3 offset:0x0 scale_offset
	s_wait_kmcnt 0x0
	s_add_co_i32 s26, s18, -1
	s_delay_alu instid0(SALU_CYCLE_1)
	s_cmp_lt_i32 s10, s26
	s_cbranch_scc0 .LBB27_41
	s_branch .LBB27_56
.LBB27_58:
	s_sendmsg sendmsg(MSG_DEALLOC_VGPRS)
	s_endpgm
	.section	.rodata,"a",@progbits
	.p2align	6, 0x0
	.amdhsa_kernel _ZL30rocblas_trsm_small_left_deviceILi24ELi24ELb0EffPKfPfEv13rocblas_fill_18rocblas_operation_17rocblas_diagonal_iiT3_T4_lilT5_lili
		.amdhsa_group_segment_fixed_size 2304
		.amdhsa_private_segment_fixed_size 0
		.amdhsa_kernarg_size 352
		.amdhsa_user_sgpr_count 2
		.amdhsa_user_sgpr_dispatch_ptr 0
		.amdhsa_user_sgpr_queue_ptr 0
		.amdhsa_user_sgpr_kernarg_segment_ptr 1
		.amdhsa_user_sgpr_dispatch_id 0
		.amdhsa_user_sgpr_kernarg_preload_length 0
		.amdhsa_user_sgpr_kernarg_preload_offset 0
		.amdhsa_user_sgpr_private_segment_size 0
		.amdhsa_wavefront_size32 1
		.amdhsa_uses_dynamic_stack 0
		.amdhsa_enable_private_segment 0
		.amdhsa_system_sgpr_workgroup_id_x 1
		.amdhsa_system_sgpr_workgroup_id_y 0
		.amdhsa_system_sgpr_workgroup_id_z 1
		.amdhsa_system_sgpr_workgroup_info 0
		.amdhsa_system_vgpr_workitem_id 0
		.amdhsa_next_free_vgpr 79
		.amdhsa_next_free_sgpr 47
		.amdhsa_named_barrier_count 0
		.amdhsa_reserve_vcc 1
		.amdhsa_float_round_mode_32 0
		.amdhsa_float_round_mode_16_64 0
		.amdhsa_float_denorm_mode_32 3
		.amdhsa_float_denorm_mode_16_64 3
		.amdhsa_fp16_overflow 0
		.amdhsa_memory_ordered 1
		.amdhsa_forward_progress 1
		.amdhsa_inst_pref_size 19
		.amdhsa_round_robin_scheduling 0
		.amdhsa_exception_fp_ieee_invalid_op 0
		.amdhsa_exception_fp_denorm_src 0
		.amdhsa_exception_fp_ieee_div_zero 0
		.amdhsa_exception_fp_ieee_overflow 0
		.amdhsa_exception_fp_ieee_underflow 0
		.amdhsa_exception_fp_ieee_inexact 0
		.amdhsa_exception_int_div_zero 0
	.end_amdhsa_kernel
	.section	.text._ZL30rocblas_trsm_small_left_deviceILi24ELi24ELb0EffPKfPfEv13rocblas_fill_18rocblas_operation_17rocblas_diagonal_iiT3_T4_lilT5_lili,"axG",@progbits,_ZL30rocblas_trsm_small_left_deviceILi24ELi24ELb0EffPKfPfEv13rocblas_fill_18rocblas_operation_17rocblas_diagonal_iiT3_T4_lilT5_lili,comdat
.Lfunc_end27:
	.size	_ZL30rocblas_trsm_small_left_deviceILi24ELi24ELb0EffPKfPfEv13rocblas_fill_18rocblas_operation_17rocblas_diagonal_iiT3_T4_lilT5_lili, .Lfunc_end27-_ZL30rocblas_trsm_small_left_deviceILi24ELi24ELb0EffPKfPfEv13rocblas_fill_18rocblas_operation_17rocblas_diagonal_iiT3_T4_lilT5_lili
                                        ; -- End function
	.set _ZL30rocblas_trsm_small_left_deviceILi24ELi24ELb0EffPKfPfEv13rocblas_fill_18rocblas_operation_17rocblas_diagonal_iiT3_T4_lilT5_lili.num_vgpr, 79
	.set _ZL30rocblas_trsm_small_left_deviceILi24ELi24ELb0EffPKfPfEv13rocblas_fill_18rocblas_operation_17rocblas_diagonal_iiT3_T4_lilT5_lili.num_agpr, 0
	.set _ZL30rocblas_trsm_small_left_deviceILi24ELi24ELb0EffPKfPfEv13rocblas_fill_18rocblas_operation_17rocblas_diagonal_iiT3_T4_lilT5_lili.numbered_sgpr, 47
	.set _ZL30rocblas_trsm_small_left_deviceILi24ELi24ELb0EffPKfPfEv13rocblas_fill_18rocblas_operation_17rocblas_diagonal_iiT3_T4_lilT5_lili.num_named_barrier, 0
	.set _ZL30rocblas_trsm_small_left_deviceILi24ELi24ELb0EffPKfPfEv13rocblas_fill_18rocblas_operation_17rocblas_diagonal_iiT3_T4_lilT5_lili.private_seg_size, 0
	.set _ZL30rocblas_trsm_small_left_deviceILi24ELi24ELb0EffPKfPfEv13rocblas_fill_18rocblas_operation_17rocblas_diagonal_iiT3_T4_lilT5_lili.uses_vcc, 1
	.set _ZL30rocblas_trsm_small_left_deviceILi24ELi24ELb0EffPKfPfEv13rocblas_fill_18rocblas_operation_17rocblas_diagonal_iiT3_T4_lilT5_lili.uses_flat_scratch, 0
	.set _ZL30rocblas_trsm_small_left_deviceILi24ELi24ELb0EffPKfPfEv13rocblas_fill_18rocblas_operation_17rocblas_diagonal_iiT3_T4_lilT5_lili.has_dyn_sized_stack, 0
	.set _ZL30rocblas_trsm_small_left_deviceILi24ELi24ELb0EffPKfPfEv13rocblas_fill_18rocblas_operation_17rocblas_diagonal_iiT3_T4_lilT5_lili.has_recursion, 0
	.set _ZL30rocblas_trsm_small_left_deviceILi24ELi24ELb0EffPKfPfEv13rocblas_fill_18rocblas_operation_17rocblas_diagonal_iiT3_T4_lilT5_lili.has_indirect_call, 0
	.section	.AMDGPU.csdata,"",@progbits
; Kernel info:
; codeLenInByte = 2344
; TotalNumSgprs: 49
; NumVgprs: 79
; ScratchSize: 0
; MemoryBound: 0
; FloatMode: 240
; IeeeMode: 1
; LDSByteSize: 2304 bytes/workgroup (compile time only)
; SGPRBlocks: 0
; VGPRBlocks: 4
; NumSGPRsForWavesPerEU: 49
; NumVGPRsForWavesPerEU: 79
; NamedBarCnt: 0
; Occupancy: 12
; WaveLimiterHint : 0
; COMPUTE_PGM_RSRC2:SCRATCH_EN: 0
; COMPUTE_PGM_RSRC2:USER_SGPR: 2
; COMPUTE_PGM_RSRC2:TRAP_HANDLER: 0
; COMPUTE_PGM_RSRC2:TGID_X_EN: 1
; COMPUTE_PGM_RSRC2:TGID_Y_EN: 0
; COMPUTE_PGM_RSRC2:TGID_Z_EN: 1
; COMPUTE_PGM_RSRC2:TIDIG_COMP_CNT: 0
	.section	.text._ZL38rocblas_trsm_small_left_device_sharedBILi24ELi24ELb1EffPKfPfEv13rocblas_fill_18rocblas_operation_17rocblas_diagonal_iiT3_T4_lilT5_lili,"axG",@progbits,_ZL38rocblas_trsm_small_left_device_sharedBILi24ELi24ELb1EffPKfPfEv13rocblas_fill_18rocblas_operation_17rocblas_diagonal_iiT3_T4_lilT5_lili,comdat
	.globl	_ZL38rocblas_trsm_small_left_device_sharedBILi24ELi24ELb1EffPKfPfEv13rocblas_fill_18rocblas_operation_17rocblas_diagonal_iiT3_T4_lilT5_lili ; -- Begin function _ZL38rocblas_trsm_small_left_device_sharedBILi24ELi24ELb1EffPKfPfEv13rocblas_fill_18rocblas_operation_17rocblas_diagonal_iiT3_T4_lilT5_lili
	.p2align	8
	.type	_ZL38rocblas_trsm_small_left_device_sharedBILi24ELi24ELb1EffPKfPfEv13rocblas_fill_18rocblas_operation_17rocblas_diagonal_iiT3_T4_lilT5_lili,@function
_ZL38rocblas_trsm_small_left_device_sharedBILi24ELi24ELb1EffPKfPfEv13rocblas_fill_18rocblas_operation_17rocblas_diagonal_iiT3_T4_lilT5_lili: ; @_ZL38rocblas_trsm_small_left_device_sharedBILi24ELi24ELb1EffPKfPfEv13rocblas_fill_18rocblas_operation_17rocblas_diagonal_iiT3_T4_lilT5_lili
; %bb.0:
	s_load_b32 s19, s[0:1], 0x58
	s_bfe_u32 s2, ttmp6, 0x40014
	s_lshr_b32 s3, ttmp7, 16
	s_add_co_i32 s2, s2, 1
	s_bfe_u32 s4, ttmp6, 0x40008
	s_mul_i32 s2, s3, s2
	s_getreg_b32 s21, hwreg(HW_REG_IB_STS2, 6, 4)
	s_add_co_i32 s4, s4, s2
	s_cmp_eq_u32 s21, 0
	s_cselect_b32 s2, s3, s4
	s_mov_b32 s3, 0
	s_wait_kmcnt 0x0
	s_cmp_ge_u32 s2, s19
	s_cbranch_scc1 .LBB28_71
; %bb.1:
	s_clause 0x6
	s_load_b32 s22, s[0:1], 0x28
	s_load_b96 s[16:18], s[0:1], 0x40
	s_load_b128 s[12:15], s[0:1], 0x4
	s_load_b32 s24, s[0:1], 0x60
	s_load_b128 s[4:7], s[0:1], 0x18
	s_load_b128 s[8:11], s[0:1], 0x30
	s_load_b32 s20, s[0:1], 0x14
	v_dual_mov_b32 v67, 0 :: v_dual_lshlrev_b32 v66, 2, v0
	v_mul_u32_u24_e32 v26, 0x60, v0
	s_delay_alu instid0(VALU_DEP_2) | instskip(NEXT) | instid1(VALU_DEP_3)
	v_or_b32_e32 v72, 0x900, v66
	v_dual_mov_b32 v2, v67 :: v_dual_mov_b32 v3, v67
	v_dual_mov_b32 v4, v67 :: v_dual_mov_b32 v5, v67
	;; [unrolled: 1-line block ×4, first 2 shown]
	s_wait_kmcnt 0x0
	s_ashr_i32 s23, s22, 31
	v_dual_mov_b32 v10, v67 :: v_dual_mov_b32 v11, v67
	s_cmp_eq_u64 s[22:23], 1
	v_dual_mov_b32 v12, v67 :: v_dual_mov_b32 v13, v67
	s_cselect_b32 s31, -1, 0
	s_bfe_u32 s25, ttmp6, 0x4000c
	s_min_i32 s26, s14, 24
	s_add_co_i32 s25, s25, 1
	s_add_co_i32 s28, s24, -1
	s_and_b32 s24, ttmp6, 15
	s_mul_i32 s25, ttmp9, s25
	s_ashr_i32 s38, s18, 31
	s_add_co_i32 s27, s26, -1
	s_add_co_i32 s29, s24, s25
	s_cmp_eq_u32 s21, 0
	s_load_b64 s[24:25], s[0:1], 0x50
	s_wait_xcnt 0x0
	s_cselect_b32 s0, ttmp9, s29
	v_dual_mov_b32 v14, v67 :: v_dual_mov_b32 v15, v67
	s_mul_i32 s1, s0, 0xffffffe8
	s_mul_i32 s36, s0, 24
	s_add_co_i32 s1, s15, s1
	s_cmp_ge_u32 s0, s28
	v_dual_mov_b32 v16, v67 :: v_dual_mov_b32 v17, v67
	s_cselect_b32 s0, s1, 24
	s_ashr_i32 s37, s36, 31
	s_cmp_lg_u32 s13, 0x84
	v_cmp_gt_i32_e32 vcc_lo, s0, v0
	s_cselect_b32 s1, -1, 0
	s_cmp_gt_i32 s14, 0
	v_lshl_add_u64 v[22:23], s[36:37], 2, v[66:67]
	s_cselect_b32 s0, -1, 0
	s_cmp_lg_u32 s12, 0x6f
	v_dual_mov_b32 v18, v67 :: v_dual_mov_b32 v19, v67
	s_cselect_b32 s28, -1, 0
	s_and_b32 s29, vcc_lo, s0
	s_cmp_gt_u32 s26, 1
	v_mov_b32_e32 v20, v67
	s_cselect_b32 s0, -1, 0
	s_and_b32 s30, s26, -2
	s_and_b32 s31, s0, s31
	s_cmp_lg_u32 s26, s30
	v_cmp_gt_i32_e64 s0, s26, v0
	s_cselect_b32 s33, -1, 0
	s_cmp_gt_i32 s14, 1
	v_dual_mov_b32 v24, v67 :: v_dual_mov_b32 v25, v67
	s_cselect_b32 s34, -1, 0
	s_and_b32 s35, s26, 30
	s_mov_b32 s21, s20
	s_cmp_lg_u32 s26, s35
	s_cselect_b32 s36, -1, 0
	s_lshl_b64 s[12:13], s[16:17], 2
	s_delay_alu instid0(SALU_CYCLE_1) | instskip(NEXT) | instid1(SALU_CYCLE_1)
	s_add_nc_u64 s[10:11], s[10:11], s[12:13]
	v_mad_nc_u64_u32 v[68:69], v22, s18, s[10:11]
	s_lshl_b64 s[10:11], s[6:7], 2
	s_lshl_b64 s[6:7], s[8:9], 2
	s_add_nc_u64 s[8:9], s[4:5], s[10:11]
	s_lshl_b64 s[4:5], s[22:23], 2
	v_add_nc_u64_e32 v[0:1], s[8:9], v[66:67]
	s_wait_kmcnt 0x0
	s_lshl_b64 s[10:11], s[24:25], 2
	s_get_pc_i64 s[8:9]
	s_add_nc_u64 s[8:9], s[8:9], __const._ZL38rocblas_trsm_small_left_device_sharedBILi24ELi24ELb1EffPKfPfEv13rocblas_fill_18rocblas_operation_17rocblas_diagonal_iiT3_T4_lilT5_lili.step_sizes@rel64+4
	s_delay_alu instid0(VALU_DEP_2) | instskip(SKIP_2) | instid1(SALU_CYCLE_1)
	v_mad_u32 v21, v23, s18, v69
	v_mov_b32_e32 v23, v67
	s_lshl_b32 s18, s26, 2
	s_add_co_i32 s18, s18, -4
	s_delay_alu instid0(VALU_DEP_2)
	v_mad_u32 v69, v22, s38, v21
	v_dual_mov_b32 v21, v67 :: v_dual_mov_b32 v22, v67
	v_add_nc_u32_e32 v67, v66, v26
	s_branch .LBB28_3
.LBB28_2:                               ;   in Loop: Header=BB28_3 Depth=1
	s_or_b32 exec_lo, exec_lo, s14
	s_add_co_i32 s2, s2, 0x10000
	s_delay_alu instid0(SALU_CYCLE_1)
	s_cmp_lt_u32 s2, s19
	s_cbranch_scc0 .LBB28_71
.LBB28_3:                               ; =>This Loop Header: Depth=1
                                        ;     Child Loop BB28_6 Depth 2
                                        ;     Child Loop BB28_10 Depth 2
	;; [unrolled: 1-line block ×5, first 2 shown]
                                        ;       Child Loop BB28_27 Depth 3
                                        ;       Child Loop BB28_29 Depth 3
                                        ;         Child Loop BB28_30 Depth 4
                                        ;       Child Loop BB28_35 Depth 3
                                        ;         Child Loop BB28_37 Depth 4
                                        ;     Child Loop BB28_39 Depth 2
                                        ;     Child Loop BB28_44 Depth 2
                                        ;       Child Loop BB28_47 Depth 3
                                        ;         Child Loop BB28_48 Depth 4
                                        ;         Child Loop BB28_51 Depth 4
                                        ;           Child Loop BB28_52 Depth 5
                                        ;         Child Loop BB28_57 Depth 4
                                        ;           Child Loop BB28_59 Depth 5
                                        ;     Child Loop BB28_66 Depth 2
                                        ;     Child Loop BB28_70 Depth 2
	s_and_saveexec_b32 s16, s0
	s_cbranch_execz .LBB28_14
; %bb.4:                                ;   in Loop: Header=BB28_3 Depth=1
	s_and_not1_b32 vcc_lo, exec_lo, s31
	s_mul_u64 s[12:13], s[6:7], s[2:3]
	s_cbranch_vccnz .LBB28_8
; %bb.5:                                ;   in Loop: Header=BB28_3 Depth=1
	v_add_nc_u64_e32 v[34:35], s[12:13], v[0:1]
	s_mov_b32 s15, 1
	s_mov_b32 s17, 0
	;; [unrolled: 1-line block ×3, first 2 shown]
.LBB28_6:                               ;   Parent Loop BB28_3 Depth=1
                                        ; =>  This Inner Loop Header: Depth=2
	global_load_b64 v[36:37], v[34:35], off
	v_mad_u32 v38, 0x60, s17, v66
	v_mad_u32 v39, 0x60, s15, v66
	s_wait_xcnt 0x0
	v_add_nc_u64_e32 v[34:35], 8, v[34:35]
	s_add_co_i32 s22, s22, -2
	s_add_co_i32 s17, s17, 2
	s_add_co_i32 s15, s15, 2
	s_mov_b32 s14, s30
	s_mov_b32 s23, s33
	s_cmp_lg_u32 s22, 0
	s_wait_loadcnt 0x0
	ds_store_b32 v38, v36
	ds_store_b32 v39, v37
	s_cbranch_scc1 .LBB28_6
; %bb.7:                                ;   in Loop: Header=BB28_3 Depth=1
	s_and_b32 vcc_lo, exec_lo, s23
	s_cbranch_vccnz .LBB28_9
	s_branch .LBB28_11
.LBB28_8:                               ;   in Loop: Header=BB28_3 Depth=1
	s_wait_xcnt 0x0
	s_mov_b32 s14, 0
	s_cbranch_execz .LBB28_11
.LBB28_9:                               ;   in Loop: Header=BB28_3 Depth=1
	s_mov_b32 s15, s3
	v_mad_u32 v36, 0x60, s14, v66
	s_mul_u64 s[22:23], s[4:5], s[14:15]
	s_delay_alu instid0(SALU_CYCLE_1) | instskip(NEXT) | instid1(SALU_CYCLE_1)
	s_add_nc_u64 s[12:13], s[22:23], s[12:13]
	v_add_nc_u64_e32 v[34:35], s[12:13], v[0:1]
	s_sub_co_i32 s12, s26, s14
.LBB28_10:                              ;   Parent Loop BB28_3 Depth=1
                                        ; =>  This Inner Loop Header: Depth=2
	global_load_b32 v37, v[34:35], off
	s_wait_xcnt 0x0
	v_add_nc_u64_e32 v[34:35], s[4:5], v[34:35]
	s_add_co_i32 s12, s12, -1
	s_delay_alu instid0(SALU_CYCLE_1)
	s_cmp_eq_u32 s12, 0
	s_wait_loadcnt 0x0
	ds_store_b32 v36, v37
	v_add_nc_u32_e32 v36, 0x60, v36
	s_cbranch_scc0 .LBB28_10
.LBB28_11:                              ;   in Loop: Header=BB28_3 Depth=1
	v_mov_b32_e32 v34, 1.0
	s_and_b32 vcc_lo, exec_lo, s1
	s_cbranch_vccz .LBB28_13
; %bb.12:                               ;   in Loop: Header=BB28_3 Depth=1
	ds_load_b32 v34, v67
	s_wait_dscnt 0x0
	v_div_scale_f32 v35, null, v34, v34, 1.0
	s_delay_alu instid0(VALU_DEP_1) | instskip(SKIP_1) | instid1(TRANS32_DEP_1)
	v_rcp_f32_e32 v36, v35
	v_nop
	v_fma_f32 v37, -v35, v36, 1.0
	s_delay_alu instid0(VALU_DEP_1) | instskip(SKIP_1) | instid1(VALU_DEP_1)
	v_fmac_f32_e32 v36, v37, v36
	v_div_scale_f32 v37, vcc_lo, 1.0, v34, 1.0
	v_mul_f32_e32 v38, v37, v36
	s_delay_alu instid0(VALU_DEP_1) | instskip(NEXT) | instid1(VALU_DEP_1)
	v_fma_f32 v39, -v35, v38, v37
	v_fmac_f32_e32 v38, v39, v36
	s_delay_alu instid0(VALU_DEP_1) | instskip(NEXT) | instid1(VALU_DEP_1)
	v_fma_f32 v35, -v35, v38, v37
	v_div_fmas_f32 v35, v35, v36, v38
	s_delay_alu instid0(VALU_DEP_1)
	v_div_fixup_f32 v34, v35, v34, 1.0
.LBB28_13:                              ;   in Loop: Header=BB28_3 Depth=1
	ds_store_b32 v67, v34
.LBB28_14:                              ;   in Loop: Header=BB28_3 Depth=1
	s_or_b32 exec_lo, exec_lo, s16
	s_mul_u64 s[12:13], s[10:11], s[2:3]
	s_delay_alu instid0(VALU_DEP_3) | instid1(SALU_CYCLE_1)
	v_add_nc_u64_e32 v[70:71], s[12:13], v[68:69]
	s_and_saveexec_b32 s14, s29
	s_cbranch_execz .LBB28_22
; %bb.15:                               ;   in Loop: Header=BB28_3 Depth=1
	s_and_not1_b32 vcc_lo, exec_lo, s34
	s_cbranch_vccnz .LBB28_19
; %bb.16:                               ;   in Loop: Header=BB28_3 Depth=1
	s_delay_alu instid0(VALU_DEP_1)
	v_mov_b64_e32 v[34:35], v[70:71]
	s_mov_b32 s15, 1
	s_mov_b32 s16, 0
	;; [unrolled: 1-line block ×3, first 2 shown]
.LBB28_17:                              ;   Parent Loop BB28_3 Depth=1
                                        ; =>  This Inner Loop Header: Depth=2
	global_load_b64 v[36:37], v[34:35], off
	v_mov_b64_e32 v[38:39], s[20:21]
	v_mad_u32 v40, 0x60, s16, v72
	v_mad_u32 v41, 0x60, s15, v72
	s_wait_xcnt 0x0
	v_add_nc_u64_e32 v[34:35], 8, v[34:35]
	s_add_co_i32 s17, s17, -2
	s_add_co_i32 s16, s16, 2
	s_add_co_i32 s15, s15, 2
	s_mov_b32 s22, s35
	s_mov_b32 s23, s36
	s_cmp_lg_u32 s17, 0
	s_wait_loadcnt 0x0
	v_pk_mul_f32 v[36:37], v[38:39], v[36:37]
	ds_store_b32 v40, v36
	ds_store_b32 v41, v37
	s_cbranch_scc1 .LBB28_17
; %bb.18:                               ;   in Loop: Header=BB28_3 Depth=1
	s_and_b32 vcc_lo, exec_lo, s23
	s_cbranch_vccnz .LBB28_20
	s_branch .LBB28_22
.LBB28_19:                              ;   in Loop: Header=BB28_3 Depth=1
	s_wait_xcnt 0x0
	s_mov_b32 s22, 0
	s_cbranch_execz .LBB28_22
.LBB28_20:                              ;   in Loop: Header=BB28_3 Depth=1
	s_lshl_b32 s16, s22, 2
	s_mov_b32 s17, s3
	v_mad_u32 v36, 0x60, s22, v72
	s_add_nc_u64 s[16:17], s[12:13], s[16:17]
	s_sub_co_i32 s15, s26, s22
	v_add_nc_u64_e32 v[34:35], s[16:17], v[68:69]
.LBB28_21:                              ;   Parent Loop BB28_3 Depth=1
                                        ; =>  This Inner Loop Header: Depth=2
	global_load_b32 v37, v[34:35], off
	s_wait_xcnt 0x0
	v_add_nc_u64_e32 v[34:35], 4, v[34:35]
	s_add_co_i32 s15, s15, -1
	s_delay_alu instid0(SALU_CYCLE_1)
	s_cmp_lg_u32 s15, 0
	s_wait_loadcnt 0x0
	v_mul_f32_e32 v37, s20, v37
	ds_store_b32 v36, v37
	v_add_nc_u32_e32 v36, 0x60, v36
	s_cbranch_scc1 .LBB28_21
.LBB28_22:                              ;   in Loop: Header=BB28_3 Depth=1
	s_or_b32 exec_lo, exec_lo, s14
	s_delay_alu instid0(SALU_CYCLE_1)
	s_and_not1_b32 vcc_lo, exec_lo, s28
	s_mov_b32 s14, -1
	s_wait_dscnt 0x0
	; wave barrier
                                        ; implicit-def: $vgpr34_vgpr35_vgpr36_vgpr37_vgpr38_vgpr39_vgpr40_vgpr41_vgpr42_vgpr43_vgpr44_vgpr45_vgpr46_vgpr47_vgpr48_vgpr49_vgpr50_vgpr51_vgpr52_vgpr53_vgpr54_vgpr55_vgpr56_vgpr57_vgpr58_vgpr59_vgpr60_vgpr61_vgpr62_vgpr63_vgpr64_vgpr65
	s_cbranch_vccnz .LBB28_42
; %bb.23:                               ;   in Loop: Header=BB28_3 Depth=1
	v_mov_b64_e32 v[64:65], v[32:33]
	v_mov_b64_e32 v[62:63], v[30:31]
	;; [unrolled: 1-line block ×16, first 2 shown]
	s_wait_xcnt 0x0
	s_mov_b32 s23, 0
	s_mov_b32 s22, s27
	s_load_b32 s24, s[8:9], s23 offset:0x0 scale_offset
	s_wait_kmcnt 0x0
	s_add_co_i32 s25, s24, -1
	s_delay_alu instid0(SALU_CYCLE_1)
	s_cmp_lt_i32 s22, s25
	s_cbranch_scc1 .LBB28_39
.LBB28_24:                              ;   in Loop: Header=BB28_3 Depth=1
	s_mul_i32 s14, s22, 0x60
	s_max_i32 s37, s24, 1
	v_add_nc_u32_e32 v73, s14, v72
	s_mul_i32 s38, s24, 0xffffffa0
	s_add_co_i32 s39, s18, s14
	s_mul_i32 s40, s22, 0x64
	s_mul_i32 s41, s24, 0xffffff9c
	s_branch .LBB28_26
.LBB28_25:                              ;   in Loop: Header=BB28_26 Depth=2
	v_add_nc_u32_e32 v73, s38, v73
	s_sub_co_i32 s22, s22, s24
	s_add_co_i32 s39, s39, s38
	s_add_co_i32 s40, s40, s41
	s_cmp_lt_i32 s22, s25
	s_cbranch_scc1 .LBB28_39
.LBB28_26:                              ;   Parent Loop BB28_3 Depth=1
                                        ; =>  This Loop Header: Depth=2
                                        ;       Child Loop BB28_27 Depth 3
                                        ;       Child Loop BB28_29 Depth 3
                                        ;         Child Loop BB28_30 Depth 4
                                        ;       Child Loop BB28_35 Depth 3
                                        ;         Child Loop BB28_37 Depth 4
	v_mov_b32_e32 v74, v73
	s_mov_b64 s[14:15], 0
.LBB28_27:                              ;   Parent Loop BB28_3 Depth=1
                                        ;     Parent Loop BB28_26 Depth=2
                                        ; =>    This Inner Loop Header: Depth=3
	ds_load_b32 v75, v74
	v_add_nc_u32_e32 v74, 0xffffffa0, v74
	s_mov_b32 m0, s14
	s_add_nc_u64 s[14:15], s[14:15], 1
	s_delay_alu instid0(SALU_CYCLE_1)
	s_cmp_eq_u32 s37, s14
	s_wait_dscnt 0x0
	v_movreld_b32_e32 v34, v75
	s_cbranch_scc0 .LBB28_27
; %bb.28:                               ;   in Loop: Header=BB28_26 Depth=2
	s_cmp_le_i32 s27, s22
	s_mov_b32 s16, s39
	s_mov_b32 s17, s27
	s_cbranch_scc1 .LBB28_32
.LBB28_29:                              ;   Parent Loop BB28_3 Depth=1
                                        ;     Parent Loop BB28_26 Depth=2
                                        ; =>    This Loop Header: Depth=3
                                        ;         Child Loop BB28_30 Depth 4
	v_mad_u32 v74, 0x60, s17, v72
	s_mov_b64 s[14:15], 0
	s_mov_b32 s42, s16
	ds_load_b32 v74, v74
.LBB28_30:                              ;   Parent Loop BB28_3 Depth=1
                                        ;     Parent Loop BB28_26 Depth=2
                                        ;       Parent Loop BB28_29 Depth=3
                                        ; =>      This Inner Loop Header: Depth=4
	v_mov_b32_e32 v75, s42
	s_mov_b32 m0, s14
	s_add_nc_u64 s[14:15], s[14:15], 1
	v_movrels_b32_e32 v76, v34
	s_addk_co_i32 s42, 0xffa0
	ds_load_b32 v75, v75
	s_cmp_eq_u32 s37, s14
	s_wait_dscnt 0x0
	v_fma_f32 v75, -v74, v75, v76
	s_delay_alu instid0(VALU_DEP_1)
	v_movreld_b32_e32 v34, v75
	s_cbranch_scc0 .LBB28_30
; %bb.31:                               ;   in Loop: Header=BB28_29 Depth=3
	s_add_co_i32 s17, s17, -1
	s_add_co_i32 s16, s16, -4
	s_cmp_le_i32 s17, s22
	s_cbranch_scc0 .LBB28_29
.LBB28_32:                              ;   in Loop: Header=BB28_26 Depth=2
	s_mul_i32 s42, s22, 0x60
	s_mov_b64 s[14:15], 0
	s_mov_b32 s43, s40
	s_branch .LBB28_35
.LBB28_33:                              ;   in Loop: Header=BB28_35 Depth=3
	s_mov_b32 s45, s22
	s_mov_b64 s[16:17], 0
	s_mov_b32 s44, s42
.LBB28_34:                              ;   in Loop: Header=BB28_35 Depth=3
	s_mov_b32 m0, s16
	s_mul_i32 s16, s45, 0x64
	v_movrels_b32_e32 v75, v34
	v_mov_b32_e32 v74, s16
	s_add_nc_u64 s[14:15], s[14:15], 1
	s_addk_co_i32 s43, 0xffa0
	s_cmp_eq_u32 s14, s37
	ds_load_b32 v74, v74
	s_wait_dscnt 0x0
	v_dual_mul_f32 v74, v75, v74 :: v_dual_add_nc_u32 v75, s44, v72
	s_delay_alu instid0(VALU_DEP_1)
	v_movreld_b32_e32 v34, v74
	ds_store_b32 v75, v74
	s_cbranch_scc1 .LBB28_25
.LBB28_35:                              ;   Parent Loop BB28_3 Depth=1
                                        ;     Parent Loop BB28_26 Depth=2
                                        ; =>    This Loop Header: Depth=3
                                        ;         Child Loop BB28_37 Depth 4
	s_cmp_eq_u32 s14, 0
	s_cbranch_scc1 .LBB28_33
; %bb.36:                               ;   in Loop: Header=BB28_35 Depth=3
	s_sub_co_i32 s45, s22, s14
	s_mov_b64 s[16:17], 0
	s_mul_i32 s44, s45, 0x60
	s_mov_b32 s46, s43
.LBB28_37:                              ;   Parent Loop BB28_3 Depth=1
                                        ;     Parent Loop BB28_26 Depth=2
                                        ;       Parent Loop BB28_35 Depth=3
                                        ; =>      This Inner Loop Header: Depth=4
	s_delay_alu instid0(SALU_CYCLE_1)
	v_mov_b32_e32 v74, s46
	s_mov_b32 m0, s16
	s_add_nc_u64 s[16:17], s[16:17], 1
	v_movrels_b32_e32 v75, v34
	s_mov_b32 m0, s14
	ds_load_b32 v74, v74
	v_movrels_b32_e32 v76, v34
	s_add_co_i32 s46, s46, -4
	s_cmp_eq_u32 s14, s16
	s_wait_dscnt 0x0
	s_delay_alu instid0(VALU_DEP_1) | instskip(NEXT) | instid1(VALU_DEP_1)
	v_fma_f32 v74, -v75, v74, v76
	v_movreld_b32_e32 v34, v74
	s_cbranch_scc0 .LBB28_37
; %bb.38:                               ;   in Loop: Header=BB28_35 Depth=3
	s_mov_b64 s[16:17], s[14:15]
	s_branch .LBB28_34
.LBB28_39:                              ;   Parent Loop BB28_3 Depth=1
                                        ; =>  This Inner Loop Header: Depth=2
	s_cmp_gt_i32 s22, -1
	s_cselect_b32 s15, -1, 0
	s_add_co_i32 s14, s23, 1
	s_cmp_lt_u32 s23, 2
	s_cselect_b32 s16, -1, 0
	s_delay_alu instid0(SALU_CYCLE_1) | instskip(NEXT) | instid1(SALU_CYCLE_1)
	s_and_b32 s15, s15, s16
	s_and_b32 vcc_lo, exec_lo, s15
	s_cbranch_vccz .LBB28_41
; %bb.40:                               ;   in Loop: Header=BB28_39 Depth=2
	s_wait_xcnt 0x0
	s_mov_b32 s23, s14
	s_load_b32 s24, s[8:9], s23 offset:0x0 scale_offset
	s_wait_kmcnt 0x0
	s_add_co_i32 s25, s24, -1
	s_delay_alu instid0(SALU_CYCLE_1)
	s_cmp_lt_i32 s22, s25
	s_cbranch_scc0 .LBB28_24
	s_branch .LBB28_39
.LBB28_41:                              ;   in Loop: Header=BB28_3 Depth=1
	s_mov_b32 s14, 0
.LBB28_42:                              ;   in Loop: Header=BB28_3 Depth=1
	s_delay_alu instid0(SALU_CYCLE_1)
	s_and_b32 vcc_lo, exec_lo, s14
	s_cbranch_vccz .LBB28_63
; %bb.43:                               ;   in Loop: Header=BB28_3 Depth=1
	s_mov_b32 s22, 0
	s_wait_xcnt 0x0
	s_mov_b32 s23, 0
.LBB28_44:                              ;   Parent Loop BB28_3 Depth=1
                                        ; =>  This Loop Header: Depth=2
                                        ;       Child Loop BB28_47 Depth 3
                                        ;         Child Loop BB28_48 Depth 4
                                        ;         Child Loop BB28_51 Depth 4
                                        ;           Child Loop BB28_52 Depth 5
                                        ;         Child Loop BB28_57 Depth 4
                                        ;           Child Loop BB28_59 Depth 5
	s_load_b32 s24, s[8:9], s23 offset:0x0 scale_offset
	s_wait_kmcnt 0x0
	s_add_co_i32 s25, s24, -1
	s_delay_alu instid0(SALU_CYCLE_1) | instskip(NEXT) | instid1(SALU_CYCLE_1)
	s_add_co_i32 s14, s25, s22
	s_cmp_ge_i32 s14, s26
	s_cbranch_scc1 .LBB28_60
; %bb.45:                               ;   in Loop: Header=BB28_44 Depth=2
	v_mad_u32 v34, 0x60, s22, v72
	s_max_i32 s37, s24, 1
	s_mul_i32 s38, s24, 0x60
	s_lshl_b32 s39, s22, 2
	s_lshl_b32 s40, s24, 2
	s_mul_i32 s41, s22, 0x64
	s_mul_i32 s42, s24, 0x64
	s_branch .LBB28_47
.LBB28_46:                              ;   in Loop: Header=BB28_47 Depth=3
	s_add_co_i32 s22, s22, s24
	v_add_nc_u32_e32 v34, s38, v34
	s_add_co_i32 s14, s25, s22
	s_add_co_i32 s39, s39, s40
	;; [unrolled: 1-line block ×3, first 2 shown]
	s_cmp_ge_i32 s14, s26
	s_cbranch_scc1 .LBB28_60
.LBB28_47:                              ;   Parent Loop BB28_3 Depth=1
                                        ;     Parent Loop BB28_44 Depth=2
                                        ; =>    This Loop Header: Depth=3
                                        ;         Child Loop BB28_48 Depth 4
                                        ;         Child Loop BB28_51 Depth 4
                                        ;           Child Loop BB28_52 Depth 5
                                        ;         Child Loop BB28_57 Depth 4
                                        ;           Child Loop BB28_59 Depth 5
	s_delay_alu instid0(VALU_DEP_1)
	v_mov_b32_e32 v35, v34
	s_mov_b64 s[14:15], 0
.LBB28_48:                              ;   Parent Loop BB28_3 Depth=1
                                        ;     Parent Loop BB28_44 Depth=2
                                        ;       Parent Loop BB28_47 Depth=3
                                        ; =>      This Inner Loop Header: Depth=4
	ds_load_b32 v36, v35
	v_add_nc_u32_e32 v35, 0x60, v35
	s_mov_b32 m0, s14
	s_add_nc_u64 s[14:15], s[14:15], 1
	s_delay_alu instid0(SALU_CYCLE_1)
	s_cmp_eq_u32 s37, s14
	s_wait_dscnt 0x0
	v_movreld_b32_e32 v2, v36
	s_cbranch_scc0 .LBB28_48
; %bb.49:                               ;   in Loop: Header=BB28_47 Depth=3
	s_cmp_lt_i32 s22, 1
	s_cbranch_scc1 .LBB28_54
; %bb.50:                               ;   in Loop: Header=BB28_47 Depth=3
	s_mov_b32 s16, 0
	s_mov_b32 s17, s39
.LBB28_51:                              ;   Parent Loop BB28_3 Depth=1
                                        ;     Parent Loop BB28_44 Depth=2
                                        ;       Parent Loop BB28_47 Depth=3
                                        ; =>      This Loop Header: Depth=4
                                        ;           Child Loop BB28_52 Depth 5
	v_mad_u32 v35, 0x60, s16, v72
	s_mov_b64 s[14:15], 0
	s_mov_b32 s43, s17
	ds_load_b32 v35, v35
.LBB28_52:                              ;   Parent Loop BB28_3 Depth=1
                                        ;     Parent Loop BB28_44 Depth=2
                                        ;       Parent Loop BB28_47 Depth=3
                                        ;         Parent Loop BB28_51 Depth=4
                                        ; =>        This Inner Loop Header: Depth=5
	v_mov_b32_e32 v36, s43
	s_mov_b32 m0, s14
	s_add_nc_u64 s[14:15], s[14:15], 1
	v_movrels_b32_e32 v37, v2
	s_add_co_i32 s43, s43, 4
	ds_load_b32 v36, v36
	s_cmp_eq_u32 s37, s14
	s_wait_dscnt 0x0
	v_fma_f32 v36, -v35, v36, v37
	s_delay_alu instid0(VALU_DEP_1)
	v_movreld_b32_e32 v2, v36
	s_cbranch_scc0 .LBB28_52
; %bb.53:                               ;   in Loop: Header=BB28_51 Depth=4
	s_add_co_i32 s16, s16, 1
	s_addk_co_i32 s17, 0x60
	s_cmp_eq_u32 s16, s22
	s_cbranch_scc0 .LBB28_51
.LBB28_54:                              ;   in Loop: Header=BB28_47 Depth=3
	s_mov_b64 s[14:15], 0
	s_mov_b32 s43, s41
	s_branch .LBB28_57
.LBB28_55:                              ;   in Loop: Header=BB28_57 Depth=4
	s_mov_b64 s[16:17], s[14:15]
.LBB28_56:                              ;   in Loop: Header=BB28_57 Depth=4
	s_delay_alu instid0(SALU_CYCLE_1)
	s_mov_b32 m0, s16
	s_add_co_i32 s16, s14, s22
	v_movrels_b32_e32 v36, v2
	s_mul_i32 s17, s16, 0x64
	v_mad_u32 v37, 0x60, s16, v72
	v_mov_b32_e32 v35, s17
	s_add_nc_u64 s[14:15], s[14:15], 1
	s_add_co_i32 s43, s43, 4
	s_cmp_eq_u32 s14, s37
	ds_load_b32 v35, v35
	s_wait_dscnt 0x0
	v_mul_f32_e32 v35, v36, v35
	s_delay_alu instid0(VALU_DEP_1)
	v_movreld_b32_e32 v2, v35
	ds_store_b32 v37, v35
	s_cbranch_scc1 .LBB28_46
.LBB28_57:                              ;   Parent Loop BB28_3 Depth=1
                                        ;     Parent Loop BB28_44 Depth=2
                                        ;       Parent Loop BB28_47 Depth=3
                                        ; =>      This Loop Header: Depth=4
                                        ;           Child Loop BB28_59 Depth 5
	s_mov_b64 s[16:17], 0
	s_cmp_eq_u32 s14, 0
	s_cbranch_scc1 .LBB28_56
; %bb.58:                               ;   in Loop: Header=BB28_57 Depth=4
	s_mov_b32 s44, s43
.LBB28_59:                              ;   Parent Loop BB28_3 Depth=1
                                        ;     Parent Loop BB28_44 Depth=2
                                        ;       Parent Loop BB28_47 Depth=3
                                        ;         Parent Loop BB28_57 Depth=4
                                        ; =>        This Inner Loop Header: Depth=5
	s_delay_alu instid0(SALU_CYCLE_1)
	v_mov_b32_e32 v35, s44
	s_mov_b32 m0, s16
	s_add_nc_u64 s[16:17], s[16:17], 1
	v_movrels_b32_e32 v36, v2
	s_mov_b32 m0, s14
	ds_load_b32 v35, v35
	v_movrels_b32_e32 v37, v2
	s_addk_co_i32 s44, 0x60
	s_cmp_eq_u32 s14, s16
	s_wait_dscnt 0x0
	s_delay_alu instid0(VALU_DEP_1) | instskip(NEXT) | instid1(VALU_DEP_1)
	v_fma_f32 v35, -v36, v35, v37
	v_movreld_b32_e32 v2, v35
	s_cbranch_scc0 .LBB28_59
	s_branch .LBB28_55
.LBB28_60:                              ;   in Loop: Header=BB28_44 Depth=2
	s_cmp_lt_i32 s22, s26
	s_cselect_b32 s15, -1, 0
	s_add_co_i32 s14, s23, 1
	s_cmp_lt_u32 s23, 2
	s_cselect_b32 s16, -1, 0
	s_delay_alu instid0(SALU_CYCLE_1) | instskip(NEXT) | instid1(SALU_CYCLE_1)
	s_and_b32 s15, s15, s16
	s_and_not1_b32 vcc_lo, exec_lo, s15
	s_cbranch_vccnz .LBB28_62
; %bb.61:                               ;   in Loop: Header=BB28_44 Depth=2
	s_wait_xcnt 0x0
	s_mov_b32 s23, s14
	s_branch .LBB28_44
.LBB28_62:                              ;   in Loop: Header=BB28_3 Depth=1
	v_mov_b64_e32 v[64:65], v[32:33]
	v_mov_b64_e32 v[62:63], v[30:31]
	v_mov_b64_e32 v[60:61], v[28:29]
	v_mov_b64_e32 v[58:59], v[26:27]
	v_mov_b64_e32 v[56:57], v[24:25]
	v_mov_b64_e32 v[54:55], v[22:23]
	v_mov_b64_e32 v[52:53], v[20:21]
	v_mov_b64_e32 v[50:51], v[18:19]
	v_mov_b64_e32 v[48:49], v[16:17]
	v_mov_b64_e32 v[46:47], v[14:15]
	v_mov_b64_e32 v[44:45], v[12:13]
	v_mov_b64_e32 v[42:43], v[10:11]
	v_mov_b64_e32 v[40:41], v[8:9]
	v_mov_b64_e32 v[38:39], v[6:7]
	v_mov_b64_e32 v[36:37], v[4:5]
	v_mov_b64_e32 v[34:35], v[2:3]
.LBB28_63:                              ;   in Loop: Header=BB28_3 Depth=1
	s_delay_alu instid0(VALU_DEP_1) | instskip(NEXT) | instid1(VALU_DEP_3)
	v_mov_b64_e32 v[2:3], v[34:35]
	v_mov_b64_e32 v[4:5], v[36:37]
	;; [unrolled: 1-line block ×16, first 2 shown]
	s_wait_dscnt 0x0
	; wave barrier
	s_and_saveexec_b32 s14, s29
	s_cbranch_execz .LBB28_2
; %bb.64:                               ;   in Loop: Header=BB28_3 Depth=1
	s_and_not1_b32 vcc_lo, exec_lo, s34
	s_cbranch_vccnz .LBB28_68
; %bb.65:                               ;   in Loop: Header=BB28_3 Depth=1
	s_mov_b32 s15, 1
	s_mov_b32 s16, 0
	;; [unrolled: 1-line block ×3, first 2 shown]
.LBB28_66:                              ;   Parent Loop BB28_3 Depth=1
                                        ; =>  This Inner Loop Header: Depth=2
	v_mad_u32 v34, 0x60, s16, v72
	v_mad_u32 v35, 0x60, s15, v72
	s_add_co_i32 s17, s17, -2
	s_add_co_i32 s16, s16, 2
	s_add_co_i32 s15, s15, 2
	s_mov_b32 s22, s35
	s_cmp_lg_u32 s17, 0
	s_wait_xcnt 0x0
	s_mov_b32 s23, s36
	ds_load_b32 v34, v34
	ds_load_b32 v35, v35
	s_wait_dscnt 0x0
	global_store_b64 v[70:71], v[34:35], off
	s_wait_xcnt 0x0
	v_add_nc_u64_e32 v[70:71], 8, v[70:71]
	s_cbranch_scc1 .LBB28_66
; %bb.67:                               ;   in Loop: Header=BB28_3 Depth=1
	s_and_b32 vcc_lo, exec_lo, s23
	s_cbranch_vccz .LBB28_2
	s_branch .LBB28_69
.LBB28_68:                              ;   in Loop: Header=BB28_3 Depth=1
	s_wait_xcnt 0x0
	s_mov_b32 s22, 0
	s_cbranch_execz .LBB28_2
.LBB28_69:                              ;   in Loop: Header=BB28_3 Depth=1
	s_lshl_b32 s16, s22, 2
	s_mov_b32 s17, s3
	v_mad_u32 v36, 0x60, s22, v72
	s_add_nc_u64 s[12:13], s[12:13], s[16:17]
	s_delay_alu instid0(SALU_CYCLE_1)
	v_add_nc_u64_e32 v[34:35], s[12:13], v[68:69]
	s_sub_co_i32 s12, s26, s22
.LBB28_70:                              ;   Parent Loop BB28_3 Depth=1
                                        ; =>  This Inner Loop Header: Depth=2
	ds_load_b32 v37, v36
	v_add_nc_u32_e32 v36, 0x60, v36
	s_add_co_i32 s12, s12, -1
	s_delay_alu instid0(SALU_CYCLE_1)
	s_cmp_lg_u32 s12, 0
	s_wait_dscnt 0x0
	global_store_b32 v[34:35], v37, off
	s_wait_xcnt 0x0
	v_add_nc_u64_e32 v[34:35], 4, v[34:35]
	s_cbranch_scc1 .LBB28_70
	s_branch .LBB28_2
.LBB28_71:
	s_sendmsg sendmsg(MSG_DEALLOC_VGPRS)
	s_endpgm
	.section	.rodata,"a",@progbits
	.p2align	6, 0x0
	.amdhsa_kernel _ZL38rocblas_trsm_small_left_device_sharedBILi24ELi24ELb1EffPKfPfEv13rocblas_fill_18rocblas_operation_17rocblas_diagonal_iiT3_T4_lilT5_lili
		.amdhsa_group_segment_fixed_size 4608
		.amdhsa_private_segment_fixed_size 0
		.amdhsa_kernarg_size 352
		.amdhsa_user_sgpr_count 2
		.amdhsa_user_sgpr_dispatch_ptr 0
		.amdhsa_user_sgpr_queue_ptr 0
		.amdhsa_user_sgpr_kernarg_segment_ptr 1
		.amdhsa_user_sgpr_dispatch_id 0
		.amdhsa_user_sgpr_kernarg_preload_length 0
		.amdhsa_user_sgpr_kernarg_preload_offset 0
		.amdhsa_user_sgpr_private_segment_size 0
		.amdhsa_wavefront_size32 1
		.amdhsa_uses_dynamic_stack 0
		.amdhsa_enable_private_segment 0
		.amdhsa_system_sgpr_workgroup_id_x 1
		.amdhsa_system_sgpr_workgroup_id_y 0
		.amdhsa_system_sgpr_workgroup_id_z 1
		.amdhsa_system_sgpr_workgroup_info 0
		.amdhsa_system_vgpr_workitem_id 0
		.amdhsa_next_free_vgpr 77
		.amdhsa_next_free_sgpr 47
		.amdhsa_named_barrier_count 0
		.amdhsa_reserve_vcc 1
		.amdhsa_float_round_mode_32 0
		.amdhsa_float_round_mode_16_64 0
		.amdhsa_float_denorm_mode_32 3
		.amdhsa_float_denorm_mode_16_64 3
		.amdhsa_fp16_overflow 0
		.amdhsa_memory_ordered 1
		.amdhsa_forward_progress 1
		.amdhsa_inst_pref_size 23
		.amdhsa_round_robin_scheduling 0
		.amdhsa_exception_fp_ieee_invalid_op 0
		.amdhsa_exception_fp_denorm_src 0
		.amdhsa_exception_fp_ieee_div_zero 0
		.amdhsa_exception_fp_ieee_overflow 0
		.amdhsa_exception_fp_ieee_underflow 0
		.amdhsa_exception_fp_ieee_inexact 0
		.amdhsa_exception_int_div_zero 0
	.end_amdhsa_kernel
	.section	.text._ZL38rocblas_trsm_small_left_device_sharedBILi24ELi24ELb1EffPKfPfEv13rocblas_fill_18rocblas_operation_17rocblas_diagonal_iiT3_T4_lilT5_lili,"axG",@progbits,_ZL38rocblas_trsm_small_left_device_sharedBILi24ELi24ELb1EffPKfPfEv13rocblas_fill_18rocblas_operation_17rocblas_diagonal_iiT3_T4_lilT5_lili,comdat
.Lfunc_end28:
	.size	_ZL38rocblas_trsm_small_left_device_sharedBILi24ELi24ELb1EffPKfPfEv13rocblas_fill_18rocblas_operation_17rocblas_diagonal_iiT3_T4_lilT5_lili, .Lfunc_end28-_ZL38rocblas_trsm_small_left_device_sharedBILi24ELi24ELb1EffPKfPfEv13rocblas_fill_18rocblas_operation_17rocblas_diagonal_iiT3_T4_lilT5_lili
                                        ; -- End function
	.set _ZL38rocblas_trsm_small_left_device_sharedBILi24ELi24ELb1EffPKfPfEv13rocblas_fill_18rocblas_operation_17rocblas_diagonal_iiT3_T4_lilT5_lili.num_vgpr, 77
	.set _ZL38rocblas_trsm_small_left_device_sharedBILi24ELi24ELb1EffPKfPfEv13rocblas_fill_18rocblas_operation_17rocblas_diagonal_iiT3_T4_lilT5_lili.num_agpr, 0
	.set _ZL38rocblas_trsm_small_left_device_sharedBILi24ELi24ELb1EffPKfPfEv13rocblas_fill_18rocblas_operation_17rocblas_diagonal_iiT3_T4_lilT5_lili.numbered_sgpr, 47
	.set _ZL38rocblas_trsm_small_left_device_sharedBILi24ELi24ELb1EffPKfPfEv13rocblas_fill_18rocblas_operation_17rocblas_diagonal_iiT3_T4_lilT5_lili.num_named_barrier, 0
	.set _ZL38rocblas_trsm_small_left_device_sharedBILi24ELi24ELb1EffPKfPfEv13rocblas_fill_18rocblas_operation_17rocblas_diagonal_iiT3_T4_lilT5_lili.private_seg_size, 0
	.set _ZL38rocblas_trsm_small_left_device_sharedBILi24ELi24ELb1EffPKfPfEv13rocblas_fill_18rocblas_operation_17rocblas_diagonal_iiT3_T4_lilT5_lili.uses_vcc, 1
	.set _ZL38rocblas_trsm_small_left_device_sharedBILi24ELi24ELb1EffPKfPfEv13rocblas_fill_18rocblas_operation_17rocblas_diagonal_iiT3_T4_lilT5_lili.uses_flat_scratch, 0
	.set _ZL38rocblas_trsm_small_left_device_sharedBILi24ELi24ELb1EffPKfPfEv13rocblas_fill_18rocblas_operation_17rocblas_diagonal_iiT3_T4_lilT5_lili.has_dyn_sized_stack, 0
	.set _ZL38rocblas_trsm_small_left_device_sharedBILi24ELi24ELb1EffPKfPfEv13rocblas_fill_18rocblas_operation_17rocblas_diagonal_iiT3_T4_lilT5_lili.has_recursion, 0
	.set _ZL38rocblas_trsm_small_left_device_sharedBILi24ELi24ELb1EffPKfPfEv13rocblas_fill_18rocblas_operation_17rocblas_diagonal_iiT3_T4_lilT5_lili.has_indirect_call, 0
	.section	.AMDGPU.csdata,"",@progbits
; Kernel info:
; codeLenInByte = 2824
; TotalNumSgprs: 49
; NumVgprs: 77
; ScratchSize: 0
; MemoryBound: 0
; FloatMode: 240
; IeeeMode: 1
; LDSByteSize: 4608 bytes/workgroup (compile time only)
; SGPRBlocks: 0
; VGPRBlocks: 4
; NumSGPRsForWavesPerEU: 49
; NumVGPRsForWavesPerEU: 77
; NamedBarCnt: 0
; Occupancy: 12
; WaveLimiterHint : 0
; COMPUTE_PGM_RSRC2:SCRATCH_EN: 0
; COMPUTE_PGM_RSRC2:USER_SGPR: 2
; COMPUTE_PGM_RSRC2:TRAP_HANDLER: 0
; COMPUTE_PGM_RSRC2:TGID_X_EN: 1
; COMPUTE_PGM_RSRC2:TGID_Y_EN: 0
; COMPUTE_PGM_RSRC2:TGID_Z_EN: 1
; COMPUTE_PGM_RSRC2:TIDIG_COMP_CNT: 0
	.section	.text._ZL30rocblas_trsm_small_left_deviceILi24ELi24ELb1EffPKfPfEv13rocblas_fill_18rocblas_operation_17rocblas_diagonal_iiT3_T4_lilT5_lili,"axG",@progbits,_ZL30rocblas_trsm_small_left_deviceILi24ELi24ELb1EffPKfPfEv13rocblas_fill_18rocblas_operation_17rocblas_diagonal_iiT3_T4_lilT5_lili,comdat
	.globl	_ZL30rocblas_trsm_small_left_deviceILi24ELi24ELb1EffPKfPfEv13rocblas_fill_18rocblas_operation_17rocblas_diagonal_iiT3_T4_lilT5_lili ; -- Begin function _ZL30rocblas_trsm_small_left_deviceILi24ELi24ELb1EffPKfPfEv13rocblas_fill_18rocblas_operation_17rocblas_diagonal_iiT3_T4_lilT5_lili
	.p2align	8
	.type	_ZL30rocblas_trsm_small_left_deviceILi24ELi24ELb1EffPKfPfEv13rocblas_fill_18rocblas_operation_17rocblas_diagonal_iiT3_T4_lilT5_lili,@function
_ZL30rocblas_trsm_small_left_deviceILi24ELi24ELb1EffPKfPfEv13rocblas_fill_18rocblas_operation_17rocblas_diagonal_iiT3_T4_lilT5_lili: ; @_ZL30rocblas_trsm_small_left_deviceILi24ELi24ELb1EffPKfPfEv13rocblas_fill_18rocblas_operation_17rocblas_diagonal_iiT3_T4_lilT5_lili
; %bb.0:
	s_load_b32 s28, s[0:1], 0x58
	s_bfe_u32 s2, ttmp6, 0x40014
	s_lshr_b32 s4, ttmp7, 16
	s_add_co_i32 s2, s2, 1
	s_bfe_u32 s5, ttmp6, 0x40008
	s_mul_i32 s2, s4, s2
	s_getreg_b32 s3, hwreg(HW_REG_IB_STS2, 6, 4)
	s_add_co_i32 s5, s5, s2
	s_cmp_eq_u32 s3, 0
	s_mov_b32 s19, 0
	s_cselect_b32 s2, s4, s5
	s_wait_kmcnt 0x0
	s_cmp_ge_u32 s2, s28
	s_cbranch_scc1 .LBB29_57
; %bb.1:
	s_clause 0x7
	s_load_b32 s24, s[0:1], 0x28
	s_load_b96 s[16:18], s[0:1], 0x40
	s_load_b128 s[4:7], s[0:1], 0x4
	s_load_b32 s26, s[0:1], 0x60
	s_load_b128 s[8:11], s[0:1], 0x18
	s_load_b128 s[12:15], s[0:1], 0x30
	s_load_b64 s[20:21], s[0:1], 0x50
	s_load_b32 s29, s[0:1], 0x14
	v_dual_mov_b32 v67, 0 :: v_dual_lshlrev_b32 v66, 2, v0
	v_mul_u32_u24_e32 v28, 0x60, v0
	s_mov_b32 s39, 0
	s_get_pc_i64 s[22:23]
	s_add_nc_u64 s[22:23], s[22:23], __const._ZL30rocblas_trsm_small_left_deviceILi24ELi24ELb1EffPKfPfEv13rocblas_fill_18rocblas_operation_17rocblas_diagonal_iiT3_T4_lilT5_lili.step_sizes@rel64+4
	v_dual_mov_b32 v2, v67 :: v_dual_mov_b32 v3, v67
	v_dual_mov_b32 v4, v67 :: v_dual_mov_b32 v5, v67
	;; [unrolled: 1-line block ×3, first 2 shown]
	s_wait_kmcnt 0x0
	s_ashr_i32 s25, s24, 31
	v_dual_mov_b32 v8, v67 :: v_dual_mov_b32 v9, v67
	s_cmp_eq_u64 s[24:25], 1
	v_dual_mov_b32 v10, v67 :: v_dual_mov_b32 v11, v67
	s_cselect_b32 s27, -1, 0
	s_bfe_u32 s0, ttmp6, 0x4000c
	s_min_i32 s30, s6, 24
	s_add_co_i32 s0, s0, 1
	s_and_b32 s6, ttmp6, 15
	s_mul_i32 s0, ttmp9, s0
	s_ashr_i32 s1, s18, 31
	s_lshl_b64 s[16:17], s[16:17], 2
	s_add_co_i32 s26, s26, -1
	s_add_co_i32 s31, s30, -1
	s_add_co_i32 s6, s6, s0
	s_cmp_eq_u32 s3, 0
	s_mov_b32 s0, s18
	s_cselect_b32 s3, ttmp9, s6
	s_add_nc_u64 s[14:15], s[14:15], s[16:17]
	v_mad_u32 v18, s3, 24, v0
	v_dual_mov_b32 v14, v67 :: v_dual_mov_b32 v12, v67
	v_dual_mov_b32 v13, v67 :: v_dual_mov_b32 v15, v67
	;; [unrolled: 1-line block ×5, first 2 shown]
	v_dual_mov_b32 v20, v67 :: v_dual_ashrrev_i32 v19, 31, v18
	v_mov_b32_e32 v25, v67
	s_delay_alu instid0(VALU_DEP_2)
	v_mul_u64_e32 v[26:27], s[0:1], v[18:19]
	s_mul_i32 s0, s3, 0xffffffe8
	v_mov_b32_e32 v18, v67
	s_add_co_i32 s0, s7, s0
	s_cmp_ge_u32 s3, s26
	v_mov_b32_e32 v19, v67
	s_cselect_b32 s1, s0, 24
	s_cmp_lg_u32 s5, 0x84
	v_cmp_gt_i32_e64 s0, s30, v0
	s_cselect_b32 s33, -1, 0
	s_cmp_lg_u32 s4, 0x6f
	v_cmp_gt_i32_e64 s1, s1, v0
	s_cselect_b32 s34, -1, 0
	s_cmp_gt_u32 s30, 1
	s_cselect_b32 s3, -1, 0
	s_and_b32 s35, s30, -2
	s_and_b32 s36, s3, s27
	s_cmp_lg_u32 s30, s35
	s_cselect_b32 s37, -1, 0
	s_lshl_b64 s[10:11], s[10:11], 2
	s_lshl_b32 s38, s30, 2
	s_add_nc_u64 s[8:9], s[8:9], s[10:11]
	s_lshl_b64 s[4:5], s[12:13], 2
	v_add_nc_u64_e32 v[0:1], s[8:9], v[66:67]
	v_add_nc_u32_e32 v67, v66, v28
	s_lshl_b64 s[6:7], s[24:25], 2
	s_lshl_b64 s[8:9], s[20:21], 2
	s_add_co_i32 s38, s38, -4
	v_lshl_add_u64 v[68:69], v[26:27], 2, s[14:15]
	s_branch .LBB29_5
.LBB29_2:                               ;   in Loop: Header=BB29_5 Depth=1
	s_wait_xcnt 0x0
	v_mov_b64_e32 v[64:65], v[32:33]
	v_mov_b64_e32 v[62:63], v[30:31]
	;; [unrolled: 1-line block ×16, first 2 shown]
.LBB29_3:                               ;   in Loop: Header=BB29_5 Depth=1
	s_add_co_i32 s2, s2, 0x10000
	s_delay_alu instid0(SALU_CYCLE_1) | instskip(SKIP_1) | instid1(SALU_CYCLE_1)
	s_cmp_ge_u32 s2, s28
	s_cselect_b32 s3, -1, 0
	s_or_not1_b32 s10, s3, exec_lo
.LBB29_4:                               ;   in Loop: Header=BB29_5 Depth=1
	s_wait_xcnt 0x0
	s_or_b32 exec_lo, exec_lo, s40
	v_mov_b64_e32 v[2:3], v[34:35]
	v_mov_b64_e32 v[4:5], v[36:37]
	;; [unrolled: 1-line block ×16, first 2 shown]
	s_and_b32 s3, exec_lo, s10
	s_delay_alu instid0(SALU_CYCLE_1) | instskip(NEXT) | instid1(SALU_CYCLE_1)
	s_or_b32 s39, s3, s39
	s_and_not1_b32 exec_lo, exec_lo, s39
	s_cbranch_execz .LBB29_57
.LBB29_5:                               ; =>This Loop Header: Depth=1
                                        ;     Child Loop BB29_8 Depth 2
                                        ;     Child Loop BB29_12 Depth 2
	;; [unrolled: 1-line block ×3, first 2 shown]
                                        ;       Child Loop BB29_22 Depth 3
                                        ;       Child Loop BB29_24 Depth 3
                                        ;         Child Loop BB29_25 Depth 4
                                        ;       Child Loop BB29_30 Depth 3
                                        ;         Child Loop BB29_32 Depth 4
                                        ;     Child Loop BB29_34 Depth 2
                                        ;     Child Loop BB29_39 Depth 2
                                        ;       Child Loop BB29_42 Depth 3
                                        ;         Child Loop BB29_43 Depth 4
                                        ;         Child Loop BB29_46 Depth 4
                                        ;           Child Loop BB29_47 Depth 5
                                        ;         Child Loop BB29_52 Depth 4
                                        ;           Child Loop BB29_54 Depth 5
	s_mov_b32 s3, s19
	s_and_saveexec_b32 s12, s0
	s_cbranch_execz .LBB29_16
; %bb.6:                                ;   in Loop: Header=BB29_5 Depth=1
	s_and_not1_b32 vcc_lo, exec_lo, s36
	s_mul_u64 s[10:11], s[4:5], s[2:3]
	s_cbranch_vccnz .LBB29_10
; %bb.7:                                ;   in Loop: Header=BB29_5 Depth=1
	v_add_nc_u64_e32 v[34:35], s[10:11], v[0:1]
	s_mov_b32 s13, 1
	s_mov_b32 s14, 0
	;; [unrolled: 1-line block ×3, first 2 shown]
.LBB29_8:                               ;   Parent Loop BB29_5 Depth=1
                                        ; =>  This Inner Loop Header: Depth=2
	global_load_b64 v[36:37], v[34:35], off
	v_mad_u32 v38, 0x60, s14, v66
	v_mad_u32 v39, 0x60, s13, v66
	s_wait_xcnt 0x0
	v_add_nc_u64_e32 v[34:35], 8, v[34:35]
	s_add_co_i32 s15, s15, -2
	s_add_co_i32 s14, s14, 2
	s_add_co_i32 s13, s13, 2
	s_mov_b32 s18, s35
	s_mov_b32 s16, s37
	s_cmp_lg_u32 s15, 0
	s_wait_loadcnt 0x0
	ds_store_b32 v38, v36
	ds_store_b32 v39, v37
	s_cbranch_scc1 .LBB29_8
; %bb.9:                                ;   in Loop: Header=BB29_5 Depth=1
	s_and_b32 vcc_lo, exec_lo, s16
	s_cbranch_vccnz .LBB29_11
	s_branch .LBB29_13
.LBB29_10:                              ;   in Loop: Header=BB29_5 Depth=1
	s_mov_b32 s18, 0
	s_cbranch_execz .LBB29_13
.LBB29_11:                              ;   in Loop: Header=BB29_5 Depth=1
	s_mul_u64 s[14:15], s[6:7], s[18:19]
	v_mad_u32 v36, 0x60, s18, v66
	s_add_nc_u64 s[10:11], s[14:15], s[10:11]
	s_delay_alu instid0(SALU_CYCLE_1)
	v_add_nc_u64_e32 v[34:35], s[10:11], v[0:1]
	s_sub_co_i32 s10, s30, s18
.LBB29_12:                              ;   Parent Loop BB29_5 Depth=1
                                        ; =>  This Inner Loop Header: Depth=2
	global_load_b32 v37, v[34:35], off
	s_wait_xcnt 0x0
	v_add_nc_u64_e32 v[34:35], s[6:7], v[34:35]
	s_add_co_i32 s10, s10, -1
	s_delay_alu instid0(SALU_CYCLE_1)
	s_cmp_eq_u32 s10, 0
	s_wait_loadcnt 0x0
	ds_store_b32 v36, v37
	v_add_nc_u32_e32 v36, 0x60, v36
	s_cbranch_scc0 .LBB29_12
.LBB29_13:                              ;   in Loop: Header=BB29_5 Depth=1
	v_mov_b32_e32 v34, 1.0
	s_and_b32 vcc_lo, exec_lo, s33
	s_cbranch_vccz .LBB29_15
; %bb.14:                               ;   in Loop: Header=BB29_5 Depth=1
	ds_load_b32 v34, v67
	s_wait_dscnt 0x0
	v_div_scale_f32 v35, null, v34, v34, 1.0
	s_delay_alu instid0(VALU_DEP_1) | instskip(SKIP_1) | instid1(TRANS32_DEP_1)
	v_rcp_f32_e32 v36, v35
	v_nop
	v_fma_f32 v37, -v35, v36, 1.0
	s_delay_alu instid0(VALU_DEP_1) | instskip(SKIP_1) | instid1(VALU_DEP_1)
	v_fmac_f32_e32 v36, v37, v36
	v_div_scale_f32 v37, vcc_lo, 1.0, v34, 1.0
	v_mul_f32_e32 v38, v37, v36
	s_delay_alu instid0(VALU_DEP_1) | instskip(NEXT) | instid1(VALU_DEP_1)
	v_fma_f32 v39, -v35, v38, v37
	v_fmac_f32_e32 v38, v39, v36
	s_delay_alu instid0(VALU_DEP_1) | instskip(NEXT) | instid1(VALU_DEP_1)
	v_fma_f32 v35, -v35, v38, v37
	v_div_fmas_f32 v35, v35, v36, v38
	s_delay_alu instid0(VALU_DEP_1)
	v_div_fixup_f32 v34, v35, v34, 1.0
.LBB29_15:                              ;   in Loop: Header=BB29_5 Depth=1
	ds_store_b32 v67, v34
.LBB29_16:                              ;   in Loop: Header=BB29_5 Depth=1
	s_or_b32 exec_lo, exec_lo, s12
	s_mov_b32 s10, -1
	s_wait_dscnt 0x0
	; wave barrier
                                        ; implicit-def: $vgpr34_vgpr35_vgpr36_vgpr37_vgpr38_vgpr39_vgpr40_vgpr41_vgpr42_vgpr43_vgpr44_vgpr45_vgpr46_vgpr47_vgpr48_vgpr49_vgpr50_vgpr51_vgpr52_vgpr53_vgpr54_vgpr55_vgpr56_vgpr57_vgpr58_vgpr59_vgpr60_vgpr61_vgpr62_vgpr63_vgpr64_vgpr65
	s_and_saveexec_b32 s40, s1
	s_cbranch_execz .LBB29_4
; %bb.17:                               ;   in Loop: Header=BB29_5 Depth=1
	s_mul_u64 s[10:11], s[20:21], s[2:3]
	s_and_not1_b32 vcc_lo, exec_lo, s34
	v_lshl_add_u64 v[70:71], s[10:11], 2, v[68:69]
	s_mul_u64 s[10:11], s[8:9], s[2:3]
	s_mov_b32 s3, -1
                                        ; implicit-def: $vgpr34_vgpr35_vgpr36_vgpr37_vgpr38_vgpr39_vgpr40_vgpr41_vgpr42_vgpr43_vgpr44_vgpr45_vgpr46_vgpr47_vgpr48_vgpr49_vgpr50_vgpr51_vgpr52_vgpr53_vgpr54_vgpr55_vgpr56_vgpr57_vgpr58_vgpr59_vgpr60_vgpr61_vgpr62_vgpr63_vgpr64_vgpr65
	s_cbranch_vccnz .LBB29_37
; %bb.18:                               ;   in Loop: Header=BB29_5 Depth=1
	v_mov_b64_e32 v[64:65], v[32:33]
	v_add_nc_u64_e32 v[72:73], s[10:11], v[68:69]
	v_mov_b64_e32 v[62:63], v[30:31]
	v_mov_b64_e32 v[60:61], v[28:29]
	;; [unrolled: 1-line block ×15, first 2 shown]
	s_mov_b32 s3, 0
	s_mov_b32 s12, s31
	s_load_b32 s18, s[22:23], s3 offset:0x0 scale_offset
	s_wait_kmcnt 0x0
	s_add_co_i32 s41, s18, -1
	s_delay_alu instid0(SALU_CYCLE_1)
	s_cmp_lt_i32 s12, s41
	s_cbranch_scc1 .LBB29_34
.LBB29_19:                              ;   in Loop: Header=BB29_5 Depth=1
	s_mul_i32 s13, s12, 0x60
	s_max_i32 s42, s18, 1
	s_add_co_i32 s43, s38, s13
	s_mul_i32 s44, s18, 0xffffffa0
	s_mul_i32 s45, s12, 0x64
	s_mul_i32 s46, s18, 0xffffff9c
	s_branch .LBB29_21
.LBB29_20:                              ;   in Loop: Header=BB29_21 Depth=2
	s_sub_co_i32 s12, s12, s18
	s_add_co_i32 s43, s43, s44
	s_add_co_i32 s45, s45, s46
	s_cmp_lt_i32 s12, s41
	s_cbranch_scc1 .LBB29_34
.LBB29_21:                              ;   Parent Loop BB29_5 Depth=1
                                        ; =>  This Loop Header: Depth=2
                                        ;       Child Loop BB29_22 Depth 3
                                        ;       Child Loop BB29_24 Depth 3
                                        ;         Child Loop BB29_25 Depth 4
                                        ;       Child Loop BB29_30 Depth 3
                                        ;         Child Loop BB29_32 Depth 4
	s_ashr_i32 s13, s12, 31
	s_mov_b64 s[14:15], 0
	s_wait_xcnt 0x0
	v_lshl_add_u64 v[74:75], s[12:13], 2, v[72:73]
.LBB29_22:                              ;   Parent Loop BB29_5 Depth=1
                                        ;     Parent Loop BB29_21 Depth=2
                                        ; =>    This Inner Loop Header: Depth=3
	global_load_b32 v76, v[74:75], off
	s_wait_xcnt 0x0
	v_add_nc_u64_e32 v[74:75], -4, v[74:75]
	s_mov_b32 m0, s14
	s_add_nc_u64 s[14:15], s[14:15], 1
	s_delay_alu instid0(SALU_CYCLE_1) | instskip(SKIP_2) | instid1(VALU_DEP_1)
	s_cmp_eq_u32 s42, s14
	s_wait_loadcnt 0x0
	v_mul_f32_e32 v76, s29, v76
	v_movreld_b32_e32 v34, v76
	s_cbranch_scc0 .LBB29_22
; %bb.23:                               ;   in Loop: Header=BB29_21 Depth=2
	s_cmp_le_i32 s31, s12
	s_mov_b32 s24, s43
	s_mov_b32 s14, s31
	s_cbranch_scc1 .LBB29_27
.LBB29_24:                              ;   Parent Loop BB29_5 Depth=1
                                        ;     Parent Loop BB29_21 Depth=2
                                        ; =>    This Loop Header: Depth=3
                                        ;         Child Loop BB29_25 Depth 4
	s_ashr_i32 s15, s14, 31
	s_mov_b64 s[16:17], 0
	v_lshl_add_u64 v[74:75], s[14:15], 2, v[70:71]
	s_mov_b32 s15, s24
	global_load_b32 v74, v[74:75], off
.LBB29_25:                              ;   Parent Loop BB29_5 Depth=1
                                        ;     Parent Loop BB29_21 Depth=2
                                        ;       Parent Loop BB29_24 Depth=3
                                        ; =>      This Inner Loop Header: Depth=4
	s_wait_xcnt 0x0
	v_mov_b32_e32 v75, s15
	s_mov_b32 m0, s16
	s_add_nc_u64 s[16:17], s[16:17], 1
	v_movrels_b32_e32 v76, v34
	s_addk_co_i32 s15, 0xffa0
	ds_load_b32 v75, v75
	s_cmp_eq_u32 s42, s16
	s_wait_loadcnt_dscnt 0x0
	v_fma_f32 v75, -v74, v75, v76
	s_delay_alu instid0(VALU_DEP_1)
	v_movreld_b32_e32 v34, v75
	s_cbranch_scc0 .LBB29_25
; %bb.26:                               ;   in Loop: Header=BB29_24 Depth=3
	s_add_co_i32 s14, s14, -1
	s_add_co_i32 s24, s24, -4
	s_cmp_le_i32 s14, s12
	s_cbranch_scc0 .LBB29_24
.LBB29_27:                              ;   in Loop: Header=BB29_21 Depth=2
	s_mov_b64 s[14:15], 0
	s_mov_b32 s47, s45
	s_branch .LBB29_30
.LBB29_28:                              ;   in Loop: Header=BB29_30 Depth=3
	s_mov_b32 s16, s12
	s_mov_b64 s[26:27], 0
	s_mov_b64 s[24:25], s[12:13]
.LBB29_29:                              ;   in Loop: Header=BB29_30 Depth=3
	s_mulk_i32 s16, 0x64
	s_mov_b32 m0, s26
	s_wait_xcnt 0x0
	v_mov_b32_e32 v74, s16
	v_movrels_b32_e32 v75, v34
	s_add_nc_u64 s[14:15], s[14:15], 1
	s_addk_co_i32 s47, 0xffa0
	s_cmp_eq_u32 s14, s42
	ds_load_b32 v74, v74
	s_wait_dscnt 0x0
	v_mul_f32_e32 v76, v75, v74
	v_lshl_add_u64 v[74:75], s[24:25], 2, v[70:71]
	s_delay_alu instid0(VALU_DEP_2)
	v_movreld_b32_e32 v34, v76
	global_store_b32 v[74:75], v76, off
	s_cbranch_scc1 .LBB29_20
.LBB29_30:                              ;   Parent Loop BB29_5 Depth=1
                                        ;     Parent Loop BB29_21 Depth=2
                                        ; =>    This Loop Header: Depth=3
                                        ;         Child Loop BB29_32 Depth 4
	s_cmp_eq_u32 s14, 0
	s_cbranch_scc1 .LBB29_28
; %bb.31:                               ;   in Loop: Header=BB29_30 Depth=3
	s_mov_b64 s[16:17], 0
	s_mov_b32 s24, s47
.LBB29_32:                              ;   Parent Loop BB29_5 Depth=1
                                        ;     Parent Loop BB29_21 Depth=2
                                        ;       Parent Loop BB29_30 Depth=3
                                        ; =>      This Inner Loop Header: Depth=4
	s_wait_xcnt 0x0
	v_mov_b32_e32 v74, s24
	s_mov_b32 m0, s16
	s_add_nc_u64 s[16:17], s[16:17], 1
	v_movrels_b32_e32 v75, v34
	s_mov_b32 m0, s14
	ds_load_b32 v74, v74
	v_movrels_b32_e32 v76, v34
	s_add_co_i32 s24, s24, -4
	s_cmp_eq_u32 s14, s16
	s_wait_dscnt 0x0
	s_delay_alu instid0(VALU_DEP_1) | instskip(NEXT) | instid1(VALU_DEP_1)
	v_fma_f32 v74, -v75, v74, v76
	v_movreld_b32_e32 v34, v74
	s_cbranch_scc0 .LBB29_32
; %bb.33:                               ;   in Loop: Header=BB29_30 Depth=3
	s_sub_co_i32 s16, s12, s14
	s_mov_b64 s[26:27], s[14:15]
	s_ashr_i32 s17, s16, 31
	s_delay_alu instid0(SALU_CYCLE_1)
	s_mov_b64 s[24:25], s[16:17]
	s_branch .LBB29_29
.LBB29_34:                              ;   Parent Loop BB29_5 Depth=1
                                        ; =>  This Inner Loop Header: Depth=2
	s_cmp_gt_i32 s12, -1
	s_cselect_b32 s14, -1, 0
	s_add_co_i32 s13, s3, 1
	s_cmp_lt_u32 s3, 2
	s_wait_xcnt 0x0
	s_cselect_b32 s3, -1, 0
	s_delay_alu instid0(SALU_CYCLE_1) | instskip(NEXT) | instid1(SALU_CYCLE_1)
	s_and_b32 s3, s14, s3
	s_and_b32 vcc_lo, exec_lo, s3
	s_cbranch_vccz .LBB29_36
; %bb.35:                               ;   in Loop: Header=BB29_34 Depth=2
	s_mov_b32 s3, s13
	s_load_b32 s18, s[22:23], s3 offset:0x0 scale_offset
	s_wait_kmcnt 0x0
	s_add_co_i32 s41, s18, -1
	s_delay_alu instid0(SALU_CYCLE_1)
	s_cmp_lt_i32 s12, s41
	s_cbranch_scc0 .LBB29_19
	s_branch .LBB29_34
.LBB29_36:                              ;   in Loop: Header=BB29_5 Depth=1
	s_mov_b32 s3, 0
.LBB29_37:                              ;   in Loop: Header=BB29_5 Depth=1
	s_delay_alu instid0(SALU_CYCLE_1)
	s_and_b32 vcc_lo, exec_lo, s3
	s_cbranch_vccz .LBB29_3
; %bb.38:                               ;   in Loop: Header=BB29_5 Depth=1
	v_add_nc_u64_e32 v[34:35], s[10:11], v[68:69]
	s_mov_b32 s10, 0
	s_mov_b32 s3, 0
.LBB29_39:                              ;   Parent Loop BB29_5 Depth=1
                                        ; =>  This Loop Header: Depth=2
                                        ;       Child Loop BB29_42 Depth 3
                                        ;         Child Loop BB29_43 Depth 4
                                        ;         Child Loop BB29_46 Depth 4
                                        ;           Child Loop BB29_47 Depth 5
                                        ;         Child Loop BB29_52 Depth 4
                                        ;           Child Loop BB29_54 Depth 5
	s_load_b32 s12, s[22:23], s3 offset:0x0 scale_offset
	s_wait_kmcnt 0x0
	s_add_co_i32 s26, s12, -1
	s_delay_alu instid0(SALU_CYCLE_1) | instskip(NEXT) | instid1(SALU_CYCLE_1)
	s_add_co_i32 s11, s26, s10
	s_cmp_ge_i32 s11, s30
	s_cbranch_scc1 .LBB29_55
; %bb.40:                               ;   in Loop: Header=BB29_39 Depth=2
	s_ashr_i32 s11, s10, 31
	s_ashr_i32 s13, s12, 31
	v_lshl_add_u64 v[36:37], s[10:11], 2, v[34:35]
	s_max_i32 s27, s12, 1
	s_lshl_b64 s[14:15], s[12:13], 2
	s_lshl_b32 s11, s10, 2
	s_lshl_b32 s13, s12, 2
	s_mul_i32 s41, s10, 0x64
	s_mul_i32 s42, s12, 0x64
	s_branch .LBB29_42
.LBB29_41:                              ;   in Loop: Header=BB29_42 Depth=3
	v_add_nc_u64_e32 v[36:37], s[14:15], v[36:37]
	s_add_co_i32 s10, s10, s12
	s_add_co_i32 s11, s11, s13
	;; [unrolled: 1-line block ×4, first 2 shown]
	s_cmp_ge_i32 s16, s30
	s_cbranch_scc1 .LBB29_55
.LBB29_42:                              ;   Parent Loop BB29_5 Depth=1
                                        ;     Parent Loop BB29_39 Depth=2
                                        ; =>    This Loop Header: Depth=3
                                        ;         Child Loop BB29_43 Depth 4
                                        ;         Child Loop BB29_46 Depth 4
                                        ;           Child Loop BB29_47 Depth 5
                                        ;         Child Loop BB29_52 Depth 4
                                        ;           Child Loop BB29_54 Depth 5
	s_wait_xcnt 0x0
	v_mov_b64_e32 v[38:39], v[36:37]
	s_mov_b64 s[16:17], 0
.LBB29_43:                              ;   Parent Loop BB29_5 Depth=1
                                        ;     Parent Loop BB29_39 Depth=2
                                        ;       Parent Loop BB29_42 Depth=3
                                        ; =>      This Inner Loop Header: Depth=4
	global_load_b32 v40, v[38:39], off
	s_wait_xcnt 0x0
	v_add_nc_u64_e32 v[38:39], 4, v[38:39]
	s_mov_b32 m0, s16
	s_add_nc_u64 s[16:17], s[16:17], 1
	s_delay_alu instid0(SALU_CYCLE_1) | instskip(SKIP_2) | instid1(VALU_DEP_1)
	s_cmp_eq_u32 s27, s16
	s_wait_loadcnt 0x0
	v_mul_f32_e32 v40, s29, v40
	v_movreld_b32_e32 v2, v40
	s_cbranch_scc0 .LBB29_43
; %bb.44:                               ;   in Loop: Header=BB29_42 Depth=3
	s_cmp_lt_i32 s10, 1
	s_cbranch_scc1 .LBB29_49
; %bb.45:                               ;   in Loop: Header=BB29_42 Depth=3
	s_mov_b32 s18, 0
	s_mov_b32 s24, s11
.LBB29_46:                              ;   Parent Loop BB29_5 Depth=1
                                        ;     Parent Loop BB29_39 Depth=2
                                        ;       Parent Loop BB29_42 Depth=3
                                        ; =>      This Loop Header: Depth=4
                                        ;           Child Loop BB29_47 Depth 5
	v_lshl_add_u64 v[38:39], s[18:19], 2, v[70:71]
	s_mov_b64 s[16:17], 0
	s_mov_b32 s25, s24
	global_load_b32 v38, v[38:39], off
.LBB29_47:                              ;   Parent Loop BB29_5 Depth=1
                                        ;     Parent Loop BB29_39 Depth=2
                                        ;       Parent Loop BB29_42 Depth=3
                                        ;         Parent Loop BB29_46 Depth=4
                                        ; =>        This Inner Loop Header: Depth=5
	s_wait_xcnt 0x0
	v_mov_b32_e32 v39, s25
	s_mov_b32 m0, s16
	s_add_nc_u64 s[16:17], s[16:17], 1
	v_movrels_b32_e32 v40, v2
	s_add_co_i32 s25, s25, 4
	ds_load_b32 v39, v39
	s_cmp_eq_u32 s27, s16
	s_wait_loadcnt_dscnt 0x0
	v_fma_f32 v39, -v38, v39, v40
	s_delay_alu instid0(VALU_DEP_1)
	v_movreld_b32_e32 v2, v39
	s_cbranch_scc0 .LBB29_47
; %bb.48:                               ;   in Loop: Header=BB29_46 Depth=4
	s_add_co_i32 s18, s18, 1
	s_addk_co_i32 s24, 0x60
	s_cmp_eq_u32 s18, s10
	s_cbranch_scc0 .LBB29_46
.LBB29_49:                              ;   in Loop: Header=BB29_42 Depth=3
	s_mov_b64 s[16:17], 0
	s_mov_b32 s18, s41
	s_branch .LBB29_52
.LBB29_50:                              ;   in Loop: Header=BB29_52 Depth=4
	s_mov_b64 s[24:25], s[16:17]
.LBB29_51:                              ;   in Loop: Header=BB29_52 Depth=4
	s_delay_alu instid0(SALU_CYCLE_1)
	s_mov_b32 m0, s24
	s_add_co_i32 s24, s16, s10
	s_wait_xcnt 0x0
	v_movrels_b32_e32 v39, v2
	s_mul_i32 s25, s24, 0x64
	s_add_nc_u64 s[16:17], s[16:17], 1
	v_mov_b32_e32 v38, s25
	s_ashr_i32 s25, s24, 31
	s_add_co_i32 s18, s18, 4
	s_cmp_eq_u32 s16, s27
	ds_load_b32 v38, v38
	s_wait_dscnt 0x0
	v_mul_f32_e32 v40, v39, v38
	v_lshl_add_u64 v[38:39], s[24:25], 2, v[70:71]
	s_delay_alu instid0(VALU_DEP_2)
	v_movreld_b32_e32 v2, v40
	global_store_b32 v[38:39], v40, off
	s_cbranch_scc1 .LBB29_41
.LBB29_52:                              ;   Parent Loop BB29_5 Depth=1
                                        ;     Parent Loop BB29_39 Depth=2
                                        ;       Parent Loop BB29_42 Depth=3
                                        ; =>      This Loop Header: Depth=4
                                        ;           Child Loop BB29_54 Depth 5
	s_mov_b64 s[24:25], 0
	s_cmp_eq_u32 s16, 0
	s_cbranch_scc1 .LBB29_51
; %bb.53:                               ;   in Loop: Header=BB29_52 Depth=4
	s_mov_b32 s43, s18
.LBB29_54:                              ;   Parent Loop BB29_5 Depth=1
                                        ;     Parent Loop BB29_39 Depth=2
                                        ;       Parent Loop BB29_42 Depth=3
                                        ;         Parent Loop BB29_52 Depth=4
                                        ; =>        This Inner Loop Header: Depth=5
	s_wait_xcnt 0x0
	v_mov_b32_e32 v38, s43
	s_mov_b32 m0, s24
	s_add_nc_u64 s[24:25], s[24:25], 1
	v_movrels_b32_e32 v39, v2
	s_mov_b32 m0, s16
	ds_load_b32 v38, v38
	v_movrels_b32_e32 v40, v2
	s_addk_co_i32 s43, 0x60
	s_cmp_eq_u32 s16, s24
	s_wait_dscnt 0x0
	s_delay_alu instid0(VALU_DEP_1) | instskip(NEXT) | instid1(VALU_DEP_1)
	v_fma_f32 v38, -v39, v38, v40
	v_movreld_b32_e32 v2, v38
	s_cbranch_scc0 .LBB29_54
	s_branch .LBB29_50
.LBB29_55:                              ;   in Loop: Header=BB29_39 Depth=2
	s_cmp_lt_i32 s10, s30
	s_cselect_b32 s12, -1, 0
	s_add_co_i32 s11, s3, 1
	s_cmp_lt_u32 s3, 2
	s_wait_xcnt 0x0
	s_cselect_b32 s3, -1, 0
	s_delay_alu instid0(SALU_CYCLE_1) | instskip(NEXT) | instid1(SALU_CYCLE_1)
	s_and_b32 s3, s12, s3
	s_and_not1_b32 vcc_lo, exec_lo, s3
	s_cbranch_vccnz .LBB29_2
; %bb.56:                               ;   in Loop: Header=BB29_39 Depth=2
	s_mov_b32 s3, s11
	s_branch .LBB29_39
.LBB29_57:
	s_sendmsg sendmsg(MSG_DEALLOC_VGPRS)
	s_endpgm
	.section	.rodata,"a",@progbits
	.p2align	6, 0x0
	.amdhsa_kernel _ZL30rocblas_trsm_small_left_deviceILi24ELi24ELb1EffPKfPfEv13rocblas_fill_18rocblas_operation_17rocblas_diagonal_iiT3_T4_lilT5_lili
		.amdhsa_group_segment_fixed_size 2304
		.amdhsa_private_segment_fixed_size 0
		.amdhsa_kernarg_size 352
		.amdhsa_user_sgpr_count 2
		.amdhsa_user_sgpr_dispatch_ptr 0
		.amdhsa_user_sgpr_queue_ptr 0
		.amdhsa_user_sgpr_kernarg_segment_ptr 1
		.amdhsa_user_sgpr_dispatch_id 0
		.amdhsa_user_sgpr_kernarg_preload_length 0
		.amdhsa_user_sgpr_kernarg_preload_offset 0
		.amdhsa_user_sgpr_private_segment_size 0
		.amdhsa_wavefront_size32 1
		.amdhsa_uses_dynamic_stack 0
		.amdhsa_enable_private_segment 0
		.amdhsa_system_sgpr_workgroup_id_x 1
		.amdhsa_system_sgpr_workgroup_id_y 0
		.amdhsa_system_sgpr_workgroup_id_z 1
		.amdhsa_system_sgpr_workgroup_info 0
		.amdhsa_system_vgpr_workitem_id 0
		.amdhsa_next_free_vgpr 77
		.amdhsa_next_free_sgpr 48
		.amdhsa_named_barrier_count 0
		.amdhsa_reserve_vcc 1
		.amdhsa_float_round_mode_32 0
		.amdhsa_float_round_mode_16_64 0
		.amdhsa_float_denorm_mode_32 3
		.amdhsa_float_denorm_mode_16_64 3
		.amdhsa_fp16_overflow 0
		.amdhsa_memory_ordered 1
		.amdhsa_forward_progress 1
		.amdhsa_inst_pref_size 19
		.amdhsa_round_robin_scheduling 0
		.amdhsa_exception_fp_ieee_invalid_op 0
		.amdhsa_exception_fp_denorm_src 0
		.amdhsa_exception_fp_ieee_div_zero 0
		.amdhsa_exception_fp_ieee_overflow 0
		.amdhsa_exception_fp_ieee_underflow 0
		.amdhsa_exception_fp_ieee_inexact 0
		.amdhsa_exception_int_div_zero 0
	.end_amdhsa_kernel
	.section	.text._ZL30rocblas_trsm_small_left_deviceILi24ELi24ELb1EffPKfPfEv13rocblas_fill_18rocblas_operation_17rocblas_diagonal_iiT3_T4_lilT5_lili,"axG",@progbits,_ZL30rocblas_trsm_small_left_deviceILi24ELi24ELb1EffPKfPfEv13rocblas_fill_18rocblas_operation_17rocblas_diagonal_iiT3_T4_lilT5_lili,comdat
.Lfunc_end29:
	.size	_ZL30rocblas_trsm_small_left_deviceILi24ELi24ELb1EffPKfPfEv13rocblas_fill_18rocblas_operation_17rocblas_diagonal_iiT3_T4_lilT5_lili, .Lfunc_end29-_ZL30rocblas_trsm_small_left_deviceILi24ELi24ELb1EffPKfPfEv13rocblas_fill_18rocblas_operation_17rocblas_diagonal_iiT3_T4_lilT5_lili
                                        ; -- End function
	.set _ZL30rocblas_trsm_small_left_deviceILi24ELi24ELb1EffPKfPfEv13rocblas_fill_18rocblas_operation_17rocblas_diagonal_iiT3_T4_lilT5_lili.num_vgpr, 77
	.set _ZL30rocblas_trsm_small_left_deviceILi24ELi24ELb1EffPKfPfEv13rocblas_fill_18rocblas_operation_17rocblas_diagonal_iiT3_T4_lilT5_lili.num_agpr, 0
	.set _ZL30rocblas_trsm_small_left_deviceILi24ELi24ELb1EffPKfPfEv13rocblas_fill_18rocblas_operation_17rocblas_diagonal_iiT3_T4_lilT5_lili.numbered_sgpr, 48
	.set _ZL30rocblas_trsm_small_left_deviceILi24ELi24ELb1EffPKfPfEv13rocblas_fill_18rocblas_operation_17rocblas_diagonal_iiT3_T4_lilT5_lili.num_named_barrier, 0
	.set _ZL30rocblas_trsm_small_left_deviceILi24ELi24ELb1EffPKfPfEv13rocblas_fill_18rocblas_operation_17rocblas_diagonal_iiT3_T4_lilT5_lili.private_seg_size, 0
	.set _ZL30rocblas_trsm_small_left_deviceILi24ELi24ELb1EffPKfPfEv13rocblas_fill_18rocblas_operation_17rocblas_diagonal_iiT3_T4_lilT5_lili.uses_vcc, 1
	.set _ZL30rocblas_trsm_small_left_deviceILi24ELi24ELb1EffPKfPfEv13rocblas_fill_18rocblas_operation_17rocblas_diagonal_iiT3_T4_lilT5_lili.uses_flat_scratch, 0
	.set _ZL30rocblas_trsm_small_left_deviceILi24ELi24ELb1EffPKfPfEv13rocblas_fill_18rocblas_operation_17rocblas_diagonal_iiT3_T4_lilT5_lili.has_dyn_sized_stack, 0
	.set _ZL30rocblas_trsm_small_left_deviceILi24ELi24ELb1EffPKfPfEv13rocblas_fill_18rocblas_operation_17rocblas_diagonal_iiT3_T4_lilT5_lili.has_recursion, 0
	.set _ZL30rocblas_trsm_small_left_deviceILi24ELi24ELb1EffPKfPfEv13rocblas_fill_18rocblas_operation_17rocblas_diagonal_iiT3_T4_lilT5_lili.has_indirect_call, 0
	.section	.AMDGPU.csdata,"",@progbits
; Kernel info:
; codeLenInByte = 2336
; TotalNumSgprs: 50
; NumVgprs: 77
; ScratchSize: 0
; MemoryBound: 0
; FloatMode: 240
; IeeeMode: 1
; LDSByteSize: 2304 bytes/workgroup (compile time only)
; SGPRBlocks: 0
; VGPRBlocks: 4
; NumSGPRsForWavesPerEU: 50
; NumVGPRsForWavesPerEU: 77
; NamedBarCnt: 0
; Occupancy: 12
; WaveLimiterHint : 0
; COMPUTE_PGM_RSRC2:SCRATCH_EN: 0
; COMPUTE_PGM_RSRC2:USER_SGPR: 2
; COMPUTE_PGM_RSRC2:TRAP_HANDLER: 0
; COMPUTE_PGM_RSRC2:TGID_X_EN: 1
; COMPUTE_PGM_RSRC2:TGID_Y_EN: 0
; COMPUTE_PGM_RSRC2:TGID_Z_EN: 1
; COMPUTE_PGM_RSRC2:TIDIG_COMP_CNT: 0
	.section	.text._ZL31rocblas_trsm_small_right_deviceIffPKfPfLi24EEv13rocblas_fill_18rocblas_operation_17rocblas_diagonal_iiT0_T1_lilT2_lili,"axG",@progbits,_ZL31rocblas_trsm_small_right_deviceIffPKfPfLi24EEv13rocblas_fill_18rocblas_operation_17rocblas_diagonal_iiT0_T1_lilT2_lili,comdat
	.globl	_ZL31rocblas_trsm_small_right_deviceIffPKfPfLi24EEv13rocblas_fill_18rocblas_operation_17rocblas_diagonal_iiT0_T1_lilT2_lili ; -- Begin function _ZL31rocblas_trsm_small_right_deviceIffPKfPfLi24EEv13rocblas_fill_18rocblas_operation_17rocblas_diagonal_iiT0_T1_lilT2_lili
	.p2align	8
	.type	_ZL31rocblas_trsm_small_right_deviceIffPKfPfLi24EEv13rocblas_fill_18rocblas_operation_17rocblas_diagonal_iiT0_T1_lilT2_lili,@function
_ZL31rocblas_trsm_small_right_deviceIffPKfPfLi24EEv13rocblas_fill_18rocblas_operation_17rocblas_diagonal_iiT0_T1_lilT2_lili: ; @_ZL31rocblas_trsm_small_right_deviceIffPKfPfLi24EEv13rocblas_fill_18rocblas_operation_17rocblas_diagonal_iiT0_T1_lilT2_lili
; %bb.0:
	s_load_b32 s28, s[0:1], 0x58
	s_bfe_u32 s2, ttmp6, 0x40014
	s_lshr_b32 s3, ttmp7, 16
	s_add_co_i32 s2, s2, 1
	s_bfe_u32 s4, ttmp6, 0x40008
	s_mul_i32 s2, s3, s2
	s_getreg_b32 s19, hwreg(HW_REG_IB_STS2, 6, 4)
	s_add_co_i32 s4, s4, s2
	s_cmp_eq_u32 s19, 0
	s_cselect_b32 s2, s3, s4
	s_mov_b32 s3, 0
	s_wait_kmcnt 0x0
	s_cmp_ge_u32 s2, s28
	s_cbranch_scc1 .LBB30_97
; %bb.1:
	s_clause 0x6
	s_load_b32 s22, s[0:1], 0x28
	s_load_b96 s[16:18], s[0:1], 0x40
	s_load_b128 s[12:15], s[0:1], 0x0
	s_load_b64 s[20:21], s[0:1], 0x10
	s_load_b32 s26, s[0:1], 0x60
	s_load_b128 s[4:7], s[0:1], 0x18
	s_load_b128 s[8:11], s[0:1], 0x30
	v_dual_mov_b32 v3, 0 :: v_dual_lshlrev_b32 v2, 2, v0
	v_mul_u32_u24_e32 v6, 0x60, v0
	v_mov_b32_e32 v15, 1.0
	s_delay_alu instid0(VALU_DEP_3)
	v_or_b32_e32 v12, 0x900, v2
	s_wait_kmcnt 0x0
	s_ashr_i32 s23, s22, 31
	s_mov_b32 s24, s18
	s_cmp_eq_u64 s[22:23], 1
	s_cselect_b32 s37, -1, 0
	s_ashr_i32 s25, s18, 31
	s_delay_alu instid0(SALU_CYCLE_1)
	s_cmp_eq_u64 s[24:25], 1
	s_cselect_b32 s40, -1, 0
	s_cmp_lg_u32 s12, 0x7a
	s_cselect_b32 s31, -1, 0
	s_bfe_u32 s18, ttmp6, 0x4000c
	s_min_i32 s29, s20, 24
	s_add_co_i32 s18, s18, 1
	s_add_co_i32 s27, s26, -1
	s_and_b32 s26, ttmp6, 15
	s_mul_i32 s18, ttmp9, s18
	s_add_co_i32 s30, s29, -1
	s_add_co_i32 s26, s26, s18
	s_cmp_eq_u32 s19, 0
	s_load_b64 s[18:19], s[0:1], 0x50
	s_cselect_b32 s26, ttmp9, s26
	s_mul_i32 s46, s29, 0x60
	s_wait_xcnt 0x0
	s_mul_i32 s0, s26, 0xffffffe8
	v_add3_u32 v14, s46, v2, 0x8a0
	s_add_co_i32 s0, s15, s0
	s_cmp_ge_u32 s26, s27
	s_mul_i32 s41, s29, 0x64
	s_cselect_b32 s0, s0, 24
	s_ashr_i32 s27, s26, 31
	s_cmp_eq_u32 s14, 0x84
	v_cmp_gt_i32_e32 vcc_lo, s0, v0
	s_cselect_b32 s1, -1, 0
	s_cmp_gt_i32 s20, 0
	s_mul_u64 s[42:43], s[26:27], 0x60
	s_cselect_b32 s35, -1, 0
	s_cmp_lg_u32 s13, 0x6f
	s_mov_b32 s14, s21
	s_cselect_b32 s13, -1, 0
	s_cmp_lg_u32 s12, 0x79
	s_mov_b32 s15, s21
	s_cselect_b32 s0, -1, 0
	s_or_b32 s31, s31, s13
	s_or_b32 s33, s0, s13
	s_cmp_gt_i32 s20, 3
	v_cndmask_b32_e64 v13, 0, 1, s0
	s_cselect_b32 s34, -1, 0
	s_and_b32 s35, vcc_lo, s35
	s_cmp_gt_u32 s29, 1
	v_cmp_gt_i32_e64 s0, s29, v0
	s_cselect_b32 s12, -1, 0
	s_and_b32 s36, s29, -2
	s_and_b32 s37, s12, s37
	s_cmp_lg_u32 s29, s36
	s_cselect_b32 s38, -1, 0
	s_cmp_gt_u32 s20, 1
	s_cselect_b32 s12, -1, 0
	s_and_b32 s39, s20, 0x7ffffffe
	s_and_b32 s40, s12, s40
	s_cmp_lg_u32 s20, s39
	s_cselect_b32 s26, -1, 0
	s_lshl_b64 s[44:45], s[6:7], 2
	s_lshl_b64 s[6:7], s[8:9], 2
	;; [unrolled: 1-line block ×4, first 2 shown]
	s_add_nc_u64 s[4:5], s[4:5], s[44:45]
	s_add_nc_u64 s[22:23], s[42:43], s[22:23]
	v_add_nc_u64_e32 v[0:1], s[4:5], v[2:3]
	s_add_nc_u64 s[10:11], s[10:11], s[22:23]
	s_lshl_b64 s[16:17], s[24:25], 2
	v_add_nc_u64_e32 v[4:5], s[10:11], v[2:3]
	v_add_nc_u32_e32 v3, v2, v6
	s_lshl_b32 s25, s29, 2
	s_wait_kmcnt 0x0
	s_lshl_b64 s[12:13], s[18:19], 2
	s_add_co_i32 s18, s41, 0xffffff90
	s_add_co_i32 s19, s46, 0xffffffa0
	;; [unrolled: 1-line block ×4, first 2 shown]
	s_add_co_i32 s24, s25, -4
	s_addk_co_i32 s25, 0xff9c
	s_branch .LBB30_3
.LBB30_2:                               ;   in Loop: Header=BB30_3 Depth=1
	s_or_b32 exec_lo, exec_lo, s27
	s_add_co_i32 s2, s2, 0x10000
	s_delay_alu instid0(SALU_CYCLE_1)
	s_cmp_lt_u32 s2, s28
	s_cbranch_scc0 .LBB30_97
.LBB30_3:                               ; =>This Loop Header: Depth=1
                                        ;     Child Loop BB30_6 Depth 2
                                        ;     Child Loop BB30_10 Depth 2
	;; [unrolled: 1-line block ×5, first 2 shown]
                                        ;       Child Loop BB30_27 Depth 3
                                        ;     Child Loop BB30_33 Depth 2
                                        ;       Child Loop BB30_34 Depth 3
                                        ;     Child Loop BB30_38 Depth 2
                                        ;       Child Loop BB30_39 Depth 3
                                        ;     Child Loop BB30_47 Depth 2
                                        ;     Child Loop BB30_52 Depth 2
                                        ;       Child Loop BB30_53 Depth 3
                                        ;       Child Loop BB30_55 Depth 3
                                        ;     Child Loop BB30_59 Depth 2
                                        ;       Child Loop BB30_60 Depth 3
                                        ;     Child Loop BB30_67 Depth 2
                                        ;     Child Loop BB30_72 Depth 2
                                        ;       Child Loop BB30_73 Depth 3
                                        ;       Child Loop BB30_75 Depth 3
                                        ;     Child Loop BB30_80 Depth 2
                                        ;       Child Loop BB30_81 Depth 3
                                        ;     Child Loop BB30_87 Depth 2
	;; [unrolled: 2-line block ×3, first 2 shown]
                                        ;     Child Loop BB30_96 Depth 2
	s_and_saveexec_b32 s27, s0
	s_cbranch_execz .LBB30_13
; %bb.4:                                ;   in Loop: Header=BB30_3 Depth=1
	s_and_not1_b32 vcc_lo, exec_lo, s37
	s_mul_u64 s[4:5], s[6:7], s[2:3]
	s_cbranch_vccnz .LBB30_8
; %bb.5:                                ;   in Loop: Header=BB30_3 Depth=1
	v_add_nc_u64_e32 v[6:7], s[4:5], v[0:1]
	s_mov_b32 s11, 1
	s_mov_b32 s41, 0
	s_mov_b32 s42, s36
.LBB30_6:                               ;   Parent Loop BB30_3 Depth=1
                                        ; =>  This Inner Loop Header: Depth=2
	global_load_b64 v[8:9], v[6:7], off
	v_mad_u32 v10, 0x60, s41, v2
	v_mad_u32 v11, 0x60, s11, v2
	s_wait_xcnt 0x0
	v_add_nc_u64_e32 v[6:7], 8, v[6:7]
	s_add_co_i32 s42, s42, -2
	s_add_co_i32 s41, s41, 2
	s_add_co_i32 s11, s11, 2
	s_mov_b32 s10, s36
	s_mov_b32 s43, s38
	s_cmp_lg_u32 s42, 0
	s_wait_loadcnt 0x0
	ds_store_b32 v10, v8
	ds_store_b32 v11, v9
	s_cbranch_scc1 .LBB30_6
; %bb.7:                                ;   in Loop: Header=BB30_3 Depth=1
	s_and_b32 vcc_lo, exec_lo, s43
	s_cbranch_vccnz .LBB30_9
	s_branch .LBB30_11
.LBB30_8:                               ;   in Loop: Header=BB30_3 Depth=1
	s_mov_b32 s10, 0
	s_cbranch_execz .LBB30_11
.LBB30_9:                               ;   in Loop: Header=BB30_3 Depth=1
	s_mov_b32 s11, s3
	v_mad_u32 v8, 0x60, s10, v2
	s_mul_u64 s[42:43], s[8:9], s[10:11]
	s_delay_alu instid0(SALU_CYCLE_1) | instskip(NEXT) | instid1(SALU_CYCLE_1)
	s_add_nc_u64 s[4:5], s[42:43], s[4:5]
	v_add_nc_u64_e32 v[6:7], s[4:5], v[0:1]
	s_sub_co_i32 s4, s29, s10
.LBB30_10:                              ;   Parent Loop BB30_3 Depth=1
                                        ; =>  This Inner Loop Header: Depth=2
	global_load_b32 v9, v[6:7], off
	s_wait_xcnt 0x0
	v_add_nc_u64_e32 v[6:7], s[8:9], v[6:7]
	s_add_co_i32 s4, s4, -1
	s_delay_alu instid0(SALU_CYCLE_1)
	s_cmp_eq_u32 s4, 0
	s_wait_loadcnt 0x0
	ds_store_b32 v8, v9
	v_add_nc_u32_e32 v8, 0x60, v8
	s_cbranch_scc0 .LBB30_10
.LBB30_11:                              ;   in Loop: Header=BB30_3 Depth=1
	s_and_b32 vcc_lo, exec_lo, s1
	s_cbranch_vccz .LBB30_13
; %bb.12:                               ;   in Loop: Header=BB30_3 Depth=1
	ds_store_b32 v3, v15
.LBB30_13:                              ;   in Loop: Header=BB30_3 Depth=1
	s_or_b32 exec_lo, exec_lo, s27
	s_mul_u64 s[4:5], s[12:13], s[2:3]
	s_delay_alu instid0(SALU_CYCLE_1)
	v_add_nc_u64_e32 v[6:7], s[4:5], v[4:5]
	s_and_saveexec_b32 s27, s35
	s_cbranch_execz .LBB30_21
; %bb.14:                               ;   in Loop: Header=BB30_3 Depth=1
	s_and_not1_b32 vcc_lo, exec_lo, s40
	s_cbranch_vccnz .LBB30_18
; %bb.15:                               ;   in Loop: Header=BB30_3 Depth=1
	s_delay_alu instid0(VALU_DEP_1)
	v_mov_b64_e32 v[8:9], v[6:7]
	s_mov_b32 s11, 1
	s_mov_b32 s41, 0
	;; [unrolled: 1-line block ×3, first 2 shown]
.LBB30_16:                              ;   Parent Loop BB30_3 Depth=1
                                        ; =>  This Inner Loop Header: Depth=2
	global_load_b64 v[10:11], v[8:9], off
	v_mov_b64_e32 v[16:17], s[14:15]
	v_mad_u32 v18, 0x60, s41, v12
	v_mad_u32 v19, 0x60, s11, v12
	s_wait_xcnt 0x0
	v_add_nc_u64_e32 v[8:9], 8, v[8:9]
	s_add_co_i32 s42, s42, -2
	s_add_co_i32 s41, s41, 2
	s_add_co_i32 s11, s11, 2
	s_mov_b32 s10, s39
	s_mov_b32 s43, s26
	s_cmp_lg_u32 s42, 0
	s_wait_loadcnt 0x0
	v_pk_mul_f32 v[10:11], v[16:17], v[10:11]
	ds_store_b32 v18, v10
	ds_store_b32 v19, v11
	s_cbranch_scc1 .LBB30_16
; %bb.17:                               ;   in Loop: Header=BB30_3 Depth=1
	s_and_b32 vcc_lo, exec_lo, s43
	s_cbranch_vccnz .LBB30_19
	s_branch .LBB30_21
.LBB30_18:                              ;   in Loop: Header=BB30_3 Depth=1
	s_mov_b32 s10, 0
	s_cbranch_execz .LBB30_21
.LBB30_19:                              ;   in Loop: Header=BB30_3 Depth=1
	s_mov_b32 s11, s3
	v_mad_u32 v10, 0x60, s10, v12
	s_mul_u64 s[42:43], s[16:17], s[10:11]
	s_sub_co_i32 s10, s20, s10
	s_add_nc_u64 s[42:43], s[42:43], s[4:5]
	s_delay_alu instid0(SALU_CYCLE_1)
	v_add_nc_u64_e32 v[8:9], s[42:43], v[4:5]
.LBB30_20:                              ;   Parent Loop BB30_3 Depth=1
                                        ; =>  This Inner Loop Header: Depth=2
	global_load_b32 v11, v[8:9], off
	s_wait_xcnt 0x0
	v_add_nc_u64_e32 v[8:9], s[16:17], v[8:9]
	s_add_co_i32 s10, s10, -1
	s_delay_alu instid0(SALU_CYCLE_1)
	s_cmp_lg_u32 s10, 0
	s_wait_loadcnt 0x0
	v_mul_f32_e32 v11, s21, v11
	ds_store_b32 v10, v11
	v_add_nc_u32_e32 v10, 0x60, v10
	s_cbranch_scc1 .LBB30_20
.LBB30_21:                              ;   in Loop: Header=BB30_3 Depth=1
	s_or_b32 exec_lo, exec_lo, s27
	s_delay_alu instid0(SALU_CYCLE_1)
	s_and_b32 vcc_lo, exec_lo, s33
	s_mov_b32 s10, -1
	s_wait_dscnt 0x0
	; wave barrier
	s_cbranch_vccz .LBB30_77
; %bb.22:                               ;   in Loop: Header=BB30_3 Depth=1
	s_and_b32 vcc_lo, exec_lo, s31
	s_cbranch_vccz .LBB30_57
; %bb.23:                               ;   in Loop: Header=BB30_3 Depth=1
	v_cmp_ne_u32_e32 vcc_lo, 1, v13
	s_cbranch_vccnz .LBB30_36
; %bb.24:                               ;   in Loop: Header=BB30_3 Depth=1
	s_and_not1_b32 vcc_lo, exec_lo, s34
	s_mov_b32 s27, 0
	s_cbranch_vccnz .LBB30_30
; %bb.25:                               ;   in Loop: Header=BB30_3 Depth=1
	s_mov_b32 s10, 0
	s_mov_b32 s11, 0
.LBB30_26:                              ;   Parent Loop BB30_3 Depth=1
                                        ; =>  This Loop Header: Depth=2
                                        ;       Child Loop BB30_27 Depth 3
	s_delay_alu instid0(SALU_CYCLE_1) | instskip(SKIP_3) | instid1(SALU_CYCLE_1)
	v_mad_u32 v16, 0x60, s11, v12
	s_or_b32 s27, s11, 3
	s_cmp_eq_u32 s11, 0
	s_mulk_i32 s27, 0x60
	v_dual_mov_b32 v18, v12 :: v_dual_add_nc_u32 v17, s27, v12
	s_mov_b32 s27, s10
	s_mov_b32 s41, s11
	ds_load_2addr_b32 v[10:11], v16 offset1:24
	ds_load_b32 v8, v16 offset:192
	ds_load_b32 v9, v17
	s_cbranch_scc1 .LBB30_28
.LBB30_27:                              ;   Parent Loop BB30_3 Depth=1
                                        ;     Parent Loop BB30_26 Depth=2
                                        ; =>    This Inner Loop Header: Depth=3
	v_mov_b32_e32 v19, s27
	s_add_co_i32 s41, s41, -1
	s_addk_co_i32 s27, 0x60
	s_cmp_eq_u32 s41, 0
	ds_load_b32 v24, v18
	ds_load_b128 v[20:23], v19
	v_add_nc_u32_e32 v18, 0x60, v18
	s_wait_dscnt 0x0
	v_pk_fma_f32 v[10:11], v[24:25], v[20:21], v[10:11] op_sel_hi:[0,1,1] neg_lo:[1,0,0] neg_hi:[1,0,0]
	v_pk_fma_f32 v[8:9], v[24:25], v[22:23], v[8:9] op_sel_hi:[0,1,1] neg_lo:[1,0,0] neg_hi:[1,0,0]
	s_cbranch_scc0 .LBB30_27
.LBB30_28:                              ;   in Loop: Header=BB30_26 Depth=2
	s_lshl_b32 s27, s11, 2
	s_mul_i32 s41, s11, 0x60
	s_or_b32 s42, s27, 4
	s_add_co_i32 s41, s27, s41
	s_add_co_i32 s10, s10, 16
	v_mov_b32_e32 v24, s41
	s_addk_co_i32 s41, 0x64
	ds_load_b128 v[18:21], v24
	ds_load_2addr_b32 v[22:23], v24 offset0:25 offset1:26
	s_sub_co_i32 s41, s41, s42
	s_delay_alu instid0(SALU_CYCLE_1) | instskip(SKIP_3) | instid1(VALU_DEP_2)
	s_add_co_i32 s27, s41, s27
	s_wait_dscnt 0x1
	v_div_scale_f32 v25, null, v18, v18, v10
	v_div_scale_f32 v28, vcc_lo, v10, v18, v10
	v_rcp_f32_e32 v26, v25
	v_nop
	s_delay_alu instid0(TRANS32_DEP_1) | instskip(NEXT) | instid1(VALU_DEP_1)
	v_fma_f32 v27, -v25, v26, 1.0
	v_fmac_f32_e32 v26, v27, v26
	s_delay_alu instid0(VALU_DEP_1) | instskip(NEXT) | instid1(VALU_DEP_1)
	v_mul_f32_e32 v27, v28, v26
	v_fma_f32 v29, -v25, v27, v28
	s_delay_alu instid0(VALU_DEP_1) | instskip(NEXT) | instid1(VALU_DEP_1)
	v_fmac_f32_e32 v27, v29, v26
	v_fma_f32 v25, -v25, v27, v28
	s_delay_alu instid0(VALU_DEP_1) | instskip(NEXT) | instid1(VALU_DEP_1)
	v_div_fmas_f32 v25, v25, v26, v27
	v_div_fixup_f32 v18, v25, v18, v10
	s_delay_alu instid0(VALU_DEP_1)
	v_dual_fma_f32 v19, -v18, v19, v11 :: v_dual_fma_f32 v8, -v18, v20, v8
	ds_load_b32 v20, v24 offset:300
	v_fma_f32 v9, -v18, v21, v9
	s_wait_dscnt 0x1
	v_div_scale_f32 v25, null, v22, v22, v19
	v_div_scale_f32 v27, vcc_lo, v19, v22, v19
	s_delay_alu instid0(VALU_DEP_2) | instskip(SKIP_1) | instid1(TRANS32_DEP_1)
	v_rcp_f32_e32 v26, v25
	v_nop
	v_fma_f32 v10, -v25, v26, 1.0
	s_delay_alu instid0(VALU_DEP_1) | instskip(NEXT) | instid1(VALU_DEP_1)
	v_fmac_f32_e32 v26, v10, v26
	v_mul_f32_e32 v28, v27, v26
	s_delay_alu instid0(VALU_DEP_1) | instskip(NEXT) | instid1(VALU_DEP_1)
	v_fma_f32 v10, -v25, v28, v27
	v_fmac_f32_e32 v28, v10, v26
	ds_load_b64 v[10:11], v24 offset:200
	v_fma_f32 v25, -v25, v28, v27
	s_delay_alu instid0(VALU_DEP_1) | instskip(NEXT) | instid1(VALU_DEP_1)
	v_div_fmas_f32 v25, v25, v26, v28
	v_div_fixup_f32 v19, v25, v22, v19
	s_delay_alu instid0(VALU_DEP_1) | instskip(SKIP_3) | instid1(VALU_DEP_1)
	v_fma_f32 v8, -v19, v23, v8
	ds_store_2addr_b32 v16, v18, v19 offset1:24
	s_wait_dscnt 0x1
	v_div_scale_f32 v22, null, v10, v10, v8
	v_rcp_f32_e32 v23, v22
	v_nop
	s_delay_alu instid0(TRANS32_DEP_1) | instskip(NEXT) | instid1(VALU_DEP_1)
	v_fma_f32 v24, -v22, v23, 1.0
	v_dual_fmac_f32 v23, v24, v23 :: v_dual_mov_b32 v24, s27
	v_div_scale_f32 v25, vcc_lo, v8, v10, v8
	s_add_co_i32 s27, s11, 4
	s_add_co_i32 s11, s11, 7
	ds_load_b32 v24, v24 offset:12
	v_mul_f32_e32 v26, v25, v23
	s_cmp_ge_i32 s11, s29
	s_delay_alu instid0(VALU_DEP_1) | instskip(NEXT) | instid1(VALU_DEP_1)
	v_fma_f32 v27, -v22, v26, v25
	v_fmac_f32_e32 v26, v27, v23
	s_delay_alu instid0(VALU_DEP_1) | instskip(SKIP_2) | instid1(VALU_DEP_2)
	v_fma_f32 v22, -v22, v26, v25
	s_wait_dscnt 0x0
	v_fma_f32 v9, -v19, v24, v9
	v_div_fmas_f32 v21, v22, v23, v26
	s_delay_alu instid0(VALU_DEP_1) | instskip(NEXT) | instid1(VALU_DEP_1)
	v_div_fixup_f32 v8, v21, v10, v8
	v_fma_f32 v9, -v8, v11, v9
	s_delay_alu instid0(VALU_DEP_1) | instskip(SKIP_1) | instid1(VALU_DEP_2)
	v_div_scale_f32 v10, null, v20, v20, v9
	v_div_scale_f32 v22, vcc_lo, v9, v20, v9
	v_rcp_f32_e32 v11, v10
	v_nop
	s_delay_alu instid0(TRANS32_DEP_1) | instskip(NEXT) | instid1(VALU_DEP_1)
	v_fma_f32 v21, -v10, v11, 1.0
	v_fmac_f32_e32 v11, v21, v11
	s_delay_alu instid0(VALU_DEP_1) | instskip(NEXT) | instid1(VALU_DEP_1)
	v_mul_f32_e32 v21, v22, v11
	v_fma_f32 v23, -v10, v21, v22
	s_delay_alu instid0(VALU_DEP_1) | instskip(NEXT) | instid1(VALU_DEP_1)
	v_fmac_f32_e32 v21, v23, v11
	v_fma_f32 v10, -v10, v21, v22
	s_delay_alu instid0(VALU_DEP_1) | instskip(NEXT) | instid1(VALU_DEP_1)
	v_div_fmas_f32 v10, v10, v11, v21
	v_div_fixup_f32 v9, v10, v20, v9
	ds_store_b32 v16, v8 offset:192
	ds_store_b32 v17, v9
	s_cbranch_scc1 .LBB30_30
; %bb.29:                               ;   in Loop: Header=BB30_26 Depth=2
	s_mov_b32 s11, s27
	s_branch .LBB30_26
.LBB30_30:                              ;   in Loop: Header=BB30_3 Depth=1
	s_cmp_ge_i32 s27, s29
	s_cbranch_scc1 .LBB30_35
; %bb.31:                               ;   in Loop: Header=BB30_3 Depth=1
	s_lshl_b32 s10, s27, 2
	s_branch .LBB30_33
.LBB30_32:                              ;   in Loop: Header=BB30_33 Depth=2
	s_lshl_b32 s41, s27, 2
	s_add_co_i32 s27, s27, 1
	s_add_co_i32 s11, s41, s11
	;; [unrolled: 1-line block ×3, first 2 shown]
	v_mov_b32_e32 v10, s11
	s_cmp_ge_i32 s27, s29
	ds_load_b32 v10, v10
	s_wait_dscnt 0x0
	v_div_scale_f32 v11, null, v10, v10, v9
	s_delay_alu instid0(VALU_DEP_1) | instskip(SKIP_1) | instid1(TRANS32_DEP_1)
	v_rcp_f32_e32 v16, v11
	v_nop
	v_fma_f32 v17, -v11, v16, 1.0
	s_delay_alu instid0(VALU_DEP_1) | instskip(SKIP_1) | instid1(VALU_DEP_1)
	v_fmac_f32_e32 v16, v17, v16
	v_div_scale_f32 v17, vcc_lo, v9, v10, v9
	v_mul_f32_e32 v18, v17, v16
	s_delay_alu instid0(VALU_DEP_1) | instskip(NEXT) | instid1(VALU_DEP_1)
	v_fma_f32 v19, -v11, v18, v17
	v_fmac_f32_e32 v18, v19, v16
	s_delay_alu instid0(VALU_DEP_1) | instskip(NEXT) | instid1(VALU_DEP_1)
	v_fma_f32 v11, -v11, v18, v17
	v_div_fmas_f32 v11, v11, v16, v18
	s_delay_alu instid0(VALU_DEP_1)
	v_div_fixup_f32 v9, v11, v10, v9
	ds_store_b32 v8, v9
	s_cbranch_scc1 .LBB30_35
.LBB30_33:                              ;   Parent Loop BB30_3 Depth=1
                                        ; =>  This Loop Header: Depth=2
                                        ;       Child Loop BB30_34 Depth 3
	s_mul_i32 s11, s27, 0x60
	s_cmp_eq_u32 s27, 0
	v_dual_add_nc_u32 v8, s11, v12 :: v_dual_mov_b32 v10, v12
	s_mov_b32 s41, s10
	s_mov_b32 s42, s27
	ds_load_b32 v9, v8
	s_cbranch_scc1 .LBB30_32
.LBB30_34:                              ;   Parent Loop BB30_3 Depth=1
                                        ;     Parent Loop BB30_33 Depth=2
                                        ; =>    This Inner Loop Header: Depth=3
	v_mov_b32_e32 v11, s41
	s_add_co_i32 s42, s42, -1
	s_addk_co_i32 s41, 0x60
	s_cmp_eq_u32 s42, 0
	ds_load_b32 v16, v10
	ds_load_b32 v11, v11
	v_add_nc_u32_e32 v10, 0x60, v10
	s_wait_dscnt 0x0
	v_fma_f32 v9, -v16, v11, v9
	s_cbranch_scc0 .LBB30_34
	s_branch .LBB30_32
.LBB30_35:                              ;   in Loop: Header=BB30_3 Depth=1
	s_mov_b32 s10, 0
.LBB30_36:                              ;   in Loop: Header=BB30_3 Depth=1
	s_delay_alu instid0(SALU_CYCLE_1)
	s_and_b32 vcc_lo, exec_lo, s10
	s_cbranch_vccz .LBB30_56
; %bb.37:                               ;   in Loop: Header=BB30_3 Depth=1
	s_mov_b32 s27, s30
	s_and_not1_b32 vcc_lo, exec_lo, s34
	s_mov_b32 s10, s18
	s_mov_b32 s11, s30
	s_cbranch_vccnz .LBB30_43
.LBB30_38:                              ;   Parent Loop BB30_3 Depth=1
                                        ; =>  This Loop Header: Depth=2
                                        ;       Child Loop BB30_39 Depth 3
	s_mul_i32 s27, s11, 0x60
	s_mov_b32 s41, s10
	v_add_nc_u32_e32 v16, s27, v12
	s_addk_co_i32 s27, 0xfee0
	s_cmp_le_i32 s30, s11
	v_add_nc_u32_e32 v19, s27, v12
	s_mov_b32 s42, s30
	v_dual_mov_b32 v20, v14 :: v_dual_add_nc_u32 v17, 0xffffffa0, v16
	v_add_nc_u32_e32 v18, 0xffffff40, v16
	ds_load_b32 v11, v16
	ds_load_b32 v10, v17
	;; [unrolled: 1-line block ×4, first 2 shown]
	s_cbranch_scc1 .LBB30_40
.LBB30_39:                              ;   Parent Loop BB30_3 Depth=1
                                        ;     Parent Loop BB30_38 Depth=2
                                        ; =>    This Inner Loop Header: Depth=3
	v_mov_b32_e32 v21, s41
	s_add_co_i32 s42, s42, -1
	s_addk_co_i32 s41, 0xffa0
	s_cmp_le_i32 s42, s11
	ds_load_b32 v22, v20
	ds_load_2addr_b32 v[24:25], v21 offset0:2 offset1:3
	ds_load_2addr_b32 v[26:27], v21 offset1:1
	v_add_nc_u32_e32 v20, 0xffffffa0, v20
	s_wait_dscnt 0x1
	v_pk_fma_f32 v[10:11], v[22:23], v[24:25], v[10:11] op_sel_hi:[0,1,1] neg_lo:[1,0,0] neg_hi:[1,0,0]
	s_wait_dscnt 0x0
	v_pk_fma_f32 v[8:9], v[22:23], v[26:27], v[8:9] op_sel_hi:[0,1,1] neg_lo:[1,0,0] neg_hi:[1,0,0]
	s_cbranch_scc0 .LBB30_39
.LBB30_40:                              ;   in Loop: Header=BB30_38 Depth=2
	s_add_co_i32 s41, s11, -3
; %bb.41:                               ;   in Loop: Header=BB30_38 Depth=2
	s_mul_i32 s42, s11, 0x64
	s_lshl_b32 s41, s41, 2
	s_add_co_i32 s43, s42, -4
	s_add_co_i32 s42, s42, -12
	v_mov_b32_e32 v20, s43
	s_add_co_i32 s43, s11, -1
	s_add_co_i32 s27, s41, s27
	s_lshl_b32 s44, s43, 2
	s_mulk_i32 s43, 0x60
	s_add_co_i32 s10, s10, -16
	s_add_co_i32 s44, s44, s43
	s_add_co_i32 s43, s41, s43
	v_mov_b32_e32 v22, s44
	ds_load_2addr_b32 v[20:21], v20 offset1:1
	v_dual_mov_b32 v23, s42 :: v_dual_mov_b32 v24, s43
	s_lshl_b32 s42, s11, 2
	ds_load_b32 v26, v22
	ds_load_2addr_b32 v[22:23], v23 offset1:1
	ds_load_2addr_b32 v[24:25], v24 offset1:1
	s_sub_co_i32 s42, s44, s42
	s_delay_alu instid0(SALU_CYCLE_1) | instskip(NEXT) | instid1(SALU_CYCLE_1)
	s_add_co_i32 s42, s42, s41
	s_addk_co_i32 s42, 0xffa4
	s_wait_dscnt 0x3
	v_div_scale_f32 v27, null, v21, v21, v11
	v_div_scale_f32 v30, vcc_lo, v11, v21, v11
	s_delay_alu instid0(VALU_DEP_2) | instskip(SKIP_1) | instid1(TRANS32_DEP_1)
	v_rcp_f32_e32 v28, v27
	v_nop
	v_fma_f32 v29, -v27, v28, 1.0
	s_delay_alu instid0(VALU_DEP_1) | instskip(NEXT) | instid1(VALU_DEP_1)
	v_fmac_f32_e32 v28, v29, v28
	v_mul_f32_e32 v29, v30, v28
	s_delay_alu instid0(VALU_DEP_1) | instskip(NEXT) | instid1(VALU_DEP_1)
	v_fma_f32 v31, -v27, v29, v30
	v_fmac_f32_e32 v29, v31, v28
	s_delay_alu instid0(VALU_DEP_1) | instskip(NEXT) | instid1(VALU_DEP_1)
	v_fma_f32 v27, -v27, v29, v30
	v_div_fmas_f32 v27, v27, v28, v29
	s_delay_alu instid0(VALU_DEP_1) | instskip(NEXT) | instid1(VALU_DEP_1)
	v_div_fixup_f32 v21, v27, v21, v11
	v_dual_mov_b32 v11, s42 :: v_dual_fma_f32 v20, -v21, v20, v10
	s_wait_dscnt 0x1
	v_dual_fma_f32 v8, -v21, v22, v8 :: v_dual_fma_f32 v9, -v21, v23, v9
	v_mov_b32_e32 v23, s27
	s_add_co_i32 s27, s11, -4
	v_div_scale_f32 v27, null, v26, v26, v20
	v_div_scale_f32 v29, vcc_lo, v20, v26, v20
	s_cmp_lt_i32 s11, 7
	v_rcp_f32_e32 v28, v27
	ds_load_b32 v23, v23
	v_nop
	v_fma_f32 v10, -v27, v28, 1.0
	s_delay_alu instid0(VALU_DEP_1) | instskip(NEXT) | instid1(VALU_DEP_1)
	v_fmac_f32_e32 v28, v10, v28
	v_mul_f32_e32 v30, v29, v28
	s_delay_alu instid0(VALU_DEP_1) | instskip(NEXT) | instid1(VALU_DEP_1)
	v_fma_f32 v10, -v27, v30, v29
	v_fmac_f32_e32 v30, v10, v28
	ds_load_2addr_b32 v[10:11], v11 offset1:1
	v_fma_f32 v27, -v27, v30, v29
	s_delay_alu instid0(VALU_DEP_1) | instskip(NEXT) | instid1(VALU_DEP_1)
	v_div_fmas_f32 v27, v27, v28, v30
	v_div_fixup_f32 v20, v27, v26, v20
	s_wait_dscnt 0x2
	s_delay_alu instid0(VALU_DEP_1) | instskip(SKIP_1) | instid1(VALU_DEP_1)
	v_dual_fma_f32 v9, -v20, v25, v9 :: v_dual_fma_f32 v8, -v20, v24, v8
	s_wait_dscnt 0x0
	v_div_scale_f32 v25, null, v11, v11, v9
	s_delay_alu instid0(VALU_DEP_1) | instskip(SKIP_1) | instid1(TRANS32_DEP_1)
	v_rcp_f32_e32 v26, v25
	v_nop
	v_fma_f32 v27, -v25, v26, 1.0
	s_delay_alu instid0(VALU_DEP_1) | instskip(SKIP_1) | instid1(VALU_DEP_1)
	v_fmac_f32_e32 v26, v27, v26
	v_div_scale_f32 v28, vcc_lo, v9, v11, v9
	v_mul_f32_e32 v27, v28, v26
	s_delay_alu instid0(VALU_DEP_1) | instskip(NEXT) | instid1(VALU_DEP_1)
	v_fma_f32 v29, -v25, v27, v28
	v_fmac_f32_e32 v27, v29, v26
	s_delay_alu instid0(VALU_DEP_1) | instskip(NEXT) | instid1(VALU_DEP_1)
	v_fma_f32 v25, -v25, v27, v28
	v_div_fmas_f32 v22, v25, v26, v27
	s_delay_alu instid0(VALU_DEP_1) | instskip(NEXT) | instid1(VALU_DEP_1)
	v_div_fixup_f32 v9, v22, v11, v9
	v_fma_f32 v8, -v9, v10, v8
	s_delay_alu instid0(VALU_DEP_1) | instskip(SKIP_1) | instid1(VALU_DEP_2)
	v_div_scale_f32 v10, null, v23, v23, v8
	v_div_scale_f32 v24, vcc_lo, v8, v23, v8
	v_rcp_f32_e32 v11, v10
	v_nop
	s_delay_alu instid0(TRANS32_DEP_1) | instskip(NEXT) | instid1(VALU_DEP_1)
	v_fma_f32 v22, -v10, v11, 1.0
	v_fmac_f32_e32 v11, v22, v11
	s_delay_alu instid0(VALU_DEP_1) | instskip(NEXT) | instid1(VALU_DEP_1)
	v_mul_f32_e32 v22, v24, v11
	v_fma_f32 v25, -v10, v22, v24
	s_delay_alu instid0(VALU_DEP_1) | instskip(NEXT) | instid1(VALU_DEP_1)
	v_fmac_f32_e32 v22, v25, v11
	v_fma_f32 v10, -v10, v22, v24
	s_delay_alu instid0(VALU_DEP_1) | instskip(NEXT) | instid1(VALU_DEP_1)
	v_div_fmas_f32 v10, v10, v11, v22
	v_div_fixup_f32 v8, v10, v23, v8
	ds_store_b32 v16, v21
	ds_store_b32 v17, v20
	;; [unrolled: 1-line block ×4, first 2 shown]
	s_cbranch_scc1 .LBB30_43
; %bb.42:                               ;   in Loop: Header=BB30_38 Depth=2
	s_mov_b32 s11, s27
	s_branch .LBB30_38
.LBB30_43:                              ;   in Loop: Header=BB30_3 Depth=1
	s_cmp_lt_i32 s27, 0
	s_cbranch_scc1 .LBB30_56
; %bb.44:                               ;   in Loop: Header=BB30_3 Depth=1
	s_bitcmp1_b32 s27, 0
	s_cselect_b32 s10, -1, 0
	s_delay_alu instid0(SALU_CYCLE_1)
	s_and_b32 vcc_lo, exec_lo, s10
	s_mov_b32 s10, s27
	s_cbranch_vccnz .LBB30_49
; %bb.45:                               ;   in Loop: Header=BB30_3 Depth=1
	s_mul_i32 s10, s27, 0x60
	s_cmp_le_i32 s30, s27
	v_add_nc_u32_e32 v8, s10, v12
	ds_load_b32 v9, v8
	s_cbranch_scc1 .LBB30_48
; %bb.46:                               ;   in Loop: Header=BB30_3 Depth=1
	v_mov_b32_e32 v10, v14
	s_lshl_b32 s11, s27, 2
	s_mov_b32 s41, s30
	s_add_co_i32 s11, s19, s11
.LBB30_47:                              ;   Parent Loop BB30_3 Depth=1
                                        ; =>  This Inner Loop Header: Depth=2
	s_delay_alu instid0(SALU_CYCLE_1)
	v_mov_b32_e32 v11, s11
	s_add_co_i32 s41, s41, -1
	s_addk_co_i32 s11, 0xffa0
	s_cmp_gt_i32 s41, s27
	ds_load_b32 v16, v10
	ds_load_b32 v11, v11
	v_add_nc_u32_e32 v10, 0xffffffa0, v10
	s_wait_dscnt 0x0
	v_fma_f32 v9, -v16, v11, v9
	s_cbranch_scc1 .LBB30_47
.LBB30_48:                              ;   in Loop: Header=BB30_3 Depth=1
	s_lshl_b32 s11, s27, 2
	s_delay_alu instid0(SALU_CYCLE_1) | instskip(NEXT) | instid1(SALU_CYCLE_1)
	s_add_co_i32 s10, s11, s10
	v_mov_b32_e32 v10, s10
	s_add_co_i32 s10, s27, -1
	ds_load_b32 v10, v10
	s_wait_dscnt 0x0
	v_div_scale_f32 v11, null, v10, v10, v9
	s_delay_alu instid0(VALU_DEP_1) | instskip(SKIP_1) | instid1(TRANS32_DEP_1)
	v_rcp_f32_e32 v16, v11
	v_nop
	v_fma_f32 v17, -v11, v16, 1.0
	s_delay_alu instid0(VALU_DEP_1) | instskip(SKIP_1) | instid1(VALU_DEP_1)
	v_fmac_f32_e32 v16, v17, v16
	v_div_scale_f32 v17, vcc_lo, v9, v10, v9
	v_mul_f32_e32 v18, v17, v16
	s_delay_alu instid0(VALU_DEP_1) | instskip(NEXT) | instid1(VALU_DEP_1)
	v_fma_f32 v19, -v11, v18, v17
	v_fmac_f32_e32 v18, v19, v16
	s_delay_alu instid0(VALU_DEP_1) | instskip(NEXT) | instid1(VALU_DEP_1)
	v_fma_f32 v11, -v11, v18, v17
	v_div_fmas_f32 v11, v11, v16, v18
	s_delay_alu instid0(VALU_DEP_1)
	v_div_fixup_f32 v9, v11, v10, v9
	ds_store_b32 v8, v9
.LBB30_49:                              ;   in Loop: Header=BB30_3 Depth=1
	s_cmp_eq_u32 s27, 0
	s_cbranch_scc1 .LBB30_56
; %bb.50:                               ;   in Loop: Header=BB30_3 Depth=1
	s_lshl_b32 s27, s10, 2
	s_delay_alu instid0(SALU_CYCLE_1)
	s_add_co_i32 s11, s19, s27
	s_add_co_i32 s27, s22, s27
	s_branch .LBB30_52
.LBB30_51:                              ;   in Loop: Header=BB30_52 Depth=2
	s_addk_co_i32 s41, 0xff9c
	s_add_co_i32 s11, s11, -8
	v_mov_b32_e32 v8, s41
	s_add_co_i32 s41, s10, -2
	s_add_co_i32 s27, s27, -8
	s_cmp_lt_i32 s10, 2
	s_mov_b32 s10, s41
	ds_load_b32 v8, v8
	s_wait_dscnt 0x0
	v_div_scale_f32 v10, null, v8, v8, v11
	v_div_scale_f32 v18, vcc_lo, v11, v8, v11
	s_delay_alu instid0(VALU_DEP_2) | instskip(SKIP_1) | instid1(TRANS32_DEP_1)
	v_rcp_f32_e32 v16, v10
	v_nop
	v_fma_f32 v17, -v10, v16, 1.0
	s_delay_alu instid0(VALU_DEP_1) | instskip(NEXT) | instid1(VALU_DEP_1)
	v_fmac_f32_e32 v16, v17, v16
	v_mul_f32_e32 v17, v18, v16
	s_delay_alu instid0(VALU_DEP_1) | instskip(NEXT) | instid1(VALU_DEP_1)
	v_fma_f32 v19, -v10, v17, v18
	v_fmac_f32_e32 v17, v19, v16
	s_delay_alu instid0(VALU_DEP_1) | instskip(NEXT) | instid1(VALU_DEP_1)
	v_fma_f32 v10, -v10, v17, v18
	v_div_fmas_f32 v10, v10, v16, v17
	s_delay_alu instid0(VALU_DEP_1)
	v_div_fixup_f32 v8, v10, v8, v11
	ds_store_b32 v9, v8
	s_cbranch_scc1 .LBB30_56
.LBB30_52:                              ;   Parent Loop BB30_3 Depth=1
                                        ; =>  This Loop Header: Depth=2
                                        ;       Child Loop BB30_53 Depth 3
                                        ;       Child Loop BB30_55 Depth 3
	s_mul_i32 s42, s10, 0x60
	s_cmp_le_i32 s30, s10
	v_dual_mov_b32 v9, v14 :: v_dual_add_nc_u32 v8, s42, v12
	s_mov_b32 s41, s11
	s_mov_b32 s43, s30
	ds_load_b32 v10, v8
	s_cbranch_scc1 .LBB30_54
.LBB30_53:                              ;   Parent Loop BB30_3 Depth=1
                                        ;     Parent Loop BB30_52 Depth=2
                                        ; =>    This Inner Loop Header: Depth=3
	v_mov_b32_e32 v11, s41
	s_add_co_i32 s43, s43, -1
	s_addk_co_i32 s41, 0xffa0
	s_cmp_le_i32 s43, s10
	ds_load_b32 v16, v9
	ds_load_b32 v11, v11
	v_add_nc_u32_e32 v9, 0xffffffa0, v9
	s_wait_dscnt 0x0
	v_fma_f32 v10, -v16, v11, v10
	s_cbranch_scc0 .LBB30_53
.LBB30_54:                              ;   in Loop: Header=BB30_52 Depth=2
	s_lshl_b32 s41, s10, 2
	s_mov_b32 s43, s29
	s_add_co_i32 s41, s41, s42
	s_addk_co_i32 s42, 0xffa0
	v_mov_b32_e32 v9, s41
	s_cmp_le_i32 s29, s10
	ds_load_b32 v16, v9
	s_wait_dscnt 0x0
	v_div_scale_f32 v17, null, v16, v16, v10
	s_delay_alu instid0(VALU_DEP_1) | instskip(SKIP_1) | instid1(TRANS32_DEP_1)
	v_rcp_f32_e32 v18, v17
	v_nop
	v_fma_f32 v19, -v17, v18, 1.0
	s_delay_alu instid0(VALU_DEP_1) | instskip(SKIP_3) | instid1(VALU_DEP_2)
	v_fmac_f32_e32 v18, v19, v18
	v_div_scale_f32 v19, vcc_lo, v10, v16, v10
	v_add_nc_u32_e32 v9, s42, v12
	s_mov_b32 s42, s27
	v_mul_f32_e32 v20, v19, v18
	ds_load_b32 v11, v9
	v_fma_f32 v21, -v17, v20, v19
	s_delay_alu instid0(VALU_DEP_1) | instskip(NEXT) | instid1(VALU_DEP_1)
	v_fmac_f32_e32 v20, v21, v18
	v_fma_f32 v17, -v17, v20, v19
	s_delay_alu instid0(VALU_DEP_1) | instskip(NEXT) | instid1(VALU_DEP_1)
	v_div_fmas_f32 v17, v17, v18, v20
	v_div_fixup_f32 v16, v17, v16, v10
	v_mov_b32_e32 v10, v14
	ds_store_b32 v8, v16
	s_cbranch_scc1 .LBB30_51
.LBB30_55:                              ;   Parent Loop BB30_3 Depth=1
                                        ;     Parent Loop BB30_52 Depth=2
                                        ; =>    This Inner Loop Header: Depth=3
	v_mov_b32_e32 v8, s42
	s_add_co_i32 s43, s43, -1
	s_addk_co_i32 s42, 0xffa0
	s_cmp_gt_i32 s43, s10
	ds_load_b32 v16, v10
	ds_load_b32 v8, v8
	v_add_nc_u32_e32 v10, 0xffffffa0, v10
	s_wait_dscnt 0x0
	v_fma_f32 v11, -v16, v8, v11
	s_cbranch_scc1 .LBB30_55
	s_branch .LBB30_51
.LBB30_56:                              ;   in Loop: Header=BB30_3 Depth=1
	s_mov_b32 s10, 0
.LBB30_57:                              ;   in Loop: Header=BB30_3 Depth=1
	s_delay_alu instid0(SALU_CYCLE_1)
	s_and_not1_b32 vcc_lo, exec_lo, s10
	s_cbranch_vccnz .LBB30_76
; %bb.58:                               ;   in Loop: Header=BB30_3 Depth=1
	s_mov_b32 s27, s30
	s_and_not1_b32 vcc_lo, exec_lo, s34
	s_mov_b32 s10, s23
	s_mov_b32 s11, s30
	s_cbranch_vccnz .LBB30_63
.LBB30_59:                              ;   Parent Loop BB30_3 Depth=1
                                        ; =>  This Loop Header: Depth=2
                                        ;       Child Loop BB30_60 Depth 3
	s_mul_i32 s27, s11, 24
	s_cmp_le_i32 s30, s11
	v_lshl_add_u32 v16, s27, 2, v12
	s_mov_b32 s41, s10
	s_mov_b32 s42, s30
	s_delay_alu instid0(VALU_DEP_1)
	v_dual_mov_b32 v20, v14 :: v_dual_add_nc_u32 v17, 0xffffffa0, v16
	v_add_nc_u32_e32 v18, 0xffffff40, v16
	v_add_nc_u32_e32 v19, 0xfffffee0, v16
	ds_load_b32 v10, v16
	ds_load_b32 v11, v17
	;; [unrolled: 1-line block ×4, first 2 shown]
	s_cbranch_scc1 .LBB30_61
.LBB30_60:                              ;   Parent Loop BB30_3 Depth=1
                                        ;     Parent Loop BB30_59 Depth=2
                                        ; =>    This Inner Loop Header: Depth=3
	v_mov_b32_e32 v21, s41
	s_add_co_i32 s42, s42, -1
	s_add_co_i32 s41, s41, -4
	s_cmp_le_i32 s42, s11
	ds_load_2addr_b32 v[22:23], v21 offset0:48 offset1:72
	ds_load_2addr_b32 v[24:25], v21 offset1:24
	ds_load_b32 v26, v20
	v_add_nc_u32_e32 v20, 0xffffffa0, v20
	s_wait_dscnt 0x2
	v_dual_mov_b32 v28, v23 :: v_dual_mov_b32 v29, v22
	s_wait_dscnt 0x1
	v_dual_mov_b32 v22, v25 :: v_dual_mov_b32 v23, v24
	s_wait_dscnt 0x0
	s_delay_alu instid0(VALU_DEP_2) | instskip(NEXT) | instid1(VALU_DEP_2)
	v_pk_fma_f32 v[10:11], v[26:27], v[28:29], v[10:11] op_sel_hi:[0,1,1] neg_lo:[1,0,0] neg_hi:[1,0,0]
	v_pk_fma_f32 v[8:9], v[26:27], v[22:23], v[8:9] op_sel_hi:[0,1,1] neg_lo:[1,0,0] neg_hi:[1,0,0]
	s_cbranch_scc0 .LBB30_60
.LBB30_61:                              ;   in Loop: Header=BB30_59 Depth=2
	s_mul_i32 s41, s11, 0x64
	s_lshl_b32 s27, s27, 2
	v_mov_b32_e32 v20, s41
	s_lshl_b32 s41, s11, 2
	s_addk_co_i32 s10, 0xfe80
	s_add_co_i32 s27, s27, s41
	s_delay_alu instid0(SALU_CYCLE_1) | instskip(SKIP_4) | instid1(SALU_CYCLE_1)
	s_add_co_i32 s42, s27, 0xffffff40
	s_add_co_i32 s41, s27, 0xffffff9c
	v_mov_b32_e32 v22, s42
	ds_load_b32 v24, v20
	s_add_co_i32 s43, s27, 0xffffff38
	v_dual_mov_b32 v20, s41 :: v_dual_mov_b32 v23, s43
	ds_load_2addr_b32 v[20:21], v20 offset1:1
	ds_load_b32 v25, v22
	ds_load_2addr_b32 v[22:23], v23 offset1:1
	s_add_co_i32 s41, s27, 0xfffffedc
	s_addk_co_i32 s27, 0xfed4
	s_wait_dscnt 0x3
	v_div_scale_f32 v26, null, v24, v24, v10
	v_div_scale_f32 v29, vcc_lo, v10, v24, v10
	s_delay_alu instid0(VALU_DEP_2) | instskip(SKIP_1) | instid1(TRANS32_DEP_1)
	v_rcp_f32_e32 v27, v26
	v_nop
	v_fma_f32 v28, -v26, v27, 1.0
	s_delay_alu instid0(VALU_DEP_1) | instskip(NEXT) | instid1(VALU_DEP_1)
	v_fmac_f32_e32 v27, v28, v27
	v_mul_f32_e32 v28, v29, v27
	s_delay_alu instid0(VALU_DEP_1) | instskip(NEXT) | instid1(VALU_DEP_1)
	v_fma_f32 v30, -v26, v28, v29
	v_fmac_f32_e32 v28, v30, v27
	s_delay_alu instid0(VALU_DEP_1) | instskip(NEXT) | instid1(VALU_DEP_1)
	v_fma_f32 v26, -v26, v28, v29
	v_div_fmas_f32 v26, v26, v27, v28
	s_delay_alu instid0(VALU_DEP_1) | instskip(SKIP_1) | instid1(VALU_DEP_1)
	v_div_fixup_f32 v24, v26, v24, v10
	s_wait_dscnt 0x2
	v_fma_f32 v10, -v24, v21, v11
	s_wait_dscnt 0x1
	v_fma_f32 v8, -v24, v25, v8
	s_delay_alu instid0(VALU_DEP_2) | instskip(SKIP_1) | instid1(VALU_DEP_2)
	v_div_scale_f32 v11, null, v20, v20, v10
	v_div_scale_f32 v27, vcc_lo, v10, v20, v10
	v_rcp_f32_e32 v21, v11
	v_nop
	s_delay_alu instid0(TRANS32_DEP_1) | instskip(NEXT) | instid1(VALU_DEP_1)
	v_fma_f32 v26, -v11, v21, 1.0
	v_fmac_f32_e32 v21, v26, v21
	s_delay_alu instid0(VALU_DEP_1) | instskip(NEXT) | instid1(VALU_DEP_1)
	v_mul_f32_e32 v26, v27, v21
	v_fma_f32 v28, -v11, v26, v27
	s_delay_alu instid0(VALU_DEP_1) | instskip(NEXT) | instid1(VALU_DEP_1)
	v_fmac_f32_e32 v26, v28, v21
	v_fma_f32 v11, -v11, v26, v27
	s_delay_alu instid0(VALU_DEP_1) | instskip(NEXT) | instid1(VALU_DEP_1)
	v_div_fmas_f32 v11, v11, v21, v26
	v_div_fixup_f32 v25, v11, v20, v10
	s_wait_dscnt 0x0
	s_delay_alu instid0(VALU_DEP_1) | instskip(NEXT) | instid1(VALU_DEP_1)
	v_fma_f32 v8, -v25, v23, v8
	v_div_scale_f32 v23, null, v22, v22, v8
	v_div_scale_f32 v27, vcc_lo, v8, v22, v8
	s_delay_alu instid0(VALU_DEP_2) | instskip(SKIP_1) | instid1(TRANS32_DEP_1)
	v_rcp_f32_e32 v26, v23
	v_nop
	v_fma_f32 v10, -v23, v26, 1.0
	s_delay_alu instid0(VALU_DEP_1) | instskip(NEXT) | instid1(VALU_DEP_1)
	v_dual_fmac_f32 v26, v10, v26 :: v_dual_mov_b32 v11, s41
	v_mul_f32_e32 v28, v27, v26
	ds_load_2addr_b32 v[10:11], v11 offset1:1
	v_mov_b32_e32 v20, s27
	s_add_co_i32 s27, s11, -4
	s_cmp_lt_i32 s11, 7
	v_fma_f32 v29, -v23, v28, v27
	ds_load_2addr_b32 v[20:21], v20 offset1:1
	s_wait_dscnt 0x1
	v_dual_fmac_f32 v28, v29, v26 :: v_dual_fma_f32 v9, -v24, v11, v9
	s_delay_alu instid0(VALU_DEP_1) | instskip(NEXT) | instid1(VALU_DEP_1)
	v_dual_fma_f32 v23, -v23, v28, v27 :: v_dual_fma_f32 v9, -v25, v10, v9
	v_div_fmas_f32 v11, v23, v26, v28
	s_delay_alu instid0(VALU_DEP_1) | instskip(SKIP_1) | instid1(VALU_DEP_1)
	v_div_fixup_f32 v8, v11, v22, v8
	s_wait_dscnt 0x0
	v_fma_f32 v9, -v8, v21, v9
	s_delay_alu instid0(VALU_DEP_1) | instskip(NEXT) | instid1(VALU_DEP_1)
	v_div_scale_f32 v10, null, v20, v20, v9
	v_rcp_f32_e32 v11, v10
	v_nop
	s_delay_alu instid0(TRANS32_DEP_1) | instskip(NEXT) | instid1(VALU_DEP_1)
	v_fma_f32 v21, -v10, v11, 1.0
	v_fmac_f32_e32 v11, v21, v11
	v_div_scale_f32 v22, vcc_lo, v9, v20, v9
	s_delay_alu instid0(VALU_DEP_1) | instskip(NEXT) | instid1(VALU_DEP_1)
	v_mul_f32_e32 v21, v22, v11
	v_fma_f32 v23, -v10, v21, v22
	s_delay_alu instid0(VALU_DEP_1) | instskip(NEXT) | instid1(VALU_DEP_1)
	v_fmac_f32_e32 v21, v23, v11
	v_fma_f32 v10, -v10, v21, v22
	s_delay_alu instid0(VALU_DEP_1) | instskip(NEXT) | instid1(VALU_DEP_1)
	v_div_fmas_f32 v10, v10, v11, v21
	v_div_fixup_f32 v9, v10, v20, v9
	ds_store_b32 v16, v24
	ds_store_b32 v17, v25
	;; [unrolled: 1-line block ×4, first 2 shown]
	s_cbranch_scc1 .LBB30_63
; %bb.62:                               ;   in Loop: Header=BB30_59 Depth=2
	s_mov_b32 s11, s27
	s_branch .LBB30_59
.LBB30_63:                              ;   in Loop: Header=BB30_3 Depth=1
	s_cmp_lt_i32 s27, 0
	s_cbranch_scc1 .LBB30_76
; %bb.64:                               ;   in Loop: Header=BB30_3 Depth=1
	s_bitcmp1_b32 s27, 0
	s_cselect_b32 s10, -1, 0
	s_delay_alu instid0(SALU_CYCLE_1)
	s_and_b32 vcc_lo, exec_lo, s10
	s_mov_b32 s10, s27
	s_cbranch_vccnz .LBB30_69
; %bb.65:                               ;   in Loop: Header=BB30_3 Depth=1
	v_mad_u32 v8, 0x60, s27, v12
	s_cmp_le_i32 s30, s27
	ds_load_b32 v9, v8
	s_cbranch_scc1 .LBB30_68
; %bb.66:                               ;   in Loop: Header=BB30_3 Depth=1
	v_mov_b32_e32 v10, v14
	s_mul_i32 s10, s27, 0x60
	s_mov_b32 s11, s30
	s_add_co_i32 s10, s24, s10
.LBB30_67:                              ;   Parent Loop BB30_3 Depth=1
                                        ; =>  This Inner Loop Header: Depth=2
	s_delay_alu instid0(SALU_CYCLE_1)
	v_mov_b32_e32 v11, s10
	s_add_co_i32 s11, s11, -1
	s_add_co_i32 s10, s10, -4
	s_cmp_gt_u32 s11, s27
	ds_load_b32 v16, v10
	ds_load_b32 v11, v11
	v_add_nc_u32_e32 v10, 0xffffffa0, v10
	s_wait_dscnt 0x0
	v_fma_f32 v9, -v16, v11, v9
	s_cbranch_scc1 .LBB30_67
.LBB30_68:                              ;   in Loop: Header=BB30_3 Depth=1
	s_mul_i32 s10, s27, 0x64
	s_delay_alu instid0(SALU_CYCLE_1) | instskip(SKIP_4) | instid1(VALU_DEP_1)
	v_mov_b32_e32 v10, s10
	s_add_co_i32 s10, s27, -1
	ds_load_b32 v10, v10
	s_wait_dscnt 0x0
	v_div_scale_f32 v11, null, v10, v10, v9
	v_rcp_f32_e32 v16, v11
	v_nop
	s_delay_alu instid0(TRANS32_DEP_1) | instskip(NEXT) | instid1(VALU_DEP_1)
	v_fma_f32 v17, -v11, v16, 1.0
	v_fmac_f32_e32 v16, v17, v16
	v_div_scale_f32 v17, vcc_lo, v9, v10, v9
	s_delay_alu instid0(VALU_DEP_1) | instskip(NEXT) | instid1(VALU_DEP_1)
	v_mul_f32_e32 v18, v17, v16
	v_fma_f32 v19, -v11, v18, v17
	s_delay_alu instid0(VALU_DEP_1) | instskip(NEXT) | instid1(VALU_DEP_1)
	v_fmac_f32_e32 v18, v19, v16
	v_fma_f32 v11, -v11, v18, v17
	s_delay_alu instid0(VALU_DEP_1) | instskip(NEXT) | instid1(VALU_DEP_1)
	v_div_fmas_f32 v11, v11, v16, v18
	v_div_fixup_f32 v9, v11, v10, v9
	ds_store_b32 v8, v9
.LBB30_69:                              ;   in Loop: Header=BB30_3 Depth=1
	s_cmp_eq_u32 s27, 0
	s_cbranch_scc1 .LBB30_76
; %bb.70:                               ;   in Loop: Header=BB30_3 Depth=1
	s_mul_i32 s27, s10, 0x60
	s_delay_alu instid0(SALU_CYCLE_1)
	s_add_co_i32 s11, s24, s27
	s_add_co_i32 s27, s25, s27
	s_branch .LBB30_72
.LBB30_71:                              ;   in Loop: Header=BB30_72 Depth=2
	s_addk_co_i32 s41, 0xff9c
	s_add_co_i32 s10, s10, -2
	v_mov_b32_e32 v8, s41
	s_addk_co_i32 s11, 0xff40
	s_addk_co_i32 s27, 0xff40
	s_cmp_eq_u32 s42, 0
	ds_load_b32 v8, v8
	s_wait_dscnt 0x0
	v_div_scale_f32 v10, null, v8, v8, v11
	v_div_scale_f32 v18, vcc_lo, v11, v8, v11
	s_delay_alu instid0(VALU_DEP_2) | instskip(SKIP_1) | instid1(TRANS32_DEP_1)
	v_rcp_f32_e32 v16, v10
	v_nop
	v_fma_f32 v17, -v10, v16, 1.0
	s_delay_alu instid0(VALU_DEP_1) | instskip(NEXT) | instid1(VALU_DEP_1)
	v_fmac_f32_e32 v16, v17, v16
	v_mul_f32_e32 v17, v18, v16
	s_delay_alu instid0(VALU_DEP_1) | instskip(NEXT) | instid1(VALU_DEP_1)
	v_fma_f32 v19, -v10, v17, v18
	v_fmac_f32_e32 v17, v19, v16
	s_delay_alu instid0(VALU_DEP_1) | instskip(NEXT) | instid1(VALU_DEP_1)
	v_fma_f32 v10, -v10, v17, v18
	v_div_fmas_f32 v10, v10, v16, v17
	s_delay_alu instid0(VALU_DEP_1)
	v_div_fixup_f32 v8, v10, v8, v11
	ds_store_b32 v9, v8
	s_cbranch_scc1 .LBB30_76
.LBB30_72:                              ;   Parent Loop BB30_3 Depth=1
                                        ; =>  This Loop Header: Depth=2
                                        ;       Child Loop BB30_73 Depth 3
                                        ;       Child Loop BB30_75 Depth 3
	v_mad_u32 v8, 0x60, s10, v12
	v_mov_b32_e32 v9, v14
	s_cmp_le_i32 s30, s10
	s_mov_b32 s41, s11
	s_mov_b32 s42, s30
	ds_load_b32 v10, v8
	s_cbranch_scc1 .LBB30_74
.LBB30_73:                              ;   Parent Loop BB30_3 Depth=1
                                        ;     Parent Loop BB30_72 Depth=2
                                        ; =>    This Inner Loop Header: Depth=3
	v_mov_b32_e32 v11, s41
	s_add_co_i32 s42, s42, -1
	s_add_co_i32 s41, s41, -4
	s_cmp_le_u32 s42, s10
	ds_load_b32 v16, v9
	ds_load_b32 v11, v11
	v_add_nc_u32_e32 v9, 0xffffffa0, v9
	s_wait_dscnt 0x0
	v_fma_f32 v10, -v16, v11, v10
	s_cbranch_scc0 .LBB30_73
.LBB30_74:                              ;   in Loop: Header=BB30_72 Depth=2
	s_mul_i32 s41, s10, 0x64
	s_add_co_i32 s42, s10, -1
	v_mov_b32_e32 v9, s41
	s_cmp_le_i32 s29, s10
	s_mov_b32 s43, s27
	s_mov_b32 s44, s30
	ds_load_b32 v16, v9
	v_add_nc_u32_e32 v9, 0xffffffa0, v8
	s_wait_dscnt 0x0
	v_div_scale_f32 v17, null, v16, v16, v10
	v_div_scale_f32 v20, vcc_lo, v10, v16, v10
	s_delay_alu instid0(VALU_DEP_2) | instskip(SKIP_1) | instid1(TRANS32_DEP_1)
	v_rcp_f32_e32 v18, v17
	v_nop
	v_fma_f32 v19, -v17, v18, 1.0
	s_delay_alu instid0(VALU_DEP_1) | instskip(NEXT) | instid1(VALU_DEP_1)
	v_fmac_f32_e32 v18, v19, v18
	v_mul_f32_e32 v19, v20, v18
	s_delay_alu instid0(VALU_DEP_1) | instskip(NEXT) | instid1(VALU_DEP_1)
	v_fma_f32 v21, -v17, v19, v20
	v_fmac_f32_e32 v19, v21, v18
	s_delay_alu instid0(VALU_DEP_1) | instskip(NEXT) | instid1(VALU_DEP_1)
	v_fma_f32 v17, -v17, v19, v20
	v_div_fmas_f32 v17, v17, v18, v19
	s_delay_alu instid0(VALU_DEP_1)
	v_div_fixup_f32 v16, v17, v16, v10
	v_mov_b32_e32 v10, v14
	ds_load_b32 v11, v9
	ds_store_b32 v8, v16
	s_cbranch_scc1 .LBB30_71
.LBB30_75:                              ;   Parent Loop BB30_3 Depth=1
                                        ;     Parent Loop BB30_72 Depth=2
                                        ; =>    This Inner Loop Header: Depth=3
	v_mov_b32_e32 v8, s43
	s_add_co_i32 s44, s44, -1
	s_add_co_i32 s43, s43, -4
	s_cmp_gt_u32 s44, s42
	ds_load_b32 v16, v10
	ds_load_b32 v8, v8
	v_add_nc_u32_e32 v10, 0xffffffa0, v10
	s_wait_dscnt 0x0
	v_fma_f32 v11, -v16, v8, v11
	s_cbranch_scc1 .LBB30_75
	s_branch .LBB30_71
.LBB30_76:                              ;   in Loop: Header=BB30_3 Depth=1
	s_mov_b32 s10, 0
.LBB30_77:                              ;   in Loop: Header=BB30_3 Depth=1
	s_delay_alu instid0(SALU_CYCLE_1)
	s_and_not1_b32 vcc_lo, exec_lo, s10
	s_cbranch_vccnz .LBB30_89
; %bb.78:                               ;   in Loop: Header=BB30_3 Depth=1
	s_and_not1_b32 vcc_lo, exec_lo, s34
	s_mov_b32 s27, 0
	s_cbranch_vccnz .LBB30_84
; %bb.79:                               ;   in Loop: Header=BB30_3 Depth=1
	s_mov_b32 s10, 0
	s_mov_b32 s11, 0
.LBB30_80:                              ;   Parent Loop BB30_3 Depth=1
                                        ; =>  This Loop Header: Depth=2
                                        ;       Child Loop BB30_81 Depth 3
	s_delay_alu instid0(SALU_CYCLE_1)
	s_mul_i32 s27, s11, 24
	v_mov_b32_e32 v17, v12
	v_lshl_add_u32 v16, s27, 2, v12
	s_cmp_eq_u32 s11, 0
	s_mov_b32 s41, s10
	s_mov_b32 s42, s11
	ds_load_2addr_b32 v[10:11], v16 offset1:24
	ds_load_2addr_b32 v[8:9], v16 offset0:48 offset1:72
	s_cbranch_scc1 .LBB30_82
.LBB30_81:                              ;   Parent Loop BB30_3 Depth=1
                                        ;     Parent Loop BB30_80 Depth=2
                                        ; =>    This Inner Loop Header: Depth=3
	v_mov_b32_e32 v19, s41
	s_add_co_i32 s42, s42, -1
	s_add_co_i32 s41, s41, 4
	s_cmp_eq_u32 s42, 0
	ds_load_b32 v18, v17
	ds_load_2addr_b32 v[20:21], v19 offset1:24
	ds_load_2addr_b32 v[22:23], v19 offset0:48 offset1:72
	v_add_nc_u32_e32 v17, 0x60, v17
	s_wait_dscnt 0x1
	v_pk_fma_f32 v[10:11], v[18:19], v[20:21], v[10:11] op_sel_hi:[0,1,1] neg_lo:[1,0,0] neg_hi:[1,0,0]
	s_wait_dscnt 0x0
	v_pk_fma_f32 v[8:9], v[18:19], v[22:23], v[8:9] op_sel_hi:[0,1,1] neg_lo:[1,0,0] neg_hi:[1,0,0]
	s_cbranch_scc0 .LBB30_81
.LBB30_82:                              ;   in Loop: Header=BB30_80 Depth=2
	s_mul_i32 s41, s11, 0x64
	s_lshl_b32 s27, s27, 2
	v_mov_b32_e32 v17, s41
	s_lshl_b32 s41, s11, 2
	s_addk_co_i32 s10, 0x180
	s_add_co_i32 s27, s27, s41
	s_delay_alu instid0(SALU_CYCLE_1)
	v_mov_b32_e32 v23, s27
	ds_load_b32 v17, v17
	s_add_co_i32 s27, s11, 4
	s_add_co_i32 s11, s11, 7
	ds_load_b64 v[18:19], v23 offset:96
	ds_load_b96 v[20:22], v23 offset:192
	s_cmp_ge_i32 s11, s29
	s_wait_dscnt 0x2
	v_div_scale_f32 v24, null, v17, v17, v10
	v_div_scale_f32 v27, vcc_lo, v10, v17, v10
	s_delay_alu instid0(VALU_DEP_2) | instskip(SKIP_1) | instid1(TRANS32_DEP_1)
	v_rcp_f32_e32 v25, v24
	v_nop
	v_fma_f32 v26, -v24, v25, 1.0
	s_delay_alu instid0(VALU_DEP_1) | instskip(NEXT) | instid1(VALU_DEP_1)
	v_fmac_f32_e32 v25, v26, v25
	v_mul_f32_e32 v26, v27, v25
	s_delay_alu instid0(VALU_DEP_1) | instskip(NEXT) | instid1(VALU_DEP_1)
	v_fma_f32 v28, -v24, v26, v27
	v_fmac_f32_e32 v26, v28, v25
	s_delay_alu instid0(VALU_DEP_1) | instskip(NEXT) | instid1(VALU_DEP_1)
	v_fma_f32 v24, -v24, v26, v27
	v_div_fmas_f32 v24, v24, v25, v26
	s_delay_alu instid0(VALU_DEP_1) | instskip(SKIP_1) | instid1(VALU_DEP_1)
	v_div_fixup_f32 v10, v24, v17, v10
	s_wait_dscnt 0x0
	v_dual_fma_f32 v11, -v10, v18, v11 :: v_dual_fma_f32 v8, -v10, v20, v8
	s_delay_alu instid0(VALU_DEP_1) | instskip(SKIP_1) | instid1(VALU_DEP_2)
	v_div_scale_f32 v17, null, v19, v19, v11
	v_div_scale_f32 v25, vcc_lo, v11, v19, v11
	v_rcp_f32_e32 v18, v17
	v_nop
	s_delay_alu instid0(TRANS32_DEP_1) | instskip(NEXT) | instid1(VALU_DEP_1)
	v_fma_f32 v24, -v17, v18, 1.0
	v_fmac_f32_e32 v18, v24, v18
	s_delay_alu instid0(VALU_DEP_1) | instskip(NEXT) | instid1(VALU_DEP_1)
	v_mul_f32_e32 v24, v25, v18
	v_fma_f32 v26, -v17, v24, v25
	s_delay_alu instid0(VALU_DEP_1) | instskip(NEXT) | instid1(VALU_DEP_1)
	v_fmac_f32_e32 v24, v26, v18
	v_fma_f32 v17, -v17, v24, v25
	s_delay_alu instid0(VALU_DEP_1) | instskip(NEXT) | instid1(VALU_DEP_1)
	v_div_fmas_f32 v17, v17, v18, v24
	v_div_fixup_f32 v11, v17, v19, v11
	s_delay_alu instid0(VALU_DEP_1) | instskip(NEXT) | instid1(VALU_DEP_1)
	v_fma_f32 v8, -v11, v21, v8
	v_div_scale_f32 v17, null, v22, v22, v8
	v_div_scale_f32 v25, vcc_lo, v8, v22, v8
	s_delay_alu instid0(VALU_DEP_2) | instskip(SKIP_1) | instid1(TRANS32_DEP_1)
	v_rcp_f32_e32 v24, v17
	v_nop
	v_fma_f32 v18, -v17, v24, 1.0
	s_delay_alu instid0(VALU_DEP_1) | instskip(SKIP_3) | instid1(VALU_DEP_1)
	v_fmac_f32_e32 v24, v18, v24
	ds_load_b128 v[18:21], v23 offset:288
	s_wait_dscnt 0x0
	v_dual_mul_f32 v23, v25, v24 :: v_dual_fma_f32 v9, -v10, v18, v9
	v_fma_f32 v26, -v17, v23, v25
	s_delay_alu instid0(VALU_DEP_1) | instskip(NEXT) | instid1(VALU_DEP_1)
	v_dual_fma_f32 v9, -v11, v19, v9 :: v_dual_fmac_f32 v23, v26, v24
	v_fma_f32 v17, -v17, v23, v25
	s_delay_alu instid0(VALU_DEP_1) | instskip(NEXT) | instid1(VALU_DEP_1)
	v_div_fmas_f32 v17, v17, v24, v23
	v_div_fixup_f32 v8, v17, v22, v8
	s_delay_alu instid0(VALU_DEP_1) | instskip(NEXT) | instid1(VALU_DEP_1)
	v_fma_f32 v9, -v8, v20, v9
	v_div_scale_f32 v17, null, v21, v21, v9
	s_delay_alu instid0(VALU_DEP_1) | instskip(SKIP_1) | instid1(TRANS32_DEP_1)
	v_rcp_f32_e32 v18, v17
	v_nop
	v_fma_f32 v19, -v17, v18, 1.0
	s_delay_alu instid0(VALU_DEP_1) | instskip(SKIP_1) | instid1(VALU_DEP_1)
	v_fmac_f32_e32 v18, v19, v18
	v_div_scale_f32 v20, vcc_lo, v9, v21, v9
	v_mul_f32_e32 v19, v20, v18
	s_delay_alu instid0(VALU_DEP_1) | instskip(NEXT) | instid1(VALU_DEP_1)
	v_fma_f32 v22, -v17, v19, v20
	v_fmac_f32_e32 v19, v22, v18
	s_delay_alu instid0(VALU_DEP_1) | instskip(NEXT) | instid1(VALU_DEP_1)
	v_fma_f32 v17, -v17, v19, v20
	v_div_fmas_f32 v17, v17, v18, v19
	s_delay_alu instid0(VALU_DEP_1)
	v_div_fixup_f32 v9, v17, v21, v9
	ds_store_2addr_b32 v16, v10, v11 offset1:24
	ds_store_2addr_b32 v16, v8, v9 offset0:48 offset1:72
	s_cbranch_scc1 .LBB30_84
; %bb.83:                               ;   in Loop: Header=BB30_80 Depth=2
	s_mov_b32 s11, s27
	s_branch .LBB30_80
.LBB30_84:                              ;   in Loop: Header=BB30_3 Depth=1
	s_cmp_ge_i32 s27, s29
	s_cbranch_scc1 .LBB30_89
; %bb.85:                               ;   in Loop: Header=BB30_3 Depth=1
	s_mul_i32 s10, s27, 0x60
	s_branch .LBB30_87
.LBB30_86:                              ;   in Loop: Header=BB30_87 Depth=2
	s_mul_i32 s11, s27, 0x64
	s_add_co_i32 s27, s27, 1
	v_mov_b32_e32 v10, s11
	s_addk_co_i32 s10, 0x60
	s_cmp_ge_i32 s27, s29
	ds_load_b32 v10, v10
	s_wait_dscnt 0x0
	v_div_scale_f32 v11, null, v10, v10, v9
	s_delay_alu instid0(VALU_DEP_1) | instskip(SKIP_1) | instid1(TRANS32_DEP_1)
	v_rcp_f32_e32 v16, v11
	v_nop
	v_fma_f32 v17, -v11, v16, 1.0
	s_delay_alu instid0(VALU_DEP_1) | instskip(SKIP_1) | instid1(VALU_DEP_1)
	v_fmac_f32_e32 v16, v17, v16
	v_div_scale_f32 v17, vcc_lo, v9, v10, v9
	v_mul_f32_e32 v18, v17, v16
	s_delay_alu instid0(VALU_DEP_1) | instskip(NEXT) | instid1(VALU_DEP_1)
	v_fma_f32 v19, -v11, v18, v17
	v_fmac_f32_e32 v18, v19, v16
	s_delay_alu instid0(VALU_DEP_1) | instskip(NEXT) | instid1(VALU_DEP_1)
	v_fma_f32 v11, -v11, v18, v17
	v_div_fmas_f32 v11, v11, v16, v18
	s_delay_alu instid0(VALU_DEP_1)
	v_div_fixup_f32 v9, v11, v10, v9
	ds_store_b32 v8, v9
	s_cbranch_scc1 .LBB30_89
.LBB30_87:                              ;   Parent Loop BB30_3 Depth=1
                                        ; =>  This Loop Header: Depth=2
                                        ;       Child Loop BB30_88 Depth 3
	v_mad_u32 v8, 0x60, s27, v12
	v_mov_b32_e32 v10, v12
	s_cmp_eq_u32 s27, 0
	s_mov_b32 s11, s10
	s_mov_b32 s41, s27
	ds_load_b32 v9, v8
	s_cbranch_scc1 .LBB30_86
.LBB30_88:                              ;   Parent Loop BB30_3 Depth=1
                                        ;     Parent Loop BB30_87 Depth=2
                                        ; =>    This Inner Loop Header: Depth=3
	v_mov_b32_e32 v11, s11
	s_add_co_i32 s41, s41, -1
	s_add_co_i32 s11, s11, 4
	s_cmp_eq_u32 s41, 0
	ds_load_b32 v16, v10
	ds_load_b32 v11, v11
	v_add_nc_u32_e32 v10, 0x60, v10
	s_wait_dscnt 0x0
	v_fma_f32 v9, -v16, v11, v9
	s_cbranch_scc0 .LBB30_88
	s_branch .LBB30_86
.LBB30_89:                              ;   in Loop: Header=BB30_3 Depth=1
	s_and_saveexec_b32 s27, s35
	s_cbranch_execz .LBB30_2
; %bb.90:                               ;   in Loop: Header=BB30_3 Depth=1
	s_and_not1_b32 vcc_lo, exec_lo, s40
	s_cbranch_vccnz .LBB30_94
; %bb.91:                               ;   in Loop: Header=BB30_3 Depth=1
	s_mov_b32 s11, 1
	s_mov_b32 s41, 0
	s_mov_b32 s42, s39
.LBB30_92:                              ;   Parent Loop BB30_3 Depth=1
                                        ; =>  This Inner Loop Header: Depth=2
	v_mad_u32 v8, 0x60, s41, v12
	v_mad_u32 v9, 0x60, s11, v12
	s_add_co_i32 s42, s42, -2
	s_add_co_i32 s41, s41, 2
	s_add_co_i32 s11, s11, 2
	s_mov_b32 s10, s39
	s_cmp_lg_u32 s42, 0
	s_mov_b32 s43, s26
	ds_load_b32 v8, v8
	ds_load_b32 v9, v9
	s_wait_dscnt 0x0
	global_store_b64 v[6:7], v[8:9], off
	s_wait_xcnt 0x0
	v_add_nc_u64_e32 v[6:7], 8, v[6:7]
	s_cbranch_scc1 .LBB30_92
; %bb.93:                               ;   in Loop: Header=BB30_3 Depth=1
	s_and_b32 vcc_lo, exec_lo, s43
	s_cbranch_vccz .LBB30_2
	s_branch .LBB30_95
.LBB30_94:                              ;   in Loop: Header=BB30_3 Depth=1
	s_mov_b32 s10, 0
	s_cbranch_execz .LBB30_2
.LBB30_95:                              ;   in Loop: Header=BB30_3 Depth=1
	s_mov_b32 s11, s3
	v_mad_u32 v8, 0x60, s10, v12
	s_mul_u64 s[42:43], s[16:17], s[10:11]
	s_delay_alu instid0(SALU_CYCLE_1) | instskip(NEXT) | instid1(SALU_CYCLE_1)
	s_add_nc_u64 s[4:5], s[42:43], s[4:5]
	v_add_nc_u64_e32 v[6:7], s[4:5], v[4:5]
	s_sub_co_i32 s4, s20, s10
.LBB30_96:                              ;   Parent Loop BB30_3 Depth=1
                                        ; =>  This Inner Loop Header: Depth=2
	ds_load_b32 v9, v8
	v_add_nc_u32_e32 v8, 0x60, v8
	s_add_co_i32 s4, s4, -1
	s_delay_alu instid0(SALU_CYCLE_1)
	s_cmp_lg_u32 s4, 0
	s_wait_dscnt 0x0
	global_store_b32 v[6:7], v9, off
	s_wait_xcnt 0x0
	v_add_nc_u64_e32 v[6:7], s[16:17], v[6:7]
	s_cbranch_scc1 .LBB30_96
	s_branch .LBB30_2
.LBB30_97:
	s_endpgm
	.section	.rodata,"a",@progbits
	.p2align	6, 0x0
	.amdhsa_kernel _ZL31rocblas_trsm_small_right_deviceIffPKfPfLi24EEv13rocblas_fill_18rocblas_operation_17rocblas_diagonal_iiT0_T1_lilT2_lili
		.amdhsa_group_segment_fixed_size 4608
		.amdhsa_private_segment_fixed_size 0
		.amdhsa_kernarg_size 352
		.amdhsa_user_sgpr_count 2
		.amdhsa_user_sgpr_dispatch_ptr 0
		.amdhsa_user_sgpr_queue_ptr 0
		.amdhsa_user_sgpr_kernarg_segment_ptr 1
		.amdhsa_user_sgpr_dispatch_id 0
		.amdhsa_user_sgpr_kernarg_preload_length 0
		.amdhsa_user_sgpr_kernarg_preload_offset 0
		.amdhsa_user_sgpr_private_segment_size 0
		.amdhsa_wavefront_size32 1
		.amdhsa_uses_dynamic_stack 0
		.amdhsa_enable_private_segment 0
		.amdhsa_system_sgpr_workgroup_id_x 1
		.amdhsa_system_sgpr_workgroup_id_y 0
		.amdhsa_system_sgpr_workgroup_id_z 1
		.amdhsa_system_sgpr_workgroup_info 0
		.amdhsa_system_vgpr_workitem_id 0
		.amdhsa_next_free_vgpr 32
		.amdhsa_next_free_sgpr 47
		.amdhsa_named_barrier_count 0
		.amdhsa_reserve_vcc 1
		.amdhsa_float_round_mode_32 0
		.amdhsa_float_round_mode_16_64 0
		.amdhsa_float_denorm_mode_32 3
		.amdhsa_float_denorm_mode_16_64 3
		.amdhsa_fp16_overflow 0
		.amdhsa_memory_ordered 1
		.amdhsa_forward_progress 1
		.amdhsa_inst_pref_size 52
		.amdhsa_round_robin_scheduling 0
		.amdhsa_exception_fp_ieee_invalid_op 0
		.amdhsa_exception_fp_denorm_src 0
		.amdhsa_exception_fp_ieee_div_zero 0
		.amdhsa_exception_fp_ieee_overflow 0
		.amdhsa_exception_fp_ieee_underflow 0
		.amdhsa_exception_fp_ieee_inexact 0
		.amdhsa_exception_int_div_zero 0
	.end_amdhsa_kernel
	.section	.text._ZL31rocblas_trsm_small_right_deviceIffPKfPfLi24EEv13rocblas_fill_18rocblas_operation_17rocblas_diagonal_iiT0_T1_lilT2_lili,"axG",@progbits,_ZL31rocblas_trsm_small_right_deviceIffPKfPfLi24EEv13rocblas_fill_18rocblas_operation_17rocblas_diagonal_iiT0_T1_lilT2_lili,comdat
.Lfunc_end30:
	.size	_ZL31rocblas_trsm_small_right_deviceIffPKfPfLi24EEv13rocblas_fill_18rocblas_operation_17rocblas_diagonal_iiT0_T1_lilT2_lili, .Lfunc_end30-_ZL31rocblas_trsm_small_right_deviceIffPKfPfLi24EEv13rocblas_fill_18rocblas_operation_17rocblas_diagonal_iiT0_T1_lilT2_lili
                                        ; -- End function
	.set _ZL31rocblas_trsm_small_right_deviceIffPKfPfLi24EEv13rocblas_fill_18rocblas_operation_17rocblas_diagonal_iiT0_T1_lilT2_lili.num_vgpr, 32
	.set _ZL31rocblas_trsm_small_right_deviceIffPKfPfLi24EEv13rocblas_fill_18rocblas_operation_17rocblas_diagonal_iiT0_T1_lilT2_lili.num_agpr, 0
	.set _ZL31rocblas_trsm_small_right_deviceIffPKfPfLi24EEv13rocblas_fill_18rocblas_operation_17rocblas_diagonal_iiT0_T1_lilT2_lili.numbered_sgpr, 47
	.set _ZL31rocblas_trsm_small_right_deviceIffPKfPfLi24EEv13rocblas_fill_18rocblas_operation_17rocblas_diagonal_iiT0_T1_lilT2_lili.num_named_barrier, 0
	.set _ZL31rocblas_trsm_small_right_deviceIffPKfPfLi24EEv13rocblas_fill_18rocblas_operation_17rocblas_diagonal_iiT0_T1_lilT2_lili.private_seg_size, 0
	.set _ZL31rocblas_trsm_small_right_deviceIffPKfPfLi24EEv13rocblas_fill_18rocblas_operation_17rocblas_diagonal_iiT0_T1_lilT2_lili.uses_vcc, 1
	.set _ZL31rocblas_trsm_small_right_deviceIffPKfPfLi24EEv13rocblas_fill_18rocblas_operation_17rocblas_diagonal_iiT0_T1_lilT2_lili.uses_flat_scratch, 0
	.set _ZL31rocblas_trsm_small_right_deviceIffPKfPfLi24EEv13rocblas_fill_18rocblas_operation_17rocblas_diagonal_iiT0_T1_lilT2_lili.has_dyn_sized_stack, 0
	.set _ZL31rocblas_trsm_small_right_deviceIffPKfPfLi24EEv13rocblas_fill_18rocblas_operation_17rocblas_diagonal_iiT0_T1_lilT2_lili.has_recursion, 0
	.set _ZL31rocblas_trsm_small_right_deviceIffPKfPfLi24EEv13rocblas_fill_18rocblas_operation_17rocblas_diagonal_iiT0_T1_lilT2_lili.has_indirect_call, 0
	.section	.AMDGPU.csdata,"",@progbits
; Kernel info:
; codeLenInByte = 6612
; TotalNumSgprs: 49
; NumVgprs: 32
; ScratchSize: 0
; MemoryBound: 0
; FloatMode: 240
; IeeeMode: 1
; LDSByteSize: 4608 bytes/workgroup (compile time only)
; SGPRBlocks: 0
; VGPRBlocks: 1
; NumSGPRsForWavesPerEU: 49
; NumVGPRsForWavesPerEU: 32
; NamedBarCnt: 0
; Occupancy: 16
; WaveLimiterHint : 0
; COMPUTE_PGM_RSRC2:SCRATCH_EN: 0
; COMPUTE_PGM_RSRC2:USER_SGPR: 2
; COMPUTE_PGM_RSRC2:TRAP_HANDLER: 0
; COMPUTE_PGM_RSRC2:TGID_X_EN: 1
; COMPUTE_PGM_RSRC2:TGID_Y_EN: 0
; COMPUTE_PGM_RSRC2:TGID_Z_EN: 1
; COMPUTE_PGM_RSRC2:TIDIG_COMP_CNT: 0
	.section	.text._ZL38rocblas_trsm_small_left_device_sharedBILi28ELi28ELb0EffPKfPfEv13rocblas_fill_18rocblas_operation_17rocblas_diagonal_iiT3_T4_lilT5_lili,"axG",@progbits,_ZL38rocblas_trsm_small_left_device_sharedBILi28ELi28ELb0EffPKfPfEv13rocblas_fill_18rocblas_operation_17rocblas_diagonal_iiT3_T4_lilT5_lili,comdat
	.globl	_ZL38rocblas_trsm_small_left_device_sharedBILi28ELi28ELb0EffPKfPfEv13rocblas_fill_18rocblas_operation_17rocblas_diagonal_iiT3_T4_lilT5_lili ; -- Begin function _ZL38rocblas_trsm_small_left_device_sharedBILi28ELi28ELb0EffPKfPfEv13rocblas_fill_18rocblas_operation_17rocblas_diagonal_iiT3_T4_lilT5_lili
	.p2align	8
	.type	_ZL38rocblas_trsm_small_left_device_sharedBILi28ELi28ELb0EffPKfPfEv13rocblas_fill_18rocblas_operation_17rocblas_diagonal_iiT3_T4_lilT5_lili,@function
_ZL38rocblas_trsm_small_left_device_sharedBILi28ELi28ELb0EffPKfPfEv13rocblas_fill_18rocblas_operation_17rocblas_diagonal_iiT3_T4_lilT5_lili: ; @_ZL38rocblas_trsm_small_left_device_sharedBILi28ELi28ELb0EffPKfPfEv13rocblas_fill_18rocblas_operation_17rocblas_diagonal_iiT3_T4_lilT5_lili
; %bb.0:
	s_load_b32 s19, s[0:1], 0x58
	s_bfe_u32 s2, ttmp6, 0x40014
	s_lshr_b32 s3, ttmp7, 16
	s_add_co_i32 s2, s2, 1
	s_bfe_u32 s4, ttmp6, 0x40008
	s_mul_i32 s2, s3, s2
	s_getreg_b32 s21, hwreg(HW_REG_IB_STS2, 6, 4)
	s_add_co_i32 s4, s4, s2
	s_cmp_eq_u32 s21, 0
	s_cselect_b32 s2, s3, s4
	s_mov_b32 s3, 0
	s_wait_kmcnt 0x0
	s_cmp_ge_u32 s2, s19
	s_cbranch_scc1 .LBB31_72
; %bb.1:
	s_clause 0x7
	s_load_b32 s22, s[0:1], 0x28
	s_load_b96 s[16:18], s[0:1], 0x40
	s_load_b128 s[12:15], s[0:1], 0x4
	s_load_b32 s26, s[0:1], 0x60
	s_load_b128 s[4:7], s[0:1], 0x18
	s_load_b128 s[8:11], s[0:1], 0x30
	s_load_b64 s[24:25], s[0:1], 0x50
	s_load_b32 s20, s[0:1], 0x14
	v_dual_mov_b32 v67, 0 :: v_dual_lshlrev_b32 v66, 2, v0
	v_mul_u32_u24_e32 v30, 0x70, v0
	s_delay_alu instid0(VALU_DEP_2)
	v_dual_mov_b32 v3, v67 :: v_dual_add_nc_u32 v72, 0xc40, v66
	v_dual_mov_b32 v2, v67 :: v_dual_mov_b32 v4, v67
	v_dual_mov_b32 v5, v67 :: v_dual_mov_b32 v6, v67
	;; [unrolled: 1-line block ×3, first 2 shown]
	s_wait_kmcnt 0x0
	s_ashr_i32 s23, s22, 31
	v_dual_mov_b32 v9, v67 :: v_dual_mov_b32 v10, v67
	s_cmp_eq_u64 s[22:23], 1
	v_dual_mov_b32 v11, v67 :: v_dual_mov_b32 v12, v67
	s_cselect_b32 s0, -1, 0
	s_bfe_u32 s27, ttmp6, 0x4000c
	s_min_i32 s1, s14, 28
	s_add_co_i32 s27, s27, 1
	s_and_b32 s29, ttmp6, 15
	s_mul_i32 s27, ttmp9, s27
	s_ashr_i32 s38, s18, 31
	s_add_co_i32 s28, s26, -1
	s_add_co_i32 s26, s1, -1
	s_add_co_i32 s29, s29, s27
	s_cmp_eq_u32 s21, 0
	v_dual_mov_b32 v13, v67 :: v_dual_mov_b32 v14, v67
	s_cselect_b32 s21, ttmp9, s29
	v_dual_mov_b32 v15, v67 :: v_dual_mov_b32 v16, v67
	s_mul_i32 s27, s21, 0xffffffe4
	s_mul_i32 s36, s21, 28
	s_add_co_i32 s15, s15, s27
	s_cmp_ge_u32 s21, s28
	v_dual_mov_b32 v17, v67 :: v_dual_mov_b32 v18, v67
	s_cselect_b32 s15, s15, 28
	s_ashr_i32 s37, s36, 31
	s_cmp_lg_u32 s13, 0x84
	v_cmp_gt_i32_e32 vcc_lo, s15, v0
	s_cselect_b32 s27, -1, 0
	s_cmp_gt_i32 s14, 0
	v_lshl_add_u64 v[26:27], s[36:37], 2, v[66:67]
	s_cselect_b32 s13, -1, 0
	s_cmp_lg_u32 s12, 0x6f
	v_dual_mov_b32 v19, v67 :: v_dual_mov_b32 v20, v67
	s_cselect_b32 s28, -1, 0
	s_and_b32 s29, vcc_lo, s13
	s_cmp_gt_u32 s1, 1
	v_dual_mov_b32 v21, v67 :: v_dual_mov_b32 v22, v67
	s_cselect_b32 s12, -1, 0
	s_and_b32 s30, s1, -2
	s_and_b32 s31, s12, s0
	s_cmp_lg_u32 s1, s30
	v_cmp_gt_i32_e64 s0, s1, v0
	s_cselect_b32 s33, -1, 0
	s_cmp_gt_i32 s14, 1
	v_dual_mov_b32 v23, v67 :: v_dual_mov_b32 v24, v67
	s_cselect_b32 s34, -1, 0
	s_and_b32 s35, s1, 30
	v_mov_b32_e32 v28, v67
	s_cmp_lg_u32 s1, s35
	v_mov_b32_e32 v29, v67
	s_cselect_b32 s36, -1, 0
	s_lshl_b64 s[12:13], s[16:17], 2
	s_mov_b32 s21, s20
	s_add_nc_u64 s[10:11], s[10:11], s[12:13]
	s_delay_alu instid0(SALU_CYCLE_1)
	v_mad_nc_u64_u32 v[68:69], v26, s18, s[10:11]
	s_lshl_b64 s[10:11], s[6:7], 2
	s_lshl_b64 s[6:7], s[8:9], 2
	s_add_nc_u64 s[8:9], s[4:5], s[10:11]
	s_lshl_b64 s[4:5], s[22:23], 2
	v_add_nc_u64_e32 v[0:1], s[8:9], v[66:67]
	s_lshl_b64 s[10:11], s[24:25], 2
	s_get_pc_i64 s[8:9]
	s_add_nc_u64 s[8:9], s[8:9], __const._ZL38rocblas_trsm_small_left_device_sharedBILi28ELi28ELb0EffPKfPfEv13rocblas_fill_18rocblas_operation_17rocblas_diagonal_iiT3_T4_lilT5_lili.step_sizes@rel64+4
	s_delay_alu instid0(VALU_DEP_2) | instskip(SKIP_2) | instid1(SALU_CYCLE_1)
	v_mad_u32 v25, v27, s18, v69
	v_mov_b32_e32 v27, v67
	s_mul_i32 s18, s1, 0x70
	s_addk_co_i32 s18, 0xff90
	s_delay_alu instid0(VALU_DEP_2)
	v_mad_u32 v69, v26, s38, v25
	v_dual_mov_b32 v25, v67 :: v_dual_mov_b32 v26, v67
	v_add_nc_u32_e32 v67, v66, v30
	s_branch .LBB31_3
.LBB31_2:                               ;   in Loop: Header=BB31_3 Depth=1
	s_or_b32 exec_lo, exec_lo, s14
	s_add_co_i32 s2, s2, 0x10000
	s_delay_alu instid0(SALU_CYCLE_1)
	s_cmp_lt_u32 s2, s19
	s_cbranch_scc0 .LBB31_72
.LBB31_3:                               ; =>This Loop Header: Depth=1
                                        ;     Child Loop BB31_6 Depth 2
                                        ;     Child Loop BB31_10 Depth 2
	;; [unrolled: 1-line block ×5, first 2 shown]
                                        ;       Child Loop BB31_27 Depth 3
                                        ;         Child Loop BB31_28 Depth 4
                                        ;         Child Loop BB31_31 Depth 4
                                        ;           Child Loop BB31_32 Depth 5
                                        ;         Child Loop BB31_37 Depth 4
                                        ;           Child Loop BB31_39 Depth 5
                                        ;     Child Loop BB31_48 Depth 2
                                        ;       Child Loop BB31_49 Depth 3
                                        ;       Child Loop BB31_51 Depth 3
                                        ;         Child Loop BB31_52 Depth 4
                                        ;       Child Loop BB31_57 Depth 3
                                        ;         Child Loop BB31_59 Depth 4
                                        ;     Child Loop BB31_61 Depth 2
                                        ;     Child Loop BB31_67 Depth 2
	;; [unrolled: 1-line block ×3, first 2 shown]
	s_and_saveexec_b32 s16, s0
	s_cbranch_execz .LBB31_14
; %bb.4:                                ;   in Loop: Header=BB31_3 Depth=1
	s_and_not1_b32 vcc_lo, exec_lo, s31
	s_mul_u64 s[12:13], s[6:7], s[2:3]
	s_cbranch_vccnz .LBB31_8
; %bb.5:                                ;   in Loop: Header=BB31_3 Depth=1
	v_add_nc_u64_e32 v[34:35], s[12:13], v[0:1]
	s_mov_b32 s15, 1
	s_mov_b32 s17, 0
	;; [unrolled: 1-line block ×3, first 2 shown]
.LBB31_6:                               ;   Parent Loop BB31_3 Depth=1
                                        ; =>  This Inner Loop Header: Depth=2
	global_load_b64 v[36:37], v[34:35], off
	v_mad_u32 v38, 0x70, s17, v66
	v_mad_u32 v39, 0x70, s15, v66
	s_wait_xcnt 0x0
	v_add_nc_u64_e32 v[34:35], 8, v[34:35]
	s_add_co_i32 s22, s22, -2
	s_add_co_i32 s17, s17, 2
	s_add_co_i32 s15, s15, 2
	s_mov_b32 s14, s30
	s_mov_b32 s23, s33
	s_cmp_lg_u32 s22, 0
	s_wait_loadcnt 0x0
	ds_store_b32 v38, v36
	ds_store_b32 v39, v37
	s_cbranch_scc1 .LBB31_6
; %bb.7:                                ;   in Loop: Header=BB31_3 Depth=1
	s_and_b32 vcc_lo, exec_lo, s23
	s_cbranch_vccnz .LBB31_9
	s_branch .LBB31_11
.LBB31_8:                               ;   in Loop: Header=BB31_3 Depth=1
	s_wait_xcnt 0x0
	s_mov_b32 s14, 0
	s_cbranch_execz .LBB31_11
.LBB31_9:                               ;   in Loop: Header=BB31_3 Depth=1
	s_mov_b32 s15, s3
	v_mad_u32 v36, 0x70, s14, v66
	s_mul_u64 s[22:23], s[4:5], s[14:15]
	s_delay_alu instid0(SALU_CYCLE_1) | instskip(NEXT) | instid1(SALU_CYCLE_1)
	s_add_nc_u64 s[12:13], s[22:23], s[12:13]
	v_add_nc_u64_e32 v[34:35], s[12:13], v[0:1]
	s_sub_co_i32 s12, s1, s14
.LBB31_10:                              ;   Parent Loop BB31_3 Depth=1
                                        ; =>  This Inner Loop Header: Depth=2
	global_load_b32 v37, v[34:35], off
	s_wait_xcnt 0x0
	v_add_nc_u64_e32 v[34:35], s[4:5], v[34:35]
	s_add_co_i32 s12, s12, -1
	s_delay_alu instid0(SALU_CYCLE_1)
	s_cmp_eq_u32 s12, 0
	s_wait_loadcnt 0x0
	ds_store_b32 v36, v37
	v_add_nc_u32_e32 v36, 0x70, v36
	s_cbranch_scc0 .LBB31_10
.LBB31_11:                              ;   in Loop: Header=BB31_3 Depth=1
	v_mov_b32_e32 v34, 1.0
	s_and_b32 vcc_lo, exec_lo, s27
	s_cbranch_vccz .LBB31_13
; %bb.12:                               ;   in Loop: Header=BB31_3 Depth=1
	ds_load_b32 v34, v67
	s_wait_dscnt 0x0
	v_div_scale_f32 v35, null, v34, v34, 1.0
	s_delay_alu instid0(VALU_DEP_1) | instskip(SKIP_1) | instid1(TRANS32_DEP_1)
	v_rcp_f32_e32 v36, v35
	v_nop
	v_fma_f32 v37, -v35, v36, 1.0
	s_delay_alu instid0(VALU_DEP_1) | instskip(SKIP_1) | instid1(VALU_DEP_1)
	v_fmac_f32_e32 v36, v37, v36
	v_div_scale_f32 v37, vcc_lo, 1.0, v34, 1.0
	v_mul_f32_e32 v38, v37, v36
	s_delay_alu instid0(VALU_DEP_1) | instskip(NEXT) | instid1(VALU_DEP_1)
	v_fma_f32 v39, -v35, v38, v37
	v_fmac_f32_e32 v38, v39, v36
	s_delay_alu instid0(VALU_DEP_1) | instskip(NEXT) | instid1(VALU_DEP_1)
	v_fma_f32 v35, -v35, v38, v37
	v_div_fmas_f32 v35, v35, v36, v38
	s_delay_alu instid0(VALU_DEP_1)
	v_div_fixup_f32 v34, v35, v34, 1.0
.LBB31_13:                              ;   in Loop: Header=BB31_3 Depth=1
	ds_store_b32 v67, v34
.LBB31_14:                              ;   in Loop: Header=BB31_3 Depth=1
	s_or_b32 exec_lo, exec_lo, s16
	s_mul_u64 s[12:13], s[10:11], s[2:3]
	s_delay_alu instid0(VALU_DEP_3) | instid1(SALU_CYCLE_1)
	v_add_nc_u64_e32 v[70:71], s[12:13], v[68:69]
	s_and_saveexec_b32 s14, s29
	s_cbranch_execz .LBB31_22
; %bb.15:                               ;   in Loop: Header=BB31_3 Depth=1
	s_and_not1_b32 vcc_lo, exec_lo, s34
	s_cbranch_vccnz .LBB31_19
; %bb.16:                               ;   in Loop: Header=BB31_3 Depth=1
	s_delay_alu instid0(VALU_DEP_1)
	v_mov_b64_e32 v[34:35], v[70:71]
	s_mov_b32 s15, 1
	s_mov_b32 s16, 0
	;; [unrolled: 1-line block ×3, first 2 shown]
.LBB31_17:                              ;   Parent Loop BB31_3 Depth=1
                                        ; =>  This Inner Loop Header: Depth=2
	global_load_b64 v[36:37], v[34:35], off
	v_mov_b64_e32 v[38:39], s[20:21]
	v_mad_u32 v40, 0x70, s16, v72
	v_mad_u32 v41, 0x70, s15, v72
	s_wait_xcnt 0x0
	v_add_nc_u64_e32 v[34:35], 8, v[34:35]
	s_add_co_i32 s17, s17, -2
	s_add_co_i32 s16, s16, 2
	s_add_co_i32 s15, s15, 2
	s_mov_b32 s22, s35
	s_mov_b32 s23, s36
	s_cmp_lg_u32 s17, 0
	s_wait_loadcnt 0x0
	v_pk_mul_f32 v[36:37], v[38:39], v[36:37]
	ds_store_b32 v40, v36
	ds_store_b32 v41, v37
	s_cbranch_scc1 .LBB31_17
; %bb.18:                               ;   in Loop: Header=BB31_3 Depth=1
	s_and_b32 vcc_lo, exec_lo, s23
	s_cbranch_vccnz .LBB31_20
	s_branch .LBB31_22
.LBB31_19:                              ;   in Loop: Header=BB31_3 Depth=1
	s_wait_xcnt 0x0
	s_mov_b32 s22, 0
	s_cbranch_execz .LBB31_22
.LBB31_20:                              ;   in Loop: Header=BB31_3 Depth=1
	s_lshl_b32 s16, s22, 2
	s_mov_b32 s17, s3
	v_mad_u32 v36, 0x70, s22, v72
	s_add_nc_u64 s[16:17], s[12:13], s[16:17]
	s_sub_co_i32 s15, s1, s22
	v_add_nc_u64_e32 v[34:35], s[16:17], v[68:69]
.LBB31_21:                              ;   Parent Loop BB31_3 Depth=1
                                        ; =>  This Inner Loop Header: Depth=2
	global_load_b32 v37, v[34:35], off
	s_wait_xcnt 0x0
	v_add_nc_u64_e32 v[34:35], 4, v[34:35]
	s_add_co_i32 s15, s15, -1
	s_delay_alu instid0(SALU_CYCLE_1)
	s_cmp_lg_u32 s15, 0
	s_wait_loadcnt 0x0
	v_mul_f32_e32 v37, s20, v37
	ds_store_b32 v36, v37
	v_add_nc_u32_e32 v36, 0x70, v36
	s_cbranch_scc1 .LBB31_21
.LBB31_22:                              ;   in Loop: Header=BB31_3 Depth=1
	s_or_b32 exec_lo, exec_lo, s14
	s_delay_alu instid0(SALU_CYCLE_1)
	s_and_not1_b32 vcc_lo, exec_lo, s28
	s_mov_b32 s14, -1
	s_wait_dscnt 0x0
	; wave barrier
                                        ; implicit-def: $vgpr34_vgpr35_vgpr36_vgpr37_vgpr38_vgpr39_vgpr40_vgpr41_vgpr42_vgpr43_vgpr44_vgpr45_vgpr46_vgpr47_vgpr48_vgpr49_vgpr50_vgpr51_vgpr52_vgpr53_vgpr54_vgpr55_vgpr56_vgpr57_vgpr58_vgpr59_vgpr60_vgpr61_vgpr62_vgpr63_vgpr64_vgpr65
	s_cbranch_vccnz .LBB31_44
; %bb.23:                               ;   in Loop: Header=BB31_3 Depth=1
	v_mov_b64_e32 v[64:65], v[32:33]
	v_mov_b64_e32 v[62:63], v[30:31]
	;; [unrolled: 1-line block ×16, first 2 shown]
	s_wait_xcnt 0x0
	s_mov_b32 s23, 0
	s_mov_b32 s22, 0
.LBB31_24:                              ;   Parent Loop BB31_3 Depth=1
                                        ; =>  This Loop Header: Depth=2
                                        ;       Child Loop BB31_27 Depth 3
                                        ;         Child Loop BB31_28 Depth 4
                                        ;         Child Loop BB31_31 Depth 4
                                        ;           Child Loop BB31_32 Depth 5
                                        ;         Child Loop BB31_37 Depth 4
                                        ;           Child Loop BB31_39 Depth 5
	s_load_b32 s24, s[8:9], s23 offset:0x0 scale_offset
	s_wait_kmcnt 0x0
	s_add_co_i32 s25, s24, -1
	s_delay_alu instid0(SALU_CYCLE_1) | instskip(NEXT) | instid1(SALU_CYCLE_1)
	s_add_co_i32 s14, s25, s22
	s_cmp_ge_i32 s14, s1
	s_cbranch_scc1 .LBB31_41
; %bb.25:                               ;   in Loop: Header=BB31_24 Depth=2
	s_mul_i32 s37, s22, 0x70
	s_max_i32 s38, s24, 1
	v_add_nc_u32_e32 v73, s37, v72
	s_mul_i32 s39, s24, 0x70
	s_mul_i32 s40, s22, 0x74
	;; [unrolled: 1-line block ×3, first 2 shown]
	s_branch .LBB31_27
.LBB31_26:                              ;   in Loop: Header=BB31_27 Depth=3
	s_add_co_i32 s22, s22, s24
	v_add_nc_u32_e32 v73, s39, v73
	s_add_co_i32 s14, s25, s22
	s_add_co_i32 s37, s37, s39
	;; [unrolled: 1-line block ×3, first 2 shown]
	s_cmp_ge_i32 s14, s1
	s_cbranch_scc1 .LBB31_41
.LBB31_27:                              ;   Parent Loop BB31_3 Depth=1
                                        ;     Parent Loop BB31_24 Depth=2
                                        ; =>    This Loop Header: Depth=3
                                        ;         Child Loop BB31_28 Depth 4
                                        ;         Child Loop BB31_31 Depth 4
                                        ;           Child Loop BB31_32 Depth 5
                                        ;         Child Loop BB31_37 Depth 4
                                        ;           Child Loop BB31_39 Depth 5
	v_mov_b32_e32 v74, v73
	s_mov_b64 s[14:15], 0
.LBB31_28:                              ;   Parent Loop BB31_3 Depth=1
                                        ;     Parent Loop BB31_24 Depth=2
                                        ;       Parent Loop BB31_27 Depth=3
                                        ; =>      This Inner Loop Header: Depth=4
	ds_load_b32 v75, v74
	v_add_nc_u32_e32 v74, 0x70, v74
	s_mov_b32 m0, s14
	s_add_nc_u64 s[14:15], s[14:15], 1
	s_delay_alu instid0(SALU_CYCLE_1)
	s_cmp_eq_u32 s38, s14
	s_wait_dscnt 0x0
	v_movreld_b32_e32 v34, v75
	s_cbranch_scc0 .LBB31_28
; %bb.29:                               ;   in Loop: Header=BB31_27 Depth=3
	s_cmp_lt_i32 s22, 1
	s_cbranch_scc1 .LBB31_34
; %bb.30:                               ;   in Loop: Header=BB31_27 Depth=3
	s_mov_b32 s16, 0
	s_mov_b32 s17, s37
.LBB31_31:                              ;   Parent Loop BB31_3 Depth=1
                                        ;     Parent Loop BB31_24 Depth=2
                                        ;       Parent Loop BB31_27 Depth=3
                                        ; =>      This Loop Header: Depth=4
                                        ;           Child Loop BB31_32 Depth 5
	v_mad_u32 v74, 0x70, s16, v72
	s_mov_b64 s[14:15], 0
	s_mov_b32 s42, s17
	ds_load_b32 v74, v74
.LBB31_32:                              ;   Parent Loop BB31_3 Depth=1
                                        ;     Parent Loop BB31_24 Depth=2
                                        ;       Parent Loop BB31_27 Depth=3
                                        ;         Parent Loop BB31_31 Depth=4
                                        ; =>        This Inner Loop Header: Depth=5
	v_mov_b32_e32 v75, s42
	s_mov_b32 m0, s14
	s_add_nc_u64 s[14:15], s[14:15], 1
	v_movrels_b32_e32 v76, v34
	s_addk_co_i32 s42, 0x70
	ds_load_b32 v75, v75
	s_cmp_eq_u32 s38, s14
	s_wait_dscnt 0x0
	v_fma_f32 v75, -v74, v75, v76
	s_delay_alu instid0(VALU_DEP_1)
	v_movreld_b32_e32 v34, v75
	s_cbranch_scc0 .LBB31_32
; %bb.33:                               ;   in Loop: Header=BB31_31 Depth=4
	s_add_co_i32 s16, s16, 1
	s_add_co_i32 s17, s17, 4
	s_cmp_eq_u32 s16, s22
	s_cbranch_scc0 .LBB31_31
.LBB31_34:                              ;   in Loop: Header=BB31_27 Depth=3
	s_mul_i32 s42, s22, 0x70
	s_mov_b64 s[14:15], 0
	s_mov_b32 s43, s40
	s_branch .LBB31_37
.LBB31_35:                              ;   in Loop: Header=BB31_37 Depth=4
	s_mov_b32 s45, s22
	s_mov_b64 s[16:17], 0
	s_mov_b32 s44, s42
.LBB31_36:                              ;   in Loop: Header=BB31_37 Depth=4
	s_mov_b32 m0, s16
	s_mul_i32 s16, s45, 0x74
	v_movrels_b32_e32 v75, v34
	v_mov_b32_e32 v74, s16
	s_add_nc_u64 s[14:15], s[14:15], 1
	s_addk_co_i32 s43, 0x70
	s_cmp_eq_u32 s14, s38
	ds_load_b32 v74, v74
	s_wait_dscnt 0x0
	v_dual_mul_f32 v74, v75, v74 :: v_dual_add_nc_u32 v75, s44, v72
	s_delay_alu instid0(VALU_DEP_1)
	v_movreld_b32_e32 v34, v74
	ds_store_b32 v75, v74
	s_cbranch_scc1 .LBB31_26
.LBB31_37:                              ;   Parent Loop BB31_3 Depth=1
                                        ;     Parent Loop BB31_24 Depth=2
                                        ;       Parent Loop BB31_27 Depth=3
                                        ; =>      This Loop Header: Depth=4
                                        ;           Child Loop BB31_39 Depth 5
	s_cmp_eq_u32 s14, 0
	s_cbranch_scc1 .LBB31_35
; %bb.38:                               ;   in Loop: Header=BB31_37 Depth=4
	s_add_co_i32 s45, s14, s22
	s_mov_b64 s[16:17], 0
	s_mul_i32 s44, s45, 0x70
	s_mov_b32 s46, s43
.LBB31_39:                              ;   Parent Loop BB31_3 Depth=1
                                        ;     Parent Loop BB31_24 Depth=2
                                        ;       Parent Loop BB31_27 Depth=3
                                        ;         Parent Loop BB31_37 Depth=4
                                        ; =>        This Inner Loop Header: Depth=5
	s_delay_alu instid0(SALU_CYCLE_1)
	v_mov_b32_e32 v74, s46
	s_mov_b32 m0, s16
	s_add_nc_u64 s[16:17], s[16:17], 1
	v_movrels_b32_e32 v75, v34
	s_mov_b32 m0, s14
	ds_load_b32 v74, v74
	v_movrels_b32_e32 v76, v34
	s_add_co_i32 s46, s46, 4
	s_cmp_eq_u32 s14, s16
	s_wait_dscnt 0x0
	s_delay_alu instid0(VALU_DEP_1) | instskip(NEXT) | instid1(VALU_DEP_1)
	v_fma_f32 v74, -v75, v74, v76
	v_movreld_b32_e32 v34, v74
	s_cbranch_scc0 .LBB31_39
; %bb.40:                               ;   in Loop: Header=BB31_37 Depth=4
	s_mov_b64 s[16:17], s[14:15]
	s_branch .LBB31_36
.LBB31_41:                              ;   in Loop: Header=BB31_24 Depth=2
	s_cmp_lt_i32 s22, s1
	s_cselect_b32 s15, -1, 0
	s_add_co_i32 s14, s23, 1
	s_cmp_lt_u32 s23, 2
	s_cselect_b32 s16, -1, 0
	s_delay_alu instid0(SALU_CYCLE_1) | instskip(NEXT) | instid1(SALU_CYCLE_1)
	s_and_b32 s15, s15, s16
	s_and_b32 vcc_lo, exec_lo, s15
	s_cbranch_vccz .LBB31_43
; %bb.42:                               ;   in Loop: Header=BB31_24 Depth=2
	s_wait_xcnt 0x0
	s_mov_b32 s23, s14
	s_branch .LBB31_24
.LBB31_43:                              ;   in Loop: Header=BB31_3 Depth=1
	s_mov_b32 s14, 0
.LBB31_44:                              ;   in Loop: Header=BB31_3 Depth=1
	s_delay_alu instid0(SALU_CYCLE_1)
	s_and_b32 vcc_lo, exec_lo, s14
	s_cbranch_vccz .LBB31_64
; %bb.45:                               ;   in Loop: Header=BB31_3 Depth=1
	s_wait_xcnt 0x0
	s_mov_b32 s23, 0
	s_mov_b32 s22, s26
	s_load_b32 s24, s[8:9], s23 offset:0x0 scale_offset
	s_wait_kmcnt 0x0
	s_add_co_i32 s25, s24, -1
	s_delay_alu instid0(SALU_CYCLE_1)
	s_cmp_lt_i32 s22, s25
	s_cbranch_scc1 .LBB31_61
.LBB31_46:                              ;   in Loop: Header=BB31_3 Depth=1
	v_mad_u32 v34, 0x70, s22, v72
	s_lshl_b32 s14, s22, 2
	s_lshl_b32 s15, s24, 2
	s_max_i32 s37, s24, 1
	s_mul_i32 s38, s24, 0xffffff90
	s_add_co_i32 s39, s18, s14
	s_sub_co_i32 s40, 0, s15
	s_mul_i32 s41, s22, 0x74
	s_mul_i32 s42, s24, 0xffffff8c
	s_branch .LBB31_48
.LBB31_47:                              ;   in Loop: Header=BB31_48 Depth=2
	v_add_nc_u32_e32 v34, s38, v34
	s_sub_co_i32 s22, s22, s24
	s_add_co_i32 s39, s39, s40
	s_add_co_i32 s41, s41, s42
	s_cmp_lt_i32 s22, s25
	s_cbranch_scc1 .LBB31_61
.LBB31_48:                              ;   Parent Loop BB31_3 Depth=1
                                        ; =>  This Loop Header: Depth=2
                                        ;       Child Loop BB31_49 Depth 3
                                        ;       Child Loop BB31_51 Depth 3
                                        ;         Child Loop BB31_52 Depth 4
                                        ;       Child Loop BB31_57 Depth 3
                                        ;         Child Loop BB31_59 Depth 4
	s_delay_alu instid0(VALU_DEP_1)
	v_mov_b32_e32 v35, v34
	s_mov_b64 s[14:15], 0
.LBB31_49:                              ;   Parent Loop BB31_3 Depth=1
                                        ;     Parent Loop BB31_48 Depth=2
                                        ; =>    This Inner Loop Header: Depth=3
	ds_load_b32 v36, v35
	v_add_nc_u32_e32 v35, 0xffffff90, v35
	s_mov_b32 m0, s14
	s_add_nc_u64 s[14:15], s[14:15], 1
	s_delay_alu instid0(SALU_CYCLE_1)
	s_cmp_eq_u32 s37, s14
	s_wait_dscnt 0x0
	v_movreld_b32_e32 v2, v36
	s_cbranch_scc0 .LBB31_49
; %bb.50:                               ;   in Loop: Header=BB31_48 Depth=2
	s_cmp_le_i32 s26, s22
	s_mov_b32 s16, s39
	s_mov_b32 s17, s26
	s_cbranch_scc1 .LBB31_54
.LBB31_51:                              ;   Parent Loop BB31_3 Depth=1
                                        ;     Parent Loop BB31_48 Depth=2
                                        ; =>    This Loop Header: Depth=3
                                        ;         Child Loop BB31_52 Depth 4
	v_mad_u32 v35, 0x70, s17, v72
	s_mov_b64 s[14:15], 0
	s_mov_b32 s43, s16
	ds_load_b32 v35, v35
.LBB31_52:                              ;   Parent Loop BB31_3 Depth=1
                                        ;     Parent Loop BB31_48 Depth=2
                                        ;       Parent Loop BB31_51 Depth=3
                                        ; =>      This Inner Loop Header: Depth=4
	v_mov_b32_e32 v36, s43
	s_mov_b32 m0, s14
	s_add_nc_u64 s[14:15], s[14:15], 1
	v_movrels_b32_e32 v37, v2
	s_add_co_i32 s43, s43, -4
	ds_load_b32 v36, v36
	s_cmp_eq_u32 s37, s14
	s_wait_dscnt 0x0
	v_fma_f32 v36, -v35, v36, v37
	s_delay_alu instid0(VALU_DEP_1)
	v_movreld_b32_e32 v2, v36
	s_cbranch_scc0 .LBB31_52
; %bb.53:                               ;   in Loop: Header=BB31_51 Depth=3
	s_add_co_i32 s17, s17, -1
	s_addk_co_i32 s16, 0xff90
	s_cmp_le_i32 s17, s22
	s_cbranch_scc0 .LBB31_51
.LBB31_54:                              ;   in Loop: Header=BB31_48 Depth=2
	s_mov_b64 s[14:15], 0
	s_mov_b32 s43, s41
	s_branch .LBB31_57
.LBB31_55:                              ;   in Loop: Header=BB31_57 Depth=3
	s_mov_b32 s44, s22
	s_mov_b64 s[16:17], 0
.LBB31_56:                              ;   in Loop: Header=BB31_57 Depth=3
	s_delay_alu instid0(SALU_CYCLE_1)
	s_mov_b32 m0, s16
	s_mul_i32 s16, s44, 0x74
	v_mad_u32 v37, 0x70, s44, v72
	v_mov_b32_e32 v35, s16
	v_movrels_b32_e32 v36, v2
	s_add_nc_u64 s[14:15], s[14:15], 1
	s_add_co_i32 s43, s43, -4
	s_cmp_eq_u32 s14, s37
	ds_load_b32 v35, v35
	s_wait_dscnt 0x0
	v_mul_f32_e32 v35, v36, v35
	s_delay_alu instid0(VALU_DEP_1)
	v_movreld_b32_e32 v2, v35
	ds_store_b32 v37, v35
	s_cbranch_scc1 .LBB31_47
.LBB31_57:                              ;   Parent Loop BB31_3 Depth=1
                                        ;     Parent Loop BB31_48 Depth=2
                                        ; =>    This Loop Header: Depth=3
                                        ;         Child Loop BB31_59 Depth 4
	s_cmp_eq_u32 s14, 0
	s_cbranch_scc1 .LBB31_55
; %bb.58:                               ;   in Loop: Header=BB31_57 Depth=3
	s_sub_co_i32 s44, s22, s14
	s_mov_b64 s[16:17], 0
	s_mov_b32 s45, s43
.LBB31_59:                              ;   Parent Loop BB31_3 Depth=1
                                        ;     Parent Loop BB31_48 Depth=2
                                        ;       Parent Loop BB31_57 Depth=3
                                        ; =>      This Inner Loop Header: Depth=4
	s_delay_alu instid0(SALU_CYCLE_1)
	v_mov_b32_e32 v35, s45
	s_mov_b32 m0, s16
	s_add_nc_u64 s[16:17], s[16:17], 1
	v_movrels_b32_e32 v36, v2
	s_mov_b32 m0, s14
	ds_load_b32 v35, v35
	v_movrels_b32_e32 v37, v2
	s_addk_co_i32 s45, 0xff90
	s_cmp_eq_u32 s14, s16
	s_wait_dscnt 0x0
	s_delay_alu instid0(VALU_DEP_1) | instskip(NEXT) | instid1(VALU_DEP_1)
	v_fma_f32 v35, -v36, v35, v37
	v_movreld_b32_e32 v2, v35
	s_cbranch_scc0 .LBB31_59
; %bb.60:                               ;   in Loop: Header=BB31_57 Depth=3
	s_mov_b64 s[16:17], s[14:15]
	s_branch .LBB31_56
.LBB31_61:                              ;   Parent Loop BB31_3 Depth=1
                                        ; =>  This Inner Loop Header: Depth=2
	s_cmp_gt_i32 s22, -1
	s_cselect_b32 s15, -1, 0
	s_add_co_i32 s14, s23, 1
	s_cmp_lt_u32 s23, 2
	s_cselect_b32 s16, -1, 0
	s_delay_alu instid0(SALU_CYCLE_1) | instskip(NEXT) | instid1(SALU_CYCLE_1)
	s_and_b32 s15, s15, s16
	s_and_not1_b32 vcc_lo, exec_lo, s15
	s_cbranch_vccnz .LBB31_63
; %bb.62:                               ;   in Loop: Header=BB31_61 Depth=2
	s_wait_xcnt 0x0
	s_mov_b32 s23, s14
	s_load_b32 s24, s[8:9], s23 offset:0x0 scale_offset
	s_wait_kmcnt 0x0
	s_add_co_i32 s25, s24, -1
	s_delay_alu instid0(SALU_CYCLE_1)
	s_cmp_lt_i32 s22, s25
	s_cbranch_scc0 .LBB31_46
	s_branch .LBB31_61
.LBB31_63:                              ;   in Loop: Header=BB31_3 Depth=1
	v_mov_b64_e32 v[64:65], v[32:33]
	v_mov_b64_e32 v[62:63], v[30:31]
	;; [unrolled: 1-line block ×16, first 2 shown]
.LBB31_64:                              ;   in Loop: Header=BB31_3 Depth=1
	s_delay_alu instid0(VALU_DEP_1) | instskip(NEXT) | instid1(VALU_DEP_3)
	v_mov_b64_e32 v[2:3], v[34:35]
	v_mov_b64_e32 v[4:5], v[36:37]
	v_mov_b64_e32 v[6:7], v[38:39]
	v_mov_b64_e32 v[8:9], v[40:41]
	v_mov_b64_e32 v[10:11], v[42:43]
	v_mov_b64_e32 v[12:13], v[44:45]
	v_mov_b64_e32 v[14:15], v[46:47]
	v_mov_b64_e32 v[16:17], v[48:49]
	v_mov_b64_e32 v[18:19], v[50:51]
	v_mov_b64_e32 v[20:21], v[52:53]
	v_mov_b64_e32 v[22:23], v[54:55]
	v_mov_b64_e32 v[24:25], v[56:57]
	v_mov_b64_e32 v[26:27], v[58:59]
	v_mov_b64_e32 v[28:29], v[60:61]
	v_mov_b64_e32 v[30:31], v[62:63]
	v_mov_b64_e32 v[32:33], v[64:65]
	s_wait_dscnt 0x0
	; wave barrier
	s_and_saveexec_b32 s14, s29
	s_cbranch_execz .LBB31_2
; %bb.65:                               ;   in Loop: Header=BB31_3 Depth=1
	s_and_not1_b32 vcc_lo, exec_lo, s34
	s_cbranch_vccnz .LBB31_69
; %bb.66:                               ;   in Loop: Header=BB31_3 Depth=1
	s_mov_b32 s15, 1
	s_mov_b32 s16, 0
	;; [unrolled: 1-line block ×3, first 2 shown]
.LBB31_67:                              ;   Parent Loop BB31_3 Depth=1
                                        ; =>  This Inner Loop Header: Depth=2
	v_mad_u32 v34, 0x70, s16, v72
	v_mad_u32 v35, 0x70, s15, v72
	s_add_co_i32 s17, s17, -2
	s_add_co_i32 s16, s16, 2
	s_add_co_i32 s15, s15, 2
	s_mov_b32 s22, s35
	s_cmp_lg_u32 s17, 0
	s_wait_xcnt 0x0
	s_mov_b32 s23, s36
	ds_load_b32 v34, v34
	ds_load_b32 v35, v35
	s_wait_dscnt 0x0
	global_store_b64 v[70:71], v[34:35], off
	s_wait_xcnt 0x0
	v_add_nc_u64_e32 v[70:71], 8, v[70:71]
	s_cbranch_scc1 .LBB31_67
; %bb.68:                               ;   in Loop: Header=BB31_3 Depth=1
	s_and_b32 vcc_lo, exec_lo, s23
	s_cbranch_vccz .LBB31_2
	s_branch .LBB31_70
.LBB31_69:                              ;   in Loop: Header=BB31_3 Depth=1
	s_wait_xcnt 0x0
	s_mov_b32 s22, 0
	s_cbranch_execz .LBB31_2
.LBB31_70:                              ;   in Loop: Header=BB31_3 Depth=1
	s_lshl_b32 s16, s22, 2
	s_mov_b32 s17, s3
	v_mad_u32 v36, 0x70, s22, v72
	s_add_nc_u64 s[12:13], s[12:13], s[16:17]
	s_delay_alu instid0(SALU_CYCLE_1)
	v_add_nc_u64_e32 v[34:35], s[12:13], v[68:69]
	s_sub_co_i32 s12, s1, s22
.LBB31_71:                              ;   Parent Loop BB31_3 Depth=1
                                        ; =>  This Inner Loop Header: Depth=2
	ds_load_b32 v37, v36
	v_add_nc_u32_e32 v36, 0x70, v36
	s_add_co_i32 s12, s12, -1
	s_delay_alu instid0(SALU_CYCLE_1)
	s_cmp_lg_u32 s12, 0
	s_wait_dscnt 0x0
	global_store_b32 v[34:35], v37, off
	s_wait_xcnt 0x0
	v_add_nc_u64_e32 v[34:35], 4, v[34:35]
	s_cbranch_scc1 .LBB31_71
	s_branch .LBB31_2
.LBB31_72:
	s_sendmsg sendmsg(MSG_DEALLOC_VGPRS)
	s_endpgm
	.section	.rodata,"a",@progbits
	.p2align	6, 0x0
	.amdhsa_kernel _ZL38rocblas_trsm_small_left_device_sharedBILi28ELi28ELb0EffPKfPfEv13rocblas_fill_18rocblas_operation_17rocblas_diagonal_iiT3_T4_lilT5_lili
		.amdhsa_group_segment_fixed_size 6272
		.amdhsa_private_segment_fixed_size 0
		.amdhsa_kernarg_size 352
		.amdhsa_user_sgpr_count 2
		.amdhsa_user_sgpr_dispatch_ptr 0
		.amdhsa_user_sgpr_queue_ptr 0
		.amdhsa_user_sgpr_kernarg_segment_ptr 1
		.amdhsa_user_sgpr_dispatch_id 0
		.amdhsa_user_sgpr_kernarg_preload_length 0
		.amdhsa_user_sgpr_kernarg_preload_offset 0
		.amdhsa_user_sgpr_private_segment_size 0
		.amdhsa_wavefront_size32 1
		.amdhsa_uses_dynamic_stack 0
		.amdhsa_enable_private_segment 0
		.amdhsa_system_sgpr_workgroup_id_x 1
		.amdhsa_system_sgpr_workgroup_id_y 0
		.amdhsa_system_sgpr_workgroup_id_z 1
		.amdhsa_system_sgpr_workgroup_info 0
		.amdhsa_system_vgpr_workitem_id 0
		.amdhsa_next_free_vgpr 77
		.amdhsa_next_free_sgpr 47
		.amdhsa_named_barrier_count 0
		.amdhsa_reserve_vcc 1
		.amdhsa_float_round_mode_32 0
		.amdhsa_float_round_mode_16_64 0
		.amdhsa_float_denorm_mode_32 3
		.amdhsa_float_denorm_mode_16_64 3
		.amdhsa_fp16_overflow 0
		.amdhsa_memory_ordered 1
		.amdhsa_forward_progress 1
		.amdhsa_inst_pref_size 23
		.amdhsa_round_robin_scheduling 0
		.amdhsa_exception_fp_ieee_invalid_op 0
		.amdhsa_exception_fp_denorm_src 0
		.amdhsa_exception_fp_ieee_div_zero 0
		.amdhsa_exception_fp_ieee_overflow 0
		.amdhsa_exception_fp_ieee_underflow 0
		.amdhsa_exception_fp_ieee_inexact 0
		.amdhsa_exception_int_div_zero 0
	.end_amdhsa_kernel
	.section	.text._ZL38rocblas_trsm_small_left_device_sharedBILi28ELi28ELb0EffPKfPfEv13rocblas_fill_18rocblas_operation_17rocblas_diagonal_iiT3_T4_lilT5_lili,"axG",@progbits,_ZL38rocblas_trsm_small_left_device_sharedBILi28ELi28ELb0EffPKfPfEv13rocblas_fill_18rocblas_operation_17rocblas_diagonal_iiT3_T4_lilT5_lili,comdat
.Lfunc_end31:
	.size	_ZL38rocblas_trsm_small_left_device_sharedBILi28ELi28ELb0EffPKfPfEv13rocblas_fill_18rocblas_operation_17rocblas_diagonal_iiT3_T4_lilT5_lili, .Lfunc_end31-_ZL38rocblas_trsm_small_left_device_sharedBILi28ELi28ELb0EffPKfPfEv13rocblas_fill_18rocblas_operation_17rocblas_diagonal_iiT3_T4_lilT5_lili
                                        ; -- End function
	.set _ZL38rocblas_trsm_small_left_device_sharedBILi28ELi28ELb0EffPKfPfEv13rocblas_fill_18rocblas_operation_17rocblas_diagonal_iiT3_T4_lilT5_lili.num_vgpr, 77
	.set _ZL38rocblas_trsm_small_left_device_sharedBILi28ELi28ELb0EffPKfPfEv13rocblas_fill_18rocblas_operation_17rocblas_diagonal_iiT3_T4_lilT5_lili.num_agpr, 0
	.set _ZL38rocblas_trsm_small_left_device_sharedBILi28ELi28ELb0EffPKfPfEv13rocblas_fill_18rocblas_operation_17rocblas_diagonal_iiT3_T4_lilT5_lili.numbered_sgpr, 47
	.set _ZL38rocblas_trsm_small_left_device_sharedBILi28ELi28ELb0EffPKfPfEv13rocblas_fill_18rocblas_operation_17rocblas_diagonal_iiT3_T4_lilT5_lili.num_named_barrier, 0
	.set _ZL38rocblas_trsm_small_left_device_sharedBILi28ELi28ELb0EffPKfPfEv13rocblas_fill_18rocblas_operation_17rocblas_diagonal_iiT3_T4_lilT5_lili.private_seg_size, 0
	.set _ZL38rocblas_trsm_small_left_device_sharedBILi28ELi28ELb0EffPKfPfEv13rocblas_fill_18rocblas_operation_17rocblas_diagonal_iiT3_T4_lilT5_lili.uses_vcc, 1
	.set _ZL38rocblas_trsm_small_left_device_sharedBILi28ELi28ELb0EffPKfPfEv13rocblas_fill_18rocblas_operation_17rocblas_diagonal_iiT3_T4_lilT5_lili.uses_flat_scratch, 0
	.set _ZL38rocblas_trsm_small_left_device_sharedBILi28ELi28ELb0EffPKfPfEv13rocblas_fill_18rocblas_operation_17rocblas_diagonal_iiT3_T4_lilT5_lili.has_dyn_sized_stack, 0
	.set _ZL38rocblas_trsm_small_left_device_sharedBILi28ELi28ELb0EffPKfPfEv13rocblas_fill_18rocblas_operation_17rocblas_diagonal_iiT3_T4_lilT5_lili.has_recursion, 0
	.set _ZL38rocblas_trsm_small_left_device_sharedBILi28ELi28ELb0EffPKfPfEv13rocblas_fill_18rocblas_operation_17rocblas_diagonal_iiT3_T4_lilT5_lili.has_indirect_call, 0
	.section	.AMDGPU.csdata,"",@progbits
; Kernel info:
; codeLenInByte = 2852
; TotalNumSgprs: 49
; NumVgprs: 77
; ScratchSize: 0
; MemoryBound: 0
; FloatMode: 240
; IeeeMode: 1
; LDSByteSize: 6272 bytes/workgroup (compile time only)
; SGPRBlocks: 0
; VGPRBlocks: 4
; NumSGPRsForWavesPerEU: 49
; NumVGPRsForWavesPerEU: 77
; NamedBarCnt: 0
; Occupancy: 12
; WaveLimiterHint : 0
; COMPUTE_PGM_RSRC2:SCRATCH_EN: 0
; COMPUTE_PGM_RSRC2:USER_SGPR: 2
; COMPUTE_PGM_RSRC2:TRAP_HANDLER: 0
; COMPUTE_PGM_RSRC2:TGID_X_EN: 1
; COMPUTE_PGM_RSRC2:TGID_Y_EN: 0
; COMPUTE_PGM_RSRC2:TGID_Z_EN: 1
; COMPUTE_PGM_RSRC2:TIDIG_COMP_CNT: 0
	.section	.text._ZL30rocblas_trsm_small_left_deviceILi28ELi28ELb0EffPKfPfEv13rocblas_fill_18rocblas_operation_17rocblas_diagonal_iiT3_T4_lilT5_lili,"axG",@progbits,_ZL30rocblas_trsm_small_left_deviceILi28ELi28ELb0EffPKfPfEv13rocblas_fill_18rocblas_operation_17rocblas_diagonal_iiT3_T4_lilT5_lili,comdat
	.globl	_ZL30rocblas_trsm_small_left_deviceILi28ELi28ELb0EffPKfPfEv13rocblas_fill_18rocblas_operation_17rocblas_diagonal_iiT3_T4_lilT5_lili ; -- Begin function _ZL30rocblas_trsm_small_left_deviceILi28ELi28ELb0EffPKfPfEv13rocblas_fill_18rocblas_operation_17rocblas_diagonal_iiT3_T4_lilT5_lili
	.p2align	8
	.type	_ZL30rocblas_trsm_small_left_deviceILi28ELi28ELb0EffPKfPfEv13rocblas_fill_18rocblas_operation_17rocblas_diagonal_iiT3_T4_lilT5_lili,@function
_ZL30rocblas_trsm_small_left_deviceILi28ELi28ELb0EffPKfPfEv13rocblas_fill_18rocblas_operation_17rocblas_diagonal_iiT3_T4_lilT5_lili: ; @_ZL30rocblas_trsm_small_left_deviceILi28ELi28ELb0EffPKfPfEv13rocblas_fill_18rocblas_operation_17rocblas_diagonal_iiT3_T4_lilT5_lili
; %bb.0:
	s_load_b32 s30, s[0:1], 0x58
	s_bfe_u32 s2, ttmp6, 0x40014
	s_lshr_b32 s4, ttmp7, 16
	s_add_co_i32 s2, s2, 1
	s_bfe_u32 s5, ttmp6, 0x40008
	s_mul_i32 s2, s4, s2
	s_getreg_b32 s3, hwreg(HW_REG_IB_STS2, 6, 4)
	s_add_co_i32 s5, s5, s2
	s_cmp_eq_u32 s3, 0
	s_mov_b32 s19, 0
	s_cselect_b32 s2, s4, s5
	s_wait_kmcnt 0x0
	s_cmp_ge_u32 s2, s30
	s_cbranch_scc1 .LBB32_58
; %bb.1:
	s_clause 0x7
	s_load_b32 s24, s[0:1], 0x28
	s_load_b96 s[16:18], s[0:1], 0x40
	s_load_b128 s[8:11], s[0:1], 0x4
	s_load_b128 s[4:7], s[0:1], 0x18
	s_load_b32 s26, s[0:1], 0x60
	s_load_b128 s[12:15], s[0:1], 0x30
	s_load_b64 s[20:21], s[0:1], 0x50
	s_load_b32 s31, s[0:1], 0x14
	v_dual_mov_b32 v67, 0 :: v_dual_lshlrev_b32 v66, 2, v0
	v_mul_u32_u24_e32 v32, 0x70, v0
	s_mov_b32 s41, 0
	s_get_pc_i64 s[22:23]
	s_add_nc_u64 s[22:23], s[22:23], __const._ZL30rocblas_trsm_small_left_deviceILi28ELi28ELb0EffPKfPfEv13rocblas_fill_18rocblas_operation_17rocblas_diagonal_iiT3_T4_lilT5_lili.step_sizes@rel64+4
	v_dual_mov_b32 v2, v67 :: v_dual_mov_b32 v3, v67
	v_dual_mov_b32 v4, v67 :: v_dual_mov_b32 v5, v67
	;; [unrolled: 1-line block ×4, first 2 shown]
	s_wait_kmcnt 0x0
	s_ashr_i32 s25, s24, 31
	v_dual_mov_b32 v10, v67 :: v_dual_mov_b32 v11, v67
	s_cmp_eq_u64 s[24:25], 1
	v_dual_mov_b32 v12, v67 :: v_dual_mov_b32 v13, v67
	s_cselect_b32 s27, -1, 0
	s_bfe_u32 s0, ttmp6, 0x4000c
	s_min_i32 s33, s10, 28
	s_add_co_i32 s0, s0, 1
	s_and_b32 s10, ttmp6, 15
	s_mul_i32 s0, ttmp9, s0
	s_ashr_i32 s1, s18, 31
	s_lshl_b64 s[16:17], s[16:17], 2
	s_add_co_i32 s26, s26, -1
	s_add_co_i32 s34, s33, -1
	s_add_co_i32 s10, s10, s0
	s_cmp_eq_u32 s3, 0
	s_mov_b32 s0, s18
	s_cselect_b32 s3, ttmp9, s10
	v_dual_mov_b32 v14, v67 :: v_dual_mov_b32 v15, v67
	v_mad_u32 v22, s3, 28, v0
	v_dual_mov_b32 v18, v67 :: v_dual_mov_b32 v16, v67
	v_dual_mov_b32 v17, v67 :: v_dual_mov_b32 v19, v67
	;; [unrolled: 1-line block ×5, first 2 shown]
	v_dual_mov_b32 v28, v67 :: v_dual_ashrrev_i32 v23, 31, v22
	v_mov_b32_e32 v29, v67
	s_mul_i32 s40, s33, 0x70
	s_delay_alu instid0(VALU_DEP_2)
	v_mul_u64_e32 v[30:31], s[0:1], v[22:23]
	s_mul_i32 s0, s3, 0xffffffe4
	v_mov_b32_e32 v22, v67
	s_add_co_i32 s0, s11, s0
	s_cmp_ge_u32 s3, s26
	s_add_nc_u64 s[10:11], s[14:15], s[16:17]
	s_cselect_b32 s1, s0, 28
	s_cmp_lg_u32 s9, 0x84
	v_cmp_gt_i32_e64 s0, s33, v0
	s_cselect_b32 s35, -1, 0
	s_cmp_lg_u32 s8, 0x6f
	v_cmp_gt_i32_e64 s1, s1, v0
	s_cselect_b32 s36, -1, 0
	s_cmp_gt_u32 s33, 1
	v_mov_b32_e32 v23, v67
	s_cselect_b32 s3, -1, 0
	s_and_b32 s37, s33, -2
	s_and_b32 s38, s3, s27
	s_cmp_lg_u32 s33, s37
	s_cselect_b32 s39, -1, 0
	s_lshl_b64 s[8:9], s[6:7], 2
	s_lshl_b64 s[6:7], s[12:13], 2
	s_add_nc_u64 s[8:9], s[4:5], s[8:9]
	s_lshl_b64 s[4:5], s[24:25], 2
	v_add_nc_u64_e32 v[0:1], s[8:9], v[66:67]
	v_add_nc_u32_e32 v67, v66, v32
	s_lshl_b64 s[8:9], s[20:21], 2
	s_addk_co_i32 s40, 0xff90
	v_lshl_add_u64 v[68:69], v[30:31], 2, s[10:11]
	s_branch .LBB32_5
.LBB32_2:                               ;   in Loop: Header=BB32_5 Depth=1
	s_wait_xcnt 0x0
	v_mov_b64_e32 v[64:65], v[32:33]
	v_mov_b64_e32 v[62:63], v[30:31]
	;; [unrolled: 1-line block ×16, first 2 shown]
.LBB32_3:                               ;   in Loop: Header=BB32_5 Depth=1
	s_add_co_i32 s2, s2, 0x10000
	s_delay_alu instid0(SALU_CYCLE_1) | instskip(SKIP_1) | instid1(SALU_CYCLE_1)
	s_cmp_ge_u32 s2, s30
	s_cselect_b32 s3, -1, 0
	s_or_not1_b32 s10, s3, exec_lo
.LBB32_4:                               ;   in Loop: Header=BB32_5 Depth=1
	s_wait_xcnt 0x0
	s_or_b32 exec_lo, exec_lo, s42
	v_mov_b64_e32 v[2:3], v[34:35]
	v_mov_b64_e32 v[4:5], v[36:37]
	;; [unrolled: 1-line block ×16, first 2 shown]
	s_and_b32 s3, exec_lo, s10
	s_delay_alu instid0(SALU_CYCLE_1) | instskip(NEXT) | instid1(SALU_CYCLE_1)
	s_or_b32 s41, s3, s41
	s_and_not1_b32 exec_lo, exec_lo, s41
	s_cbranch_execz .LBB32_58
.LBB32_5:                               ; =>This Loop Header: Depth=1
                                        ;     Child Loop BB32_8 Depth 2
                                        ;     Child Loop BB32_12 Depth 2
                                        ;     Child Loop BB32_19 Depth 2
                                        ;       Child Loop BB32_22 Depth 3
                                        ;         Child Loop BB32_23 Depth 4
                                        ;         Child Loop BB32_26 Depth 4
                                        ;           Child Loop BB32_27 Depth 5
                                        ;         Child Loop BB32_32 Depth 4
                                        ;           Child Loop BB32_34 Depth 5
                                        ;     Child Loop BB32_43 Depth 2
                                        ;       Child Loop BB32_44 Depth 3
                                        ;       Child Loop BB32_46 Depth 3
                                        ;         Child Loop BB32_47 Depth 4
                                        ;       Child Loop BB32_52 Depth 3
                                        ;         Child Loop BB32_54 Depth 4
                                        ;     Child Loop BB32_56 Depth 2
	s_mov_b32 s3, s19
	s_and_saveexec_b32 s12, s0
	s_cbranch_execz .LBB32_16
; %bb.6:                                ;   in Loop: Header=BB32_5 Depth=1
	s_and_not1_b32 vcc_lo, exec_lo, s38
	s_mul_u64 s[10:11], s[6:7], s[2:3]
	s_cbranch_vccnz .LBB32_10
; %bb.7:                                ;   in Loop: Header=BB32_5 Depth=1
	v_add_nc_u64_e32 v[34:35], s[10:11], v[0:1]
	s_mov_b32 s13, 1
	s_mov_b32 s14, 0
	;; [unrolled: 1-line block ×3, first 2 shown]
.LBB32_8:                               ;   Parent Loop BB32_5 Depth=1
                                        ; =>  This Inner Loop Header: Depth=2
	global_load_b64 v[36:37], v[34:35], off
	v_mad_u32 v38, 0x70, s14, v66
	v_mad_u32 v39, 0x70, s13, v66
	s_wait_xcnt 0x0
	v_add_nc_u64_e32 v[34:35], 8, v[34:35]
	s_add_co_i32 s15, s15, -2
	s_add_co_i32 s14, s14, 2
	s_add_co_i32 s13, s13, 2
	s_mov_b32 s18, s37
	s_mov_b32 s16, s39
	s_cmp_lg_u32 s15, 0
	s_wait_loadcnt 0x0
	ds_store_b32 v38, v36
	ds_store_b32 v39, v37
	s_cbranch_scc1 .LBB32_8
; %bb.9:                                ;   in Loop: Header=BB32_5 Depth=1
	s_and_b32 vcc_lo, exec_lo, s16
	s_cbranch_vccnz .LBB32_11
	s_branch .LBB32_13
.LBB32_10:                              ;   in Loop: Header=BB32_5 Depth=1
	s_mov_b32 s18, 0
	s_cbranch_execz .LBB32_13
.LBB32_11:                              ;   in Loop: Header=BB32_5 Depth=1
	s_mul_u64 s[14:15], s[4:5], s[18:19]
	v_mad_u32 v36, 0x70, s18, v66
	s_add_nc_u64 s[10:11], s[14:15], s[10:11]
	s_delay_alu instid0(SALU_CYCLE_1)
	v_add_nc_u64_e32 v[34:35], s[10:11], v[0:1]
	s_sub_co_i32 s10, s33, s18
.LBB32_12:                              ;   Parent Loop BB32_5 Depth=1
                                        ; =>  This Inner Loop Header: Depth=2
	global_load_b32 v37, v[34:35], off
	s_wait_xcnt 0x0
	v_add_nc_u64_e32 v[34:35], s[4:5], v[34:35]
	s_add_co_i32 s10, s10, -1
	s_delay_alu instid0(SALU_CYCLE_1)
	s_cmp_eq_u32 s10, 0
	s_wait_loadcnt 0x0
	ds_store_b32 v36, v37
	v_add_nc_u32_e32 v36, 0x70, v36
	s_cbranch_scc0 .LBB32_12
.LBB32_13:                              ;   in Loop: Header=BB32_5 Depth=1
	v_mov_b32_e32 v34, 1.0
	s_and_b32 vcc_lo, exec_lo, s35
	s_cbranch_vccz .LBB32_15
; %bb.14:                               ;   in Loop: Header=BB32_5 Depth=1
	ds_load_b32 v34, v67
	s_wait_dscnt 0x0
	v_div_scale_f32 v35, null, v34, v34, 1.0
	s_delay_alu instid0(VALU_DEP_1) | instskip(SKIP_1) | instid1(TRANS32_DEP_1)
	v_rcp_f32_e32 v36, v35
	v_nop
	v_fma_f32 v37, -v35, v36, 1.0
	s_delay_alu instid0(VALU_DEP_1) | instskip(SKIP_1) | instid1(VALU_DEP_1)
	v_fmac_f32_e32 v36, v37, v36
	v_div_scale_f32 v37, vcc_lo, 1.0, v34, 1.0
	v_mul_f32_e32 v38, v37, v36
	s_delay_alu instid0(VALU_DEP_1) | instskip(NEXT) | instid1(VALU_DEP_1)
	v_fma_f32 v39, -v35, v38, v37
	v_fmac_f32_e32 v38, v39, v36
	s_delay_alu instid0(VALU_DEP_1) | instskip(NEXT) | instid1(VALU_DEP_1)
	v_fma_f32 v35, -v35, v38, v37
	v_div_fmas_f32 v35, v35, v36, v38
	s_delay_alu instid0(VALU_DEP_1)
	v_div_fixup_f32 v34, v35, v34, 1.0
.LBB32_15:                              ;   in Loop: Header=BB32_5 Depth=1
	ds_store_b32 v67, v34
.LBB32_16:                              ;   in Loop: Header=BB32_5 Depth=1
	s_or_b32 exec_lo, exec_lo, s12
	s_mov_b32 s10, -1
	s_wait_dscnt 0x0
	; wave barrier
                                        ; implicit-def: $vgpr34_vgpr35_vgpr36_vgpr37_vgpr38_vgpr39_vgpr40_vgpr41_vgpr42_vgpr43_vgpr44_vgpr45_vgpr46_vgpr47_vgpr48_vgpr49_vgpr50_vgpr51_vgpr52_vgpr53_vgpr54_vgpr55_vgpr56_vgpr57_vgpr58_vgpr59_vgpr60_vgpr61_vgpr62_vgpr63_vgpr64_vgpr65
	s_and_saveexec_b32 s42, s1
	s_cbranch_execz .LBB32_4
; %bb.17:                               ;   in Loop: Header=BB32_5 Depth=1
	s_mul_u64 s[10:11], s[20:21], s[2:3]
	s_and_not1_b32 vcc_lo, exec_lo, s36
	v_lshl_add_u64 v[70:71], s[10:11], 2, v[68:69]
	s_mul_u64 s[10:11], s[8:9], s[2:3]
	s_mov_b32 s3, -1
                                        ; implicit-def: $vgpr34_vgpr35_vgpr36_vgpr37_vgpr38_vgpr39_vgpr40_vgpr41_vgpr42_vgpr43_vgpr44_vgpr45_vgpr46_vgpr47_vgpr48_vgpr49_vgpr50_vgpr51_vgpr52_vgpr53_vgpr54_vgpr55_vgpr56_vgpr57_vgpr58_vgpr59_vgpr60_vgpr61_vgpr62_vgpr63_vgpr64_vgpr65
	s_cbranch_vccnz .LBB32_39
; %bb.18:                               ;   in Loop: Header=BB32_5 Depth=1
	v_mov_b64_e32 v[64:65], v[32:33]
	v_add_nc_u64_e32 v[72:73], s[10:11], v[68:69]
	v_mov_b64_e32 v[62:63], v[30:31]
	v_mov_b64_e32 v[60:61], v[28:29]
	;; [unrolled: 1-line block ×15, first 2 shown]
	s_mov_b32 s3, 0
	s_mov_b32 s12, 0
.LBB32_19:                              ;   Parent Loop BB32_5 Depth=1
                                        ; =>  This Loop Header: Depth=2
                                        ;       Child Loop BB32_22 Depth 3
                                        ;         Child Loop BB32_23 Depth 4
                                        ;         Child Loop BB32_26 Depth 4
                                        ;           Child Loop BB32_27 Depth 5
                                        ;         Child Loop BB32_32 Depth 4
                                        ;           Child Loop BB32_34 Depth 5
	s_load_b32 s14, s[22:23], s3 offset:0x0 scale_offset
	s_wait_kmcnt 0x0
	s_add_co_i32 s43, s14, -1
	s_delay_alu instid0(SALU_CYCLE_1) | instskip(NEXT) | instid1(SALU_CYCLE_1)
	s_add_co_i32 s13, s43, s12
	s_cmp_ge_i32 s13, s33
	s_cbranch_scc1 .LBB32_36
; %bb.20:                               ;   in Loop: Header=BB32_19 Depth=2
	s_ashr_i32 s13, s12, 31
	s_ashr_i32 s15, s14, 31
	v_lshl_add_u64 v[74:75], s[12:13], 2, v[72:73]
	s_max_i32 s44, s14, 1
	s_lshl_b64 s[16:17], s[14:15], 2
	s_mul_i32 s13, s12, 0x70
	s_mul_i32 s15, s14, 0x70
	;; [unrolled: 1-line block ×4, first 2 shown]
	s_branch .LBB32_22
.LBB32_21:                              ;   in Loop: Header=BB32_22 Depth=3
	v_add_nc_u64_e32 v[74:75], s[16:17], v[74:75]
	s_add_co_i32 s12, s12, s14
	s_add_co_i32 s13, s13, s15
	;; [unrolled: 1-line block ×4, first 2 shown]
	s_cmp_ge_i32 s18, s33
	s_cbranch_scc1 .LBB32_36
.LBB32_22:                              ;   Parent Loop BB32_5 Depth=1
                                        ;     Parent Loop BB32_19 Depth=2
                                        ; =>    This Loop Header: Depth=3
                                        ;         Child Loop BB32_23 Depth 4
                                        ;         Child Loop BB32_26 Depth 4
                                        ;           Child Loop BB32_27 Depth 5
                                        ;         Child Loop BB32_32 Depth 4
                                        ;           Child Loop BB32_34 Depth 5
	s_wait_xcnt 0x0
	v_mov_b64_e32 v[76:77], v[74:75]
	s_mov_b64 s[24:25], 0
.LBB32_23:                              ;   Parent Loop BB32_5 Depth=1
                                        ;     Parent Loop BB32_19 Depth=2
                                        ;       Parent Loop BB32_22 Depth=3
                                        ; =>      This Inner Loop Header: Depth=4
	global_load_b32 v78, v[76:77], off
	s_wait_xcnt 0x0
	v_add_nc_u64_e32 v[76:77], 4, v[76:77]
	s_mov_b32 m0, s24
	s_add_nc_u64 s[24:25], s[24:25], 1
	s_delay_alu instid0(SALU_CYCLE_1) | instskip(SKIP_2) | instid1(VALU_DEP_1)
	s_cmp_eq_u32 s44, s24
	s_wait_loadcnt 0x0
	v_mul_f32_e32 v78, s31, v78
	v_movreld_b32_e32 v34, v78
	s_cbranch_scc0 .LBB32_23
; %bb.24:                               ;   in Loop: Header=BB32_22 Depth=3
	s_cmp_lt_i32 s12, 1
	s_cbranch_scc1 .LBB32_29
; %bb.25:                               ;   in Loop: Header=BB32_22 Depth=3
	s_mov_b32 s18, 0
	s_mov_b32 s26, s13
.LBB32_26:                              ;   Parent Loop BB32_5 Depth=1
                                        ;     Parent Loop BB32_19 Depth=2
                                        ;       Parent Loop BB32_22 Depth=3
                                        ; =>      This Loop Header: Depth=4
                                        ;           Child Loop BB32_27 Depth 5
	v_lshl_add_u64 v[76:77], s[18:19], 2, v[70:71]
	s_mov_b64 s[24:25], 0
	s_mov_b32 s27, s26
	global_load_b32 v76, v[76:77], off
.LBB32_27:                              ;   Parent Loop BB32_5 Depth=1
                                        ;     Parent Loop BB32_19 Depth=2
                                        ;       Parent Loop BB32_22 Depth=3
                                        ;         Parent Loop BB32_26 Depth=4
                                        ; =>        This Inner Loop Header: Depth=5
	s_wait_xcnt 0x0
	v_mov_b32_e32 v77, s27
	s_mov_b32 m0, s24
	s_add_nc_u64 s[24:25], s[24:25], 1
	v_movrels_b32_e32 v78, v34
	s_addk_co_i32 s27, 0x70
	ds_load_b32 v77, v77
	s_cmp_eq_u32 s44, s24
	s_wait_loadcnt_dscnt 0x0
	v_fma_f32 v77, -v76, v77, v78
	s_delay_alu instid0(VALU_DEP_1)
	v_movreld_b32_e32 v34, v77
	s_cbranch_scc0 .LBB32_27
; %bb.28:                               ;   in Loop: Header=BB32_26 Depth=4
	s_add_co_i32 s18, s18, 1
	s_add_co_i32 s26, s26, 4
	s_cmp_eq_u32 s18, s12
	s_cbranch_scc0 .LBB32_26
.LBB32_29:                              ;   in Loop: Header=BB32_22 Depth=3
	s_mov_b64 s[24:25], 0
	s_mov_b32 s18, s45
	s_branch .LBB32_32
.LBB32_30:                              ;   in Loop: Header=BB32_32 Depth=4
	s_mov_b32 s26, s12
	s_mov_b64 s[28:29], 0
.LBB32_31:                              ;   in Loop: Header=BB32_32 Depth=4
	s_mul_i32 s27, s26, 0x74
	s_mov_b32 m0, s28
	s_wait_xcnt 0x0
	v_mov_b32_e32 v76, s27
	v_movrels_b32_e32 v77, v34
	s_ashr_i32 s27, s26, 31
	s_add_nc_u64 s[24:25], s[24:25], 1
	s_addk_co_i32 s18, 0x70
	ds_load_b32 v76, v76
	s_cmp_eq_u32 s24, s44
	s_wait_dscnt 0x0
	v_mul_f32_e32 v78, v77, v76
	v_lshl_add_u64 v[76:77], s[26:27], 2, v[70:71]
	s_delay_alu instid0(VALU_DEP_2)
	v_movreld_b32_e32 v34, v78
	global_store_b32 v[76:77], v78, off
	s_cbranch_scc1 .LBB32_21
.LBB32_32:                              ;   Parent Loop BB32_5 Depth=1
                                        ;     Parent Loop BB32_19 Depth=2
                                        ;       Parent Loop BB32_22 Depth=3
                                        ; =>      This Loop Header: Depth=4
                                        ;           Child Loop BB32_34 Depth 5
	s_cmp_eq_u32 s24, 0
	s_cbranch_scc1 .LBB32_30
; %bb.33:                               ;   in Loop: Header=BB32_32 Depth=4
	s_add_co_i32 s26, s24, s12
	s_mov_b64 s[28:29], 0
	s_mov_b32 s27, s18
.LBB32_34:                              ;   Parent Loop BB32_5 Depth=1
                                        ;     Parent Loop BB32_19 Depth=2
                                        ;       Parent Loop BB32_22 Depth=3
                                        ;         Parent Loop BB32_32 Depth=4
                                        ; =>        This Inner Loop Header: Depth=5
	s_wait_xcnt 0x0
	v_mov_b32_e32 v76, s27
	s_mov_b32 m0, s28
	s_add_nc_u64 s[28:29], s[28:29], 1
	v_movrels_b32_e32 v77, v34
	s_mov_b32 m0, s24
	ds_load_b32 v76, v76
	v_movrels_b32_e32 v78, v34
	s_add_co_i32 s27, s27, 4
	s_cmp_eq_u32 s24, s28
	s_wait_dscnt 0x0
	s_delay_alu instid0(VALU_DEP_1) | instskip(NEXT) | instid1(VALU_DEP_1)
	v_fma_f32 v76, -v77, v76, v78
	v_movreld_b32_e32 v34, v76
	s_cbranch_scc0 .LBB32_34
; %bb.35:                               ;   in Loop: Header=BB32_32 Depth=4
	s_mov_b64 s[28:29], s[24:25]
	s_branch .LBB32_31
.LBB32_36:                              ;   in Loop: Header=BB32_19 Depth=2
	s_cmp_lt_i32 s12, s33
	s_cselect_b32 s14, -1, 0
	s_add_co_i32 s13, s3, 1
	s_cmp_lt_u32 s3, 2
	s_wait_xcnt 0x0
	s_cselect_b32 s3, -1, 0
	s_delay_alu instid0(SALU_CYCLE_1) | instskip(NEXT) | instid1(SALU_CYCLE_1)
	s_and_b32 s3, s14, s3
	s_and_b32 vcc_lo, exec_lo, s3
	s_cbranch_vccz .LBB32_38
; %bb.37:                               ;   in Loop: Header=BB32_19 Depth=2
	s_mov_b32 s3, s13
	s_branch .LBB32_19
.LBB32_38:                              ;   in Loop: Header=BB32_5 Depth=1
	s_mov_b32 s3, 0
.LBB32_39:                              ;   in Loop: Header=BB32_5 Depth=1
	s_delay_alu instid0(SALU_CYCLE_1)
	s_and_b32 vcc_lo, exec_lo, s3
	s_cbranch_vccz .LBB32_3
; %bb.40:                               ;   in Loop: Header=BB32_5 Depth=1
	v_add_nc_u64_e32 v[34:35], s[10:11], v[68:69]
	s_mov_b32 s3, 0
	s_mov_b32 s10, s34
	s_load_b32 s18, s[22:23], s3 offset:0x0 scale_offset
	s_wait_kmcnt 0x0
	s_add_co_i32 s26, s18, -1
	s_delay_alu instid0(SALU_CYCLE_1)
	s_cmp_lt_i32 s10, s26
	s_cbranch_scc1 .LBB32_56
.LBB32_41:                              ;   in Loop: Header=BB32_5 Depth=1
	s_lshl_b32 s11, s10, 2
	s_lshl_b32 s12, s18, 2
	s_max_i32 s27, s18, 1
	s_add_co_i32 s28, s40, s11
	s_sub_co_i32 s29, 0, s12
	s_mul_i32 s43, s10, 0x74
	s_mul_i32 s44, s18, 0xffffff8c
	s_branch .LBB32_43
.LBB32_42:                              ;   in Loop: Header=BB32_43 Depth=2
	s_sub_co_i32 s10, s10, s18
	s_add_co_i32 s28, s28, s29
	s_add_co_i32 s43, s43, s44
	s_cmp_lt_i32 s10, s26
	s_cbranch_scc1 .LBB32_56
.LBB32_43:                              ;   Parent Loop BB32_5 Depth=1
                                        ; =>  This Loop Header: Depth=2
                                        ;       Child Loop BB32_44 Depth 3
                                        ;       Child Loop BB32_46 Depth 3
                                        ;         Child Loop BB32_47 Depth 4
                                        ;       Child Loop BB32_52 Depth 3
                                        ;         Child Loop BB32_54 Depth 4
	s_ashr_i32 s11, s10, 31
	s_mov_b64 s[12:13], 0
	s_wait_xcnt 0x0
	v_lshl_add_u64 v[36:37], s[10:11], 2, v[34:35]
.LBB32_44:                              ;   Parent Loop BB32_5 Depth=1
                                        ;     Parent Loop BB32_43 Depth=2
                                        ; =>    This Inner Loop Header: Depth=3
	global_load_b32 v38, v[36:37], off
	s_wait_xcnt 0x0
	v_add_nc_u64_e32 v[36:37], -4, v[36:37]
	s_mov_b32 m0, s12
	s_add_nc_u64 s[12:13], s[12:13], 1
	s_delay_alu instid0(SALU_CYCLE_1) | instskip(SKIP_2) | instid1(VALU_DEP_1)
	s_cmp_eq_u32 s27, s12
	s_wait_loadcnt 0x0
	v_mul_f32_e32 v38, s31, v38
	v_movreld_b32_e32 v2, v38
	s_cbranch_scc0 .LBB32_44
; %bb.45:                               ;   in Loop: Header=BB32_43 Depth=2
	s_cmp_le_i32 s34, s10
	s_mov_b32 s16, s28
	s_mov_b32 s12, s34
	s_cbranch_scc1 .LBB32_49
.LBB32_46:                              ;   Parent Loop BB32_5 Depth=1
                                        ;     Parent Loop BB32_43 Depth=2
                                        ; =>    This Loop Header: Depth=3
                                        ;         Child Loop BB32_47 Depth 4
	s_ashr_i32 s13, s12, 31
	s_mov_b64 s[14:15], 0
	v_lshl_add_u64 v[36:37], s[12:13], 2, v[70:71]
	s_mov_b32 s13, s16
	global_load_b32 v36, v[36:37], off
.LBB32_47:                              ;   Parent Loop BB32_5 Depth=1
                                        ;     Parent Loop BB32_43 Depth=2
                                        ;       Parent Loop BB32_46 Depth=3
                                        ; =>      This Inner Loop Header: Depth=4
	s_wait_xcnt 0x0
	v_mov_b32_e32 v37, s13
	s_mov_b32 m0, s14
	s_add_nc_u64 s[14:15], s[14:15], 1
	v_movrels_b32_e32 v38, v2
	s_add_co_i32 s13, s13, -4
	ds_load_b32 v37, v37
	s_cmp_eq_u32 s27, s14
	s_wait_loadcnt_dscnt 0x0
	v_fma_f32 v37, -v36, v37, v38
	s_delay_alu instid0(VALU_DEP_1)
	v_movreld_b32_e32 v2, v37
	s_cbranch_scc0 .LBB32_47
; %bb.48:                               ;   in Loop: Header=BB32_46 Depth=3
	s_add_co_i32 s12, s12, -1
	s_addk_co_i32 s16, 0xff90
	s_cmp_le_i32 s12, s10
	s_cbranch_scc0 .LBB32_46
.LBB32_49:                              ;   in Loop: Header=BB32_43 Depth=2
	s_mov_b64 s[12:13], 0
	s_mov_b32 s45, s43
	s_branch .LBB32_52
.LBB32_50:                              ;   in Loop: Header=BB32_52 Depth=3
	s_mov_b32 s14, s10
	s_mov_b64 s[24:25], 0
	s_mov_b64 s[16:17], s[10:11]
.LBB32_51:                              ;   in Loop: Header=BB32_52 Depth=3
	s_mulk_i32 s14, 0x74
	s_mov_b32 m0, s24
	s_wait_xcnt 0x0
	v_mov_b32_e32 v36, s14
	v_movrels_b32_e32 v37, v2
	s_add_nc_u64 s[12:13], s[12:13], 1
	s_add_co_i32 s45, s45, -4
	s_cmp_eq_u32 s12, s27
	ds_load_b32 v36, v36
	s_wait_dscnt 0x0
	v_mul_f32_e32 v38, v37, v36
	v_lshl_add_u64 v[36:37], s[16:17], 2, v[70:71]
	s_delay_alu instid0(VALU_DEP_2)
	v_movreld_b32_e32 v2, v38
	global_store_b32 v[36:37], v38, off
	s_cbranch_scc1 .LBB32_42
.LBB32_52:                              ;   Parent Loop BB32_5 Depth=1
                                        ;     Parent Loop BB32_43 Depth=2
                                        ; =>    This Loop Header: Depth=3
                                        ;         Child Loop BB32_54 Depth 4
	s_cmp_eq_u32 s12, 0
	s_cbranch_scc1 .LBB32_50
; %bb.53:                               ;   in Loop: Header=BB32_52 Depth=3
	s_mov_b64 s[14:15], 0
	s_mov_b32 s16, s45
.LBB32_54:                              ;   Parent Loop BB32_5 Depth=1
                                        ;     Parent Loop BB32_43 Depth=2
                                        ;       Parent Loop BB32_52 Depth=3
                                        ; =>      This Inner Loop Header: Depth=4
	s_wait_xcnt 0x0
	v_mov_b32_e32 v36, s16
	s_mov_b32 m0, s14
	s_add_nc_u64 s[14:15], s[14:15], 1
	v_movrels_b32_e32 v37, v2
	s_mov_b32 m0, s12
	ds_load_b32 v36, v36
	v_movrels_b32_e32 v38, v2
	s_addk_co_i32 s16, 0xff90
	s_cmp_eq_u32 s12, s14
	s_wait_dscnt 0x0
	s_delay_alu instid0(VALU_DEP_1) | instskip(NEXT) | instid1(VALU_DEP_1)
	v_fma_f32 v36, -v37, v36, v38
	v_movreld_b32_e32 v2, v36
	s_cbranch_scc0 .LBB32_54
; %bb.55:                               ;   in Loop: Header=BB32_52 Depth=3
	s_sub_co_i32 s14, s10, s12
	s_mov_b64 s[24:25], s[12:13]
	s_ashr_i32 s15, s14, 31
	s_delay_alu instid0(SALU_CYCLE_1)
	s_mov_b64 s[16:17], s[14:15]
	s_branch .LBB32_51
.LBB32_56:                              ;   Parent Loop BB32_5 Depth=1
                                        ; =>  This Inner Loop Header: Depth=2
	s_cmp_gt_i32 s10, -1
	s_cselect_b32 s12, -1, 0
	s_add_co_i32 s11, s3, 1
	s_cmp_lt_u32 s3, 2
	s_cselect_b32 s3, -1, 0
	s_delay_alu instid0(SALU_CYCLE_1) | instskip(NEXT) | instid1(SALU_CYCLE_1)
	s_and_b32 s3, s12, s3
	s_and_not1_b32 vcc_lo, exec_lo, s3
	s_cbranch_vccnz .LBB32_2
; %bb.57:                               ;   in Loop: Header=BB32_56 Depth=2
	s_mov_b32 s3, s11
	s_load_b32 s18, s[22:23], s3 offset:0x0 scale_offset
	s_wait_kmcnt 0x0
	s_add_co_i32 s26, s18, -1
	s_delay_alu instid0(SALU_CYCLE_1)
	s_cmp_lt_i32 s10, s26
	s_cbranch_scc0 .LBB32_41
	s_branch .LBB32_56
.LBB32_58:
	s_sendmsg sendmsg(MSG_DEALLOC_VGPRS)
	s_endpgm
	.section	.rodata,"a",@progbits
	.p2align	6, 0x0
	.amdhsa_kernel _ZL30rocblas_trsm_small_left_deviceILi28ELi28ELb0EffPKfPfEv13rocblas_fill_18rocblas_operation_17rocblas_diagonal_iiT3_T4_lilT5_lili
		.amdhsa_group_segment_fixed_size 3136
		.amdhsa_private_segment_fixed_size 0
		.amdhsa_kernarg_size 352
		.amdhsa_user_sgpr_count 2
		.amdhsa_user_sgpr_dispatch_ptr 0
		.amdhsa_user_sgpr_queue_ptr 0
		.amdhsa_user_sgpr_kernarg_segment_ptr 1
		.amdhsa_user_sgpr_dispatch_id 0
		.amdhsa_user_sgpr_kernarg_preload_length 0
		.amdhsa_user_sgpr_kernarg_preload_offset 0
		.amdhsa_user_sgpr_private_segment_size 0
		.amdhsa_wavefront_size32 1
		.amdhsa_uses_dynamic_stack 0
		.amdhsa_enable_private_segment 0
		.amdhsa_system_sgpr_workgroup_id_x 1
		.amdhsa_system_sgpr_workgroup_id_y 0
		.amdhsa_system_sgpr_workgroup_id_z 1
		.amdhsa_system_sgpr_workgroup_info 0
		.amdhsa_system_vgpr_workitem_id 0
		.amdhsa_next_free_vgpr 79
		.amdhsa_next_free_sgpr 47
		.amdhsa_named_barrier_count 0
		.amdhsa_reserve_vcc 1
		.amdhsa_float_round_mode_32 0
		.amdhsa_float_round_mode_16_64 0
		.amdhsa_float_denorm_mode_32 3
		.amdhsa_float_denorm_mode_16_64 3
		.amdhsa_fp16_overflow 0
		.amdhsa_memory_ordered 1
		.amdhsa_forward_progress 1
		.amdhsa_inst_pref_size 19
		.amdhsa_round_robin_scheduling 0
		.amdhsa_exception_fp_ieee_invalid_op 0
		.amdhsa_exception_fp_denorm_src 0
		.amdhsa_exception_fp_ieee_div_zero 0
		.amdhsa_exception_fp_ieee_overflow 0
		.amdhsa_exception_fp_ieee_underflow 0
		.amdhsa_exception_fp_ieee_inexact 0
		.amdhsa_exception_int_div_zero 0
	.end_amdhsa_kernel
	.section	.text._ZL30rocblas_trsm_small_left_deviceILi28ELi28ELb0EffPKfPfEv13rocblas_fill_18rocblas_operation_17rocblas_diagonal_iiT3_T4_lilT5_lili,"axG",@progbits,_ZL30rocblas_trsm_small_left_deviceILi28ELi28ELb0EffPKfPfEv13rocblas_fill_18rocblas_operation_17rocblas_diagonal_iiT3_T4_lilT5_lili,comdat
.Lfunc_end32:
	.size	_ZL30rocblas_trsm_small_left_deviceILi28ELi28ELb0EffPKfPfEv13rocblas_fill_18rocblas_operation_17rocblas_diagonal_iiT3_T4_lilT5_lili, .Lfunc_end32-_ZL30rocblas_trsm_small_left_deviceILi28ELi28ELb0EffPKfPfEv13rocblas_fill_18rocblas_operation_17rocblas_diagonal_iiT3_T4_lilT5_lili
                                        ; -- End function
	.set _ZL30rocblas_trsm_small_left_deviceILi28ELi28ELb0EffPKfPfEv13rocblas_fill_18rocblas_operation_17rocblas_diagonal_iiT3_T4_lilT5_lili.num_vgpr, 79
	.set _ZL30rocblas_trsm_small_left_deviceILi28ELi28ELb0EffPKfPfEv13rocblas_fill_18rocblas_operation_17rocblas_diagonal_iiT3_T4_lilT5_lili.num_agpr, 0
	.set _ZL30rocblas_trsm_small_left_deviceILi28ELi28ELb0EffPKfPfEv13rocblas_fill_18rocblas_operation_17rocblas_diagonal_iiT3_T4_lilT5_lili.numbered_sgpr, 47
	.set _ZL30rocblas_trsm_small_left_deviceILi28ELi28ELb0EffPKfPfEv13rocblas_fill_18rocblas_operation_17rocblas_diagonal_iiT3_T4_lilT5_lili.num_named_barrier, 0
	.set _ZL30rocblas_trsm_small_left_deviceILi28ELi28ELb0EffPKfPfEv13rocblas_fill_18rocblas_operation_17rocblas_diagonal_iiT3_T4_lilT5_lili.private_seg_size, 0
	.set _ZL30rocblas_trsm_small_left_deviceILi28ELi28ELb0EffPKfPfEv13rocblas_fill_18rocblas_operation_17rocblas_diagonal_iiT3_T4_lilT5_lili.uses_vcc, 1
	.set _ZL30rocblas_trsm_small_left_deviceILi28ELi28ELb0EffPKfPfEv13rocblas_fill_18rocblas_operation_17rocblas_diagonal_iiT3_T4_lilT5_lili.uses_flat_scratch, 0
	.set _ZL30rocblas_trsm_small_left_deviceILi28ELi28ELb0EffPKfPfEv13rocblas_fill_18rocblas_operation_17rocblas_diagonal_iiT3_T4_lilT5_lili.has_dyn_sized_stack, 0
	.set _ZL30rocblas_trsm_small_left_deviceILi28ELi28ELb0EffPKfPfEv13rocblas_fill_18rocblas_operation_17rocblas_diagonal_iiT3_T4_lilT5_lili.has_recursion, 0
	.set _ZL30rocblas_trsm_small_left_deviceILi28ELi28ELb0EffPKfPfEv13rocblas_fill_18rocblas_operation_17rocblas_diagonal_iiT3_T4_lilT5_lili.has_indirect_call, 0
	.section	.AMDGPU.csdata,"",@progbits
; Kernel info:
; codeLenInByte = 2360
; TotalNumSgprs: 49
; NumVgprs: 79
; ScratchSize: 0
; MemoryBound: 0
; FloatMode: 240
; IeeeMode: 1
; LDSByteSize: 3136 bytes/workgroup (compile time only)
; SGPRBlocks: 0
; VGPRBlocks: 4
; NumSGPRsForWavesPerEU: 49
; NumVGPRsForWavesPerEU: 79
; NamedBarCnt: 0
; Occupancy: 12
; WaveLimiterHint : 0
; COMPUTE_PGM_RSRC2:SCRATCH_EN: 0
; COMPUTE_PGM_RSRC2:USER_SGPR: 2
; COMPUTE_PGM_RSRC2:TRAP_HANDLER: 0
; COMPUTE_PGM_RSRC2:TGID_X_EN: 1
; COMPUTE_PGM_RSRC2:TGID_Y_EN: 0
; COMPUTE_PGM_RSRC2:TGID_Z_EN: 1
; COMPUTE_PGM_RSRC2:TIDIG_COMP_CNT: 0
	.section	.text._ZL38rocblas_trsm_small_left_device_sharedBILi28ELi28ELb1EffPKfPfEv13rocblas_fill_18rocblas_operation_17rocblas_diagonal_iiT3_T4_lilT5_lili,"axG",@progbits,_ZL38rocblas_trsm_small_left_device_sharedBILi28ELi28ELb1EffPKfPfEv13rocblas_fill_18rocblas_operation_17rocblas_diagonal_iiT3_T4_lilT5_lili,comdat
	.globl	_ZL38rocblas_trsm_small_left_device_sharedBILi28ELi28ELb1EffPKfPfEv13rocblas_fill_18rocblas_operation_17rocblas_diagonal_iiT3_T4_lilT5_lili ; -- Begin function _ZL38rocblas_trsm_small_left_device_sharedBILi28ELi28ELb1EffPKfPfEv13rocblas_fill_18rocblas_operation_17rocblas_diagonal_iiT3_T4_lilT5_lili
	.p2align	8
	.type	_ZL38rocblas_trsm_small_left_device_sharedBILi28ELi28ELb1EffPKfPfEv13rocblas_fill_18rocblas_operation_17rocblas_diagonal_iiT3_T4_lilT5_lili,@function
_ZL38rocblas_trsm_small_left_device_sharedBILi28ELi28ELb1EffPKfPfEv13rocblas_fill_18rocblas_operation_17rocblas_diagonal_iiT3_T4_lilT5_lili: ; @_ZL38rocblas_trsm_small_left_device_sharedBILi28ELi28ELb1EffPKfPfEv13rocblas_fill_18rocblas_operation_17rocblas_diagonal_iiT3_T4_lilT5_lili
; %bb.0:
	s_load_b32 s19, s[0:1], 0x58
	s_bfe_u32 s2, ttmp6, 0x40014
	s_lshr_b32 s3, ttmp7, 16
	s_add_co_i32 s2, s2, 1
	s_bfe_u32 s4, ttmp6, 0x40008
	s_mul_i32 s2, s3, s2
	s_getreg_b32 s21, hwreg(HW_REG_IB_STS2, 6, 4)
	s_add_co_i32 s4, s4, s2
	s_cmp_eq_u32 s21, 0
	s_cselect_b32 s2, s3, s4
	s_mov_b32 s3, 0
	s_wait_kmcnt 0x0
	s_cmp_ge_u32 s2, s19
	s_cbranch_scc1 .LBB33_71
; %bb.1:
	s_clause 0x7
	s_load_b32 s22, s[0:1], 0x28
	s_load_b96 s[16:18], s[0:1], 0x40
	s_load_b128 s[12:15], s[0:1], 0x4
	s_load_b32 s26, s[0:1], 0x60
	s_load_b128 s[4:7], s[0:1], 0x18
	s_load_b128 s[8:11], s[0:1], 0x30
	s_load_b64 s[24:25], s[0:1], 0x50
	s_load_b32 s20, s[0:1], 0x14
	v_dual_mov_b32 v67, 0 :: v_dual_lshlrev_b32 v66, 2, v0
	v_mul_u32_u24_e32 v30, 0x70, v0
	s_delay_alu instid0(VALU_DEP_2)
	v_dual_mov_b32 v3, v67 :: v_dual_add_nc_u32 v72, 0xc40, v66
	v_dual_mov_b32 v2, v67 :: v_dual_mov_b32 v4, v67
	v_dual_mov_b32 v5, v67 :: v_dual_mov_b32 v6, v67
	;; [unrolled: 1-line block ×3, first 2 shown]
	s_wait_kmcnt 0x0
	s_ashr_i32 s23, s22, 31
	v_dual_mov_b32 v9, v67 :: v_dual_mov_b32 v10, v67
	s_cmp_eq_u64 s[22:23], 1
	v_dual_mov_b32 v11, v67 :: v_dual_mov_b32 v12, v67
	s_cselect_b32 s0, -1, 0
	s_bfe_u32 s27, ttmp6, 0x4000c
	s_min_i32 s1, s14, 28
	s_add_co_i32 s27, s27, 1
	s_and_b32 s29, ttmp6, 15
	s_mul_i32 s27, ttmp9, s27
	s_ashr_i32 s38, s18, 31
	s_add_co_i32 s28, s26, -1
	s_add_co_i32 s26, s1, -1
	s_add_co_i32 s29, s29, s27
	s_cmp_eq_u32 s21, 0
	v_dual_mov_b32 v13, v67 :: v_dual_mov_b32 v14, v67
	s_cselect_b32 s21, ttmp9, s29
	v_dual_mov_b32 v15, v67 :: v_dual_mov_b32 v16, v67
	s_mul_i32 s27, s21, 0xffffffe4
	s_mul_i32 s36, s21, 28
	s_add_co_i32 s15, s15, s27
	s_cmp_ge_u32 s21, s28
	v_dual_mov_b32 v17, v67 :: v_dual_mov_b32 v18, v67
	s_cselect_b32 s15, s15, 28
	s_ashr_i32 s37, s36, 31
	s_cmp_lg_u32 s13, 0x84
	v_cmp_gt_i32_e32 vcc_lo, s15, v0
	s_cselect_b32 s27, -1, 0
	s_cmp_gt_i32 s14, 0
	v_lshl_add_u64 v[26:27], s[36:37], 2, v[66:67]
	s_cselect_b32 s13, -1, 0
	s_cmp_lg_u32 s12, 0x6f
	v_dual_mov_b32 v19, v67 :: v_dual_mov_b32 v20, v67
	s_cselect_b32 s28, -1, 0
	s_and_b32 s29, vcc_lo, s13
	s_cmp_gt_u32 s1, 1
	v_dual_mov_b32 v21, v67 :: v_dual_mov_b32 v22, v67
	s_cselect_b32 s12, -1, 0
	s_and_b32 s30, s1, -2
	s_and_b32 s31, s12, s0
	s_cmp_lg_u32 s1, s30
	v_cmp_gt_i32_e64 s0, s1, v0
	s_cselect_b32 s33, -1, 0
	s_cmp_gt_i32 s14, 1
	v_dual_mov_b32 v23, v67 :: v_dual_mov_b32 v24, v67
	s_cselect_b32 s34, -1, 0
	s_and_b32 s35, s1, 30
	v_mov_b32_e32 v28, v67
	s_cmp_lg_u32 s1, s35
	v_mov_b32_e32 v29, v67
	s_cselect_b32 s36, -1, 0
	s_lshl_b64 s[12:13], s[16:17], 2
	s_mov_b32 s21, s20
	s_add_nc_u64 s[10:11], s[10:11], s[12:13]
	s_delay_alu instid0(SALU_CYCLE_1)
	v_mad_nc_u64_u32 v[68:69], v26, s18, s[10:11]
	s_lshl_b64 s[10:11], s[6:7], 2
	s_lshl_b64 s[6:7], s[8:9], 2
	s_add_nc_u64 s[8:9], s[4:5], s[10:11]
	s_lshl_b64 s[4:5], s[22:23], 2
	v_add_nc_u64_e32 v[0:1], s[8:9], v[66:67]
	s_lshl_b64 s[10:11], s[24:25], 2
	s_get_pc_i64 s[8:9]
	s_add_nc_u64 s[8:9], s[8:9], __const._ZL38rocblas_trsm_small_left_device_sharedBILi28ELi28ELb1EffPKfPfEv13rocblas_fill_18rocblas_operation_17rocblas_diagonal_iiT3_T4_lilT5_lili.step_sizes@rel64+4
	s_delay_alu instid0(VALU_DEP_2) | instskip(SKIP_2) | instid1(SALU_CYCLE_1)
	v_mad_u32 v25, v27, s18, v69
	v_mov_b32_e32 v27, v67
	s_lshl_b32 s18, s1, 2
	s_add_co_i32 s18, s18, -4
	s_delay_alu instid0(VALU_DEP_2)
	v_mad_u32 v69, v26, s38, v25
	v_dual_mov_b32 v25, v67 :: v_dual_mov_b32 v26, v67
	v_add_nc_u32_e32 v67, v66, v30
	s_branch .LBB33_3
.LBB33_2:                               ;   in Loop: Header=BB33_3 Depth=1
	s_or_b32 exec_lo, exec_lo, s14
	s_add_co_i32 s2, s2, 0x10000
	s_delay_alu instid0(SALU_CYCLE_1)
	s_cmp_lt_u32 s2, s19
	s_cbranch_scc0 .LBB33_71
.LBB33_3:                               ; =>This Loop Header: Depth=1
                                        ;     Child Loop BB33_6 Depth 2
                                        ;     Child Loop BB33_10 Depth 2
	;; [unrolled: 1-line block ×5, first 2 shown]
                                        ;       Child Loop BB33_27 Depth 3
                                        ;       Child Loop BB33_29 Depth 3
                                        ;         Child Loop BB33_30 Depth 4
                                        ;       Child Loop BB33_35 Depth 3
                                        ;         Child Loop BB33_37 Depth 4
                                        ;     Child Loop BB33_39 Depth 2
                                        ;     Child Loop BB33_44 Depth 2
                                        ;       Child Loop BB33_47 Depth 3
                                        ;         Child Loop BB33_48 Depth 4
                                        ;         Child Loop BB33_51 Depth 4
                                        ;           Child Loop BB33_52 Depth 5
                                        ;         Child Loop BB33_57 Depth 4
                                        ;           Child Loop BB33_59 Depth 5
                                        ;     Child Loop BB33_66 Depth 2
                                        ;     Child Loop BB33_70 Depth 2
	s_and_saveexec_b32 s16, s0
	s_cbranch_execz .LBB33_14
; %bb.4:                                ;   in Loop: Header=BB33_3 Depth=1
	s_and_not1_b32 vcc_lo, exec_lo, s31
	s_mul_u64 s[12:13], s[6:7], s[2:3]
	s_cbranch_vccnz .LBB33_8
; %bb.5:                                ;   in Loop: Header=BB33_3 Depth=1
	v_add_nc_u64_e32 v[34:35], s[12:13], v[0:1]
	s_mov_b32 s15, 1
	s_mov_b32 s17, 0
	;; [unrolled: 1-line block ×3, first 2 shown]
.LBB33_6:                               ;   Parent Loop BB33_3 Depth=1
                                        ; =>  This Inner Loop Header: Depth=2
	global_load_b64 v[36:37], v[34:35], off
	v_mad_u32 v38, 0x70, s17, v66
	v_mad_u32 v39, 0x70, s15, v66
	s_wait_xcnt 0x0
	v_add_nc_u64_e32 v[34:35], 8, v[34:35]
	s_add_co_i32 s22, s22, -2
	s_add_co_i32 s17, s17, 2
	s_add_co_i32 s15, s15, 2
	s_mov_b32 s14, s30
	s_mov_b32 s23, s33
	s_cmp_lg_u32 s22, 0
	s_wait_loadcnt 0x0
	ds_store_b32 v38, v36
	ds_store_b32 v39, v37
	s_cbranch_scc1 .LBB33_6
; %bb.7:                                ;   in Loop: Header=BB33_3 Depth=1
	s_and_b32 vcc_lo, exec_lo, s23
	s_cbranch_vccnz .LBB33_9
	s_branch .LBB33_11
.LBB33_8:                               ;   in Loop: Header=BB33_3 Depth=1
	s_wait_xcnt 0x0
	s_mov_b32 s14, 0
	s_cbranch_execz .LBB33_11
.LBB33_9:                               ;   in Loop: Header=BB33_3 Depth=1
	s_mov_b32 s15, s3
	v_mad_u32 v36, 0x70, s14, v66
	s_mul_u64 s[22:23], s[4:5], s[14:15]
	s_delay_alu instid0(SALU_CYCLE_1) | instskip(NEXT) | instid1(SALU_CYCLE_1)
	s_add_nc_u64 s[12:13], s[22:23], s[12:13]
	v_add_nc_u64_e32 v[34:35], s[12:13], v[0:1]
	s_sub_co_i32 s12, s1, s14
.LBB33_10:                              ;   Parent Loop BB33_3 Depth=1
                                        ; =>  This Inner Loop Header: Depth=2
	global_load_b32 v37, v[34:35], off
	s_wait_xcnt 0x0
	v_add_nc_u64_e32 v[34:35], s[4:5], v[34:35]
	s_add_co_i32 s12, s12, -1
	s_delay_alu instid0(SALU_CYCLE_1)
	s_cmp_eq_u32 s12, 0
	s_wait_loadcnt 0x0
	ds_store_b32 v36, v37
	v_add_nc_u32_e32 v36, 0x70, v36
	s_cbranch_scc0 .LBB33_10
.LBB33_11:                              ;   in Loop: Header=BB33_3 Depth=1
	v_mov_b32_e32 v34, 1.0
	s_and_b32 vcc_lo, exec_lo, s27
	s_cbranch_vccz .LBB33_13
; %bb.12:                               ;   in Loop: Header=BB33_3 Depth=1
	ds_load_b32 v34, v67
	s_wait_dscnt 0x0
	v_div_scale_f32 v35, null, v34, v34, 1.0
	s_delay_alu instid0(VALU_DEP_1) | instskip(SKIP_1) | instid1(TRANS32_DEP_1)
	v_rcp_f32_e32 v36, v35
	v_nop
	v_fma_f32 v37, -v35, v36, 1.0
	s_delay_alu instid0(VALU_DEP_1) | instskip(SKIP_1) | instid1(VALU_DEP_1)
	v_fmac_f32_e32 v36, v37, v36
	v_div_scale_f32 v37, vcc_lo, 1.0, v34, 1.0
	v_mul_f32_e32 v38, v37, v36
	s_delay_alu instid0(VALU_DEP_1) | instskip(NEXT) | instid1(VALU_DEP_1)
	v_fma_f32 v39, -v35, v38, v37
	v_fmac_f32_e32 v38, v39, v36
	s_delay_alu instid0(VALU_DEP_1) | instskip(NEXT) | instid1(VALU_DEP_1)
	v_fma_f32 v35, -v35, v38, v37
	v_div_fmas_f32 v35, v35, v36, v38
	s_delay_alu instid0(VALU_DEP_1)
	v_div_fixup_f32 v34, v35, v34, 1.0
.LBB33_13:                              ;   in Loop: Header=BB33_3 Depth=1
	ds_store_b32 v67, v34
.LBB33_14:                              ;   in Loop: Header=BB33_3 Depth=1
	s_or_b32 exec_lo, exec_lo, s16
	s_mul_u64 s[12:13], s[10:11], s[2:3]
	s_delay_alu instid0(VALU_DEP_3) | instid1(SALU_CYCLE_1)
	v_add_nc_u64_e32 v[70:71], s[12:13], v[68:69]
	s_and_saveexec_b32 s14, s29
	s_cbranch_execz .LBB33_22
; %bb.15:                               ;   in Loop: Header=BB33_3 Depth=1
	s_and_not1_b32 vcc_lo, exec_lo, s34
	s_cbranch_vccnz .LBB33_19
; %bb.16:                               ;   in Loop: Header=BB33_3 Depth=1
	s_delay_alu instid0(VALU_DEP_1)
	v_mov_b64_e32 v[34:35], v[70:71]
	s_mov_b32 s15, 1
	s_mov_b32 s16, 0
	;; [unrolled: 1-line block ×3, first 2 shown]
.LBB33_17:                              ;   Parent Loop BB33_3 Depth=1
                                        ; =>  This Inner Loop Header: Depth=2
	global_load_b64 v[36:37], v[34:35], off
	v_mov_b64_e32 v[38:39], s[20:21]
	v_mad_u32 v40, 0x70, s16, v72
	v_mad_u32 v41, 0x70, s15, v72
	s_wait_xcnt 0x0
	v_add_nc_u64_e32 v[34:35], 8, v[34:35]
	s_add_co_i32 s17, s17, -2
	s_add_co_i32 s16, s16, 2
	s_add_co_i32 s15, s15, 2
	s_mov_b32 s22, s35
	s_mov_b32 s23, s36
	s_cmp_lg_u32 s17, 0
	s_wait_loadcnt 0x0
	v_pk_mul_f32 v[36:37], v[38:39], v[36:37]
	ds_store_b32 v40, v36
	ds_store_b32 v41, v37
	s_cbranch_scc1 .LBB33_17
; %bb.18:                               ;   in Loop: Header=BB33_3 Depth=1
	s_and_b32 vcc_lo, exec_lo, s23
	s_cbranch_vccnz .LBB33_20
	s_branch .LBB33_22
.LBB33_19:                              ;   in Loop: Header=BB33_3 Depth=1
	s_wait_xcnt 0x0
	s_mov_b32 s22, 0
	s_cbranch_execz .LBB33_22
.LBB33_20:                              ;   in Loop: Header=BB33_3 Depth=1
	s_lshl_b32 s16, s22, 2
	s_mov_b32 s17, s3
	v_mad_u32 v36, 0x70, s22, v72
	s_add_nc_u64 s[16:17], s[12:13], s[16:17]
	s_sub_co_i32 s15, s1, s22
	v_add_nc_u64_e32 v[34:35], s[16:17], v[68:69]
.LBB33_21:                              ;   Parent Loop BB33_3 Depth=1
                                        ; =>  This Inner Loop Header: Depth=2
	global_load_b32 v37, v[34:35], off
	s_wait_xcnt 0x0
	v_add_nc_u64_e32 v[34:35], 4, v[34:35]
	s_add_co_i32 s15, s15, -1
	s_delay_alu instid0(SALU_CYCLE_1)
	s_cmp_lg_u32 s15, 0
	s_wait_loadcnt 0x0
	v_mul_f32_e32 v37, s20, v37
	ds_store_b32 v36, v37
	v_add_nc_u32_e32 v36, 0x70, v36
	s_cbranch_scc1 .LBB33_21
.LBB33_22:                              ;   in Loop: Header=BB33_3 Depth=1
	s_or_b32 exec_lo, exec_lo, s14
	s_delay_alu instid0(SALU_CYCLE_1)
	s_and_not1_b32 vcc_lo, exec_lo, s28
	s_mov_b32 s14, -1
	s_wait_dscnt 0x0
	; wave barrier
                                        ; implicit-def: $vgpr34_vgpr35_vgpr36_vgpr37_vgpr38_vgpr39_vgpr40_vgpr41_vgpr42_vgpr43_vgpr44_vgpr45_vgpr46_vgpr47_vgpr48_vgpr49_vgpr50_vgpr51_vgpr52_vgpr53_vgpr54_vgpr55_vgpr56_vgpr57_vgpr58_vgpr59_vgpr60_vgpr61_vgpr62_vgpr63_vgpr64_vgpr65
	s_cbranch_vccnz .LBB33_42
; %bb.23:                               ;   in Loop: Header=BB33_3 Depth=1
	v_mov_b64_e32 v[64:65], v[32:33]
	v_mov_b64_e32 v[62:63], v[30:31]
	;; [unrolled: 1-line block ×16, first 2 shown]
	s_wait_xcnt 0x0
	s_mov_b32 s23, 0
	s_mov_b32 s22, s26
	s_load_b32 s24, s[8:9], s23 offset:0x0 scale_offset
	s_wait_kmcnt 0x0
	s_add_co_i32 s25, s24, -1
	s_delay_alu instid0(SALU_CYCLE_1)
	s_cmp_lt_i32 s22, s25
	s_cbranch_scc1 .LBB33_39
.LBB33_24:                              ;   in Loop: Header=BB33_3 Depth=1
	s_mul_i32 s14, s22, 0x70
	s_max_i32 s37, s24, 1
	v_add_nc_u32_e32 v73, s14, v72
	s_mul_i32 s38, s24, 0xffffff90
	s_add_co_i32 s39, s18, s14
	s_mul_i32 s40, s22, 0x74
	s_mul_i32 s41, s24, 0xffffff8c
	s_branch .LBB33_26
.LBB33_25:                              ;   in Loop: Header=BB33_26 Depth=2
	v_add_nc_u32_e32 v73, s38, v73
	s_sub_co_i32 s22, s22, s24
	s_add_co_i32 s39, s39, s38
	s_add_co_i32 s40, s40, s41
	s_cmp_lt_i32 s22, s25
	s_cbranch_scc1 .LBB33_39
.LBB33_26:                              ;   Parent Loop BB33_3 Depth=1
                                        ; =>  This Loop Header: Depth=2
                                        ;       Child Loop BB33_27 Depth 3
                                        ;       Child Loop BB33_29 Depth 3
                                        ;         Child Loop BB33_30 Depth 4
                                        ;       Child Loop BB33_35 Depth 3
                                        ;         Child Loop BB33_37 Depth 4
	v_mov_b32_e32 v74, v73
	s_mov_b64 s[14:15], 0
.LBB33_27:                              ;   Parent Loop BB33_3 Depth=1
                                        ;     Parent Loop BB33_26 Depth=2
                                        ; =>    This Inner Loop Header: Depth=3
	ds_load_b32 v75, v74
	v_add_nc_u32_e32 v74, 0xffffff90, v74
	s_mov_b32 m0, s14
	s_add_nc_u64 s[14:15], s[14:15], 1
	s_delay_alu instid0(SALU_CYCLE_1)
	s_cmp_eq_u32 s37, s14
	s_wait_dscnt 0x0
	v_movreld_b32_e32 v34, v75
	s_cbranch_scc0 .LBB33_27
; %bb.28:                               ;   in Loop: Header=BB33_26 Depth=2
	s_cmp_le_i32 s26, s22
	s_mov_b32 s16, s39
	s_mov_b32 s17, s26
	s_cbranch_scc1 .LBB33_32
.LBB33_29:                              ;   Parent Loop BB33_3 Depth=1
                                        ;     Parent Loop BB33_26 Depth=2
                                        ; =>    This Loop Header: Depth=3
                                        ;         Child Loop BB33_30 Depth 4
	v_mad_u32 v74, 0x70, s17, v72
	s_mov_b64 s[14:15], 0
	s_mov_b32 s42, s16
	ds_load_b32 v74, v74
.LBB33_30:                              ;   Parent Loop BB33_3 Depth=1
                                        ;     Parent Loop BB33_26 Depth=2
                                        ;       Parent Loop BB33_29 Depth=3
                                        ; =>      This Inner Loop Header: Depth=4
	v_mov_b32_e32 v75, s42
	s_mov_b32 m0, s14
	s_add_nc_u64 s[14:15], s[14:15], 1
	v_movrels_b32_e32 v76, v34
	s_addk_co_i32 s42, 0xff90
	ds_load_b32 v75, v75
	s_cmp_eq_u32 s37, s14
	s_wait_dscnt 0x0
	v_fma_f32 v75, -v74, v75, v76
	s_delay_alu instid0(VALU_DEP_1)
	v_movreld_b32_e32 v34, v75
	s_cbranch_scc0 .LBB33_30
; %bb.31:                               ;   in Loop: Header=BB33_29 Depth=3
	s_add_co_i32 s17, s17, -1
	s_add_co_i32 s16, s16, -4
	s_cmp_le_i32 s17, s22
	s_cbranch_scc0 .LBB33_29
.LBB33_32:                              ;   in Loop: Header=BB33_26 Depth=2
	s_mul_i32 s42, s22, 0x70
	s_mov_b64 s[14:15], 0
	s_mov_b32 s43, s40
	s_branch .LBB33_35
.LBB33_33:                              ;   in Loop: Header=BB33_35 Depth=3
	s_mov_b32 s45, s22
	s_mov_b64 s[16:17], 0
	s_mov_b32 s44, s42
.LBB33_34:                              ;   in Loop: Header=BB33_35 Depth=3
	s_mov_b32 m0, s16
	s_mul_i32 s16, s45, 0x74
	v_movrels_b32_e32 v75, v34
	v_mov_b32_e32 v74, s16
	s_add_nc_u64 s[14:15], s[14:15], 1
	s_addk_co_i32 s43, 0xff90
	s_cmp_eq_u32 s14, s37
	ds_load_b32 v74, v74
	s_wait_dscnt 0x0
	v_dual_mul_f32 v74, v75, v74 :: v_dual_add_nc_u32 v75, s44, v72
	s_delay_alu instid0(VALU_DEP_1)
	v_movreld_b32_e32 v34, v74
	ds_store_b32 v75, v74
	s_cbranch_scc1 .LBB33_25
.LBB33_35:                              ;   Parent Loop BB33_3 Depth=1
                                        ;     Parent Loop BB33_26 Depth=2
                                        ; =>    This Loop Header: Depth=3
                                        ;         Child Loop BB33_37 Depth 4
	s_cmp_eq_u32 s14, 0
	s_cbranch_scc1 .LBB33_33
; %bb.36:                               ;   in Loop: Header=BB33_35 Depth=3
	s_sub_co_i32 s45, s22, s14
	s_mov_b64 s[16:17], 0
	s_mul_i32 s44, s45, 0x70
	s_mov_b32 s46, s43
.LBB33_37:                              ;   Parent Loop BB33_3 Depth=1
                                        ;     Parent Loop BB33_26 Depth=2
                                        ;       Parent Loop BB33_35 Depth=3
                                        ; =>      This Inner Loop Header: Depth=4
	s_delay_alu instid0(SALU_CYCLE_1)
	v_mov_b32_e32 v74, s46
	s_mov_b32 m0, s16
	s_add_nc_u64 s[16:17], s[16:17], 1
	v_movrels_b32_e32 v75, v34
	s_mov_b32 m0, s14
	ds_load_b32 v74, v74
	v_movrels_b32_e32 v76, v34
	s_add_co_i32 s46, s46, -4
	s_cmp_eq_u32 s14, s16
	s_wait_dscnt 0x0
	s_delay_alu instid0(VALU_DEP_1) | instskip(NEXT) | instid1(VALU_DEP_1)
	v_fma_f32 v74, -v75, v74, v76
	v_movreld_b32_e32 v34, v74
	s_cbranch_scc0 .LBB33_37
; %bb.38:                               ;   in Loop: Header=BB33_35 Depth=3
	s_mov_b64 s[16:17], s[14:15]
	s_branch .LBB33_34
.LBB33_39:                              ;   Parent Loop BB33_3 Depth=1
                                        ; =>  This Inner Loop Header: Depth=2
	s_cmp_gt_i32 s22, -1
	s_cselect_b32 s15, -1, 0
	s_add_co_i32 s14, s23, 1
	s_cmp_lt_u32 s23, 2
	s_cselect_b32 s16, -1, 0
	s_delay_alu instid0(SALU_CYCLE_1) | instskip(NEXT) | instid1(SALU_CYCLE_1)
	s_and_b32 s15, s15, s16
	s_and_b32 vcc_lo, exec_lo, s15
	s_cbranch_vccz .LBB33_41
; %bb.40:                               ;   in Loop: Header=BB33_39 Depth=2
	s_wait_xcnt 0x0
	s_mov_b32 s23, s14
	s_load_b32 s24, s[8:9], s23 offset:0x0 scale_offset
	s_wait_kmcnt 0x0
	s_add_co_i32 s25, s24, -1
	s_delay_alu instid0(SALU_CYCLE_1)
	s_cmp_lt_i32 s22, s25
	s_cbranch_scc0 .LBB33_24
	s_branch .LBB33_39
.LBB33_41:                              ;   in Loop: Header=BB33_3 Depth=1
	s_mov_b32 s14, 0
.LBB33_42:                              ;   in Loop: Header=BB33_3 Depth=1
	s_delay_alu instid0(SALU_CYCLE_1)
	s_and_b32 vcc_lo, exec_lo, s14
	s_cbranch_vccz .LBB33_63
; %bb.43:                               ;   in Loop: Header=BB33_3 Depth=1
	s_mov_b32 s22, 0
	s_wait_xcnt 0x0
	s_mov_b32 s23, 0
.LBB33_44:                              ;   Parent Loop BB33_3 Depth=1
                                        ; =>  This Loop Header: Depth=2
                                        ;       Child Loop BB33_47 Depth 3
                                        ;         Child Loop BB33_48 Depth 4
                                        ;         Child Loop BB33_51 Depth 4
                                        ;           Child Loop BB33_52 Depth 5
                                        ;         Child Loop BB33_57 Depth 4
                                        ;           Child Loop BB33_59 Depth 5
	s_load_b32 s24, s[8:9], s23 offset:0x0 scale_offset
	s_wait_kmcnt 0x0
	s_add_co_i32 s25, s24, -1
	s_delay_alu instid0(SALU_CYCLE_1) | instskip(NEXT) | instid1(SALU_CYCLE_1)
	s_add_co_i32 s14, s25, s22
	s_cmp_ge_i32 s14, s1
	s_cbranch_scc1 .LBB33_60
; %bb.45:                               ;   in Loop: Header=BB33_44 Depth=2
	v_mad_u32 v34, 0x70, s22, v72
	s_max_i32 s37, s24, 1
	s_mul_i32 s38, s24, 0x70
	s_lshl_b32 s39, s22, 2
	s_lshl_b32 s40, s24, 2
	s_mul_i32 s41, s22, 0x74
	s_mul_i32 s42, s24, 0x74
	s_branch .LBB33_47
.LBB33_46:                              ;   in Loop: Header=BB33_47 Depth=3
	s_add_co_i32 s22, s22, s24
	v_add_nc_u32_e32 v34, s38, v34
	s_add_co_i32 s14, s25, s22
	s_add_co_i32 s39, s39, s40
	;; [unrolled: 1-line block ×3, first 2 shown]
	s_cmp_ge_i32 s14, s1
	s_cbranch_scc1 .LBB33_60
.LBB33_47:                              ;   Parent Loop BB33_3 Depth=1
                                        ;     Parent Loop BB33_44 Depth=2
                                        ; =>    This Loop Header: Depth=3
                                        ;         Child Loop BB33_48 Depth 4
                                        ;         Child Loop BB33_51 Depth 4
                                        ;           Child Loop BB33_52 Depth 5
                                        ;         Child Loop BB33_57 Depth 4
                                        ;           Child Loop BB33_59 Depth 5
	s_delay_alu instid0(VALU_DEP_1)
	v_mov_b32_e32 v35, v34
	s_mov_b64 s[14:15], 0
.LBB33_48:                              ;   Parent Loop BB33_3 Depth=1
                                        ;     Parent Loop BB33_44 Depth=2
                                        ;       Parent Loop BB33_47 Depth=3
                                        ; =>      This Inner Loop Header: Depth=4
	ds_load_b32 v36, v35
	v_add_nc_u32_e32 v35, 0x70, v35
	s_mov_b32 m0, s14
	s_add_nc_u64 s[14:15], s[14:15], 1
	s_delay_alu instid0(SALU_CYCLE_1)
	s_cmp_eq_u32 s37, s14
	s_wait_dscnt 0x0
	v_movreld_b32_e32 v2, v36
	s_cbranch_scc0 .LBB33_48
; %bb.49:                               ;   in Loop: Header=BB33_47 Depth=3
	s_cmp_lt_i32 s22, 1
	s_cbranch_scc1 .LBB33_54
; %bb.50:                               ;   in Loop: Header=BB33_47 Depth=3
	s_mov_b32 s16, 0
	s_mov_b32 s17, s39
.LBB33_51:                              ;   Parent Loop BB33_3 Depth=1
                                        ;     Parent Loop BB33_44 Depth=2
                                        ;       Parent Loop BB33_47 Depth=3
                                        ; =>      This Loop Header: Depth=4
                                        ;           Child Loop BB33_52 Depth 5
	v_mad_u32 v35, 0x70, s16, v72
	s_mov_b64 s[14:15], 0
	s_mov_b32 s43, s17
	ds_load_b32 v35, v35
.LBB33_52:                              ;   Parent Loop BB33_3 Depth=1
                                        ;     Parent Loop BB33_44 Depth=2
                                        ;       Parent Loop BB33_47 Depth=3
                                        ;         Parent Loop BB33_51 Depth=4
                                        ; =>        This Inner Loop Header: Depth=5
	v_mov_b32_e32 v36, s43
	s_mov_b32 m0, s14
	s_add_nc_u64 s[14:15], s[14:15], 1
	v_movrels_b32_e32 v37, v2
	s_add_co_i32 s43, s43, 4
	ds_load_b32 v36, v36
	s_cmp_eq_u32 s37, s14
	s_wait_dscnt 0x0
	v_fma_f32 v36, -v35, v36, v37
	s_delay_alu instid0(VALU_DEP_1)
	v_movreld_b32_e32 v2, v36
	s_cbranch_scc0 .LBB33_52
; %bb.53:                               ;   in Loop: Header=BB33_51 Depth=4
	s_add_co_i32 s16, s16, 1
	s_addk_co_i32 s17, 0x70
	s_cmp_eq_u32 s16, s22
	s_cbranch_scc0 .LBB33_51
.LBB33_54:                              ;   in Loop: Header=BB33_47 Depth=3
	s_mov_b64 s[14:15], 0
	s_mov_b32 s43, s41
	s_branch .LBB33_57
.LBB33_55:                              ;   in Loop: Header=BB33_57 Depth=4
	s_mov_b64 s[16:17], s[14:15]
.LBB33_56:                              ;   in Loop: Header=BB33_57 Depth=4
	s_delay_alu instid0(SALU_CYCLE_1)
	s_mov_b32 m0, s16
	s_add_co_i32 s16, s14, s22
	v_movrels_b32_e32 v36, v2
	s_mul_i32 s17, s16, 0x74
	v_mad_u32 v37, 0x70, s16, v72
	v_mov_b32_e32 v35, s17
	s_add_nc_u64 s[14:15], s[14:15], 1
	s_add_co_i32 s43, s43, 4
	s_cmp_eq_u32 s14, s37
	ds_load_b32 v35, v35
	s_wait_dscnt 0x0
	v_mul_f32_e32 v35, v36, v35
	s_delay_alu instid0(VALU_DEP_1)
	v_movreld_b32_e32 v2, v35
	ds_store_b32 v37, v35
	s_cbranch_scc1 .LBB33_46
.LBB33_57:                              ;   Parent Loop BB33_3 Depth=1
                                        ;     Parent Loop BB33_44 Depth=2
                                        ;       Parent Loop BB33_47 Depth=3
                                        ; =>      This Loop Header: Depth=4
                                        ;           Child Loop BB33_59 Depth 5
	s_mov_b64 s[16:17], 0
	s_cmp_eq_u32 s14, 0
	s_cbranch_scc1 .LBB33_56
; %bb.58:                               ;   in Loop: Header=BB33_57 Depth=4
	s_mov_b32 s44, s43
.LBB33_59:                              ;   Parent Loop BB33_3 Depth=1
                                        ;     Parent Loop BB33_44 Depth=2
                                        ;       Parent Loop BB33_47 Depth=3
                                        ;         Parent Loop BB33_57 Depth=4
                                        ; =>        This Inner Loop Header: Depth=5
	s_delay_alu instid0(SALU_CYCLE_1)
	v_mov_b32_e32 v35, s44
	s_mov_b32 m0, s16
	s_add_nc_u64 s[16:17], s[16:17], 1
	v_movrels_b32_e32 v36, v2
	s_mov_b32 m0, s14
	ds_load_b32 v35, v35
	v_movrels_b32_e32 v37, v2
	s_addk_co_i32 s44, 0x70
	s_cmp_eq_u32 s14, s16
	s_wait_dscnt 0x0
	s_delay_alu instid0(VALU_DEP_1) | instskip(NEXT) | instid1(VALU_DEP_1)
	v_fma_f32 v35, -v36, v35, v37
	v_movreld_b32_e32 v2, v35
	s_cbranch_scc0 .LBB33_59
	s_branch .LBB33_55
.LBB33_60:                              ;   in Loop: Header=BB33_44 Depth=2
	s_cmp_lt_i32 s22, s1
	s_cselect_b32 s15, -1, 0
	s_add_co_i32 s14, s23, 1
	s_cmp_lt_u32 s23, 2
	s_cselect_b32 s16, -1, 0
	s_delay_alu instid0(SALU_CYCLE_1) | instskip(NEXT) | instid1(SALU_CYCLE_1)
	s_and_b32 s15, s15, s16
	s_and_not1_b32 vcc_lo, exec_lo, s15
	s_cbranch_vccnz .LBB33_62
; %bb.61:                               ;   in Loop: Header=BB33_44 Depth=2
	s_wait_xcnt 0x0
	s_mov_b32 s23, s14
	s_branch .LBB33_44
.LBB33_62:                              ;   in Loop: Header=BB33_3 Depth=1
	v_mov_b64_e32 v[64:65], v[32:33]
	v_mov_b64_e32 v[62:63], v[30:31]
	;; [unrolled: 1-line block ×16, first 2 shown]
.LBB33_63:                              ;   in Loop: Header=BB33_3 Depth=1
	s_delay_alu instid0(VALU_DEP_1) | instskip(NEXT) | instid1(VALU_DEP_3)
	v_mov_b64_e32 v[2:3], v[34:35]
	v_mov_b64_e32 v[4:5], v[36:37]
	;; [unrolled: 1-line block ×16, first 2 shown]
	s_wait_dscnt 0x0
	; wave barrier
	s_and_saveexec_b32 s14, s29
	s_cbranch_execz .LBB33_2
; %bb.64:                               ;   in Loop: Header=BB33_3 Depth=1
	s_and_not1_b32 vcc_lo, exec_lo, s34
	s_cbranch_vccnz .LBB33_68
; %bb.65:                               ;   in Loop: Header=BB33_3 Depth=1
	s_mov_b32 s15, 1
	s_mov_b32 s16, 0
	;; [unrolled: 1-line block ×3, first 2 shown]
.LBB33_66:                              ;   Parent Loop BB33_3 Depth=1
                                        ; =>  This Inner Loop Header: Depth=2
	v_mad_u32 v34, 0x70, s16, v72
	v_mad_u32 v35, 0x70, s15, v72
	s_add_co_i32 s17, s17, -2
	s_add_co_i32 s16, s16, 2
	s_add_co_i32 s15, s15, 2
	s_mov_b32 s22, s35
	s_cmp_lg_u32 s17, 0
	s_wait_xcnt 0x0
	s_mov_b32 s23, s36
	ds_load_b32 v34, v34
	ds_load_b32 v35, v35
	s_wait_dscnt 0x0
	global_store_b64 v[70:71], v[34:35], off
	s_wait_xcnt 0x0
	v_add_nc_u64_e32 v[70:71], 8, v[70:71]
	s_cbranch_scc1 .LBB33_66
; %bb.67:                               ;   in Loop: Header=BB33_3 Depth=1
	s_and_b32 vcc_lo, exec_lo, s23
	s_cbranch_vccz .LBB33_2
	s_branch .LBB33_69
.LBB33_68:                              ;   in Loop: Header=BB33_3 Depth=1
	s_wait_xcnt 0x0
	s_mov_b32 s22, 0
	s_cbranch_execz .LBB33_2
.LBB33_69:                              ;   in Loop: Header=BB33_3 Depth=1
	s_lshl_b32 s16, s22, 2
	s_mov_b32 s17, s3
	v_mad_u32 v36, 0x70, s22, v72
	s_add_nc_u64 s[12:13], s[12:13], s[16:17]
	s_delay_alu instid0(SALU_CYCLE_1)
	v_add_nc_u64_e32 v[34:35], s[12:13], v[68:69]
	s_sub_co_i32 s12, s1, s22
.LBB33_70:                              ;   Parent Loop BB33_3 Depth=1
                                        ; =>  This Inner Loop Header: Depth=2
	ds_load_b32 v37, v36
	v_add_nc_u32_e32 v36, 0x70, v36
	s_add_co_i32 s12, s12, -1
	s_delay_alu instid0(SALU_CYCLE_1)
	s_cmp_lg_u32 s12, 0
	s_wait_dscnt 0x0
	global_store_b32 v[34:35], v37, off
	s_wait_xcnt 0x0
	v_add_nc_u64_e32 v[34:35], 4, v[34:35]
	s_cbranch_scc1 .LBB33_70
	s_branch .LBB33_2
.LBB33_71:
	s_sendmsg sendmsg(MSG_DEALLOC_VGPRS)
	s_endpgm
	.section	.rodata,"a",@progbits
	.p2align	6, 0x0
	.amdhsa_kernel _ZL38rocblas_trsm_small_left_device_sharedBILi28ELi28ELb1EffPKfPfEv13rocblas_fill_18rocblas_operation_17rocblas_diagonal_iiT3_T4_lilT5_lili
		.amdhsa_group_segment_fixed_size 6272
		.amdhsa_private_segment_fixed_size 0
		.amdhsa_kernarg_size 352
		.amdhsa_user_sgpr_count 2
		.amdhsa_user_sgpr_dispatch_ptr 0
		.amdhsa_user_sgpr_queue_ptr 0
		.amdhsa_user_sgpr_kernarg_segment_ptr 1
		.amdhsa_user_sgpr_dispatch_id 0
		.amdhsa_user_sgpr_kernarg_preload_length 0
		.amdhsa_user_sgpr_kernarg_preload_offset 0
		.amdhsa_user_sgpr_private_segment_size 0
		.amdhsa_wavefront_size32 1
		.amdhsa_uses_dynamic_stack 0
		.amdhsa_enable_private_segment 0
		.amdhsa_system_sgpr_workgroup_id_x 1
		.amdhsa_system_sgpr_workgroup_id_y 0
		.amdhsa_system_sgpr_workgroup_id_z 1
		.amdhsa_system_sgpr_workgroup_info 0
		.amdhsa_system_vgpr_workitem_id 0
		.amdhsa_next_free_vgpr 77
		.amdhsa_next_free_sgpr 47
		.amdhsa_named_barrier_count 0
		.amdhsa_reserve_vcc 1
		.amdhsa_float_round_mode_32 0
		.amdhsa_float_round_mode_16_64 0
		.amdhsa_float_denorm_mode_32 3
		.amdhsa_float_denorm_mode_16_64 3
		.amdhsa_fp16_overflow 0
		.amdhsa_memory_ordered 1
		.amdhsa_forward_progress 1
		.amdhsa_inst_pref_size 23
		.amdhsa_round_robin_scheduling 0
		.amdhsa_exception_fp_ieee_invalid_op 0
		.amdhsa_exception_fp_denorm_src 0
		.amdhsa_exception_fp_ieee_div_zero 0
		.amdhsa_exception_fp_ieee_overflow 0
		.amdhsa_exception_fp_ieee_underflow 0
		.amdhsa_exception_fp_ieee_inexact 0
		.amdhsa_exception_int_div_zero 0
	.end_amdhsa_kernel
	.section	.text._ZL38rocblas_trsm_small_left_device_sharedBILi28ELi28ELb1EffPKfPfEv13rocblas_fill_18rocblas_operation_17rocblas_diagonal_iiT3_T4_lilT5_lili,"axG",@progbits,_ZL38rocblas_trsm_small_left_device_sharedBILi28ELi28ELb1EffPKfPfEv13rocblas_fill_18rocblas_operation_17rocblas_diagonal_iiT3_T4_lilT5_lili,comdat
.Lfunc_end33:
	.size	_ZL38rocblas_trsm_small_left_device_sharedBILi28ELi28ELb1EffPKfPfEv13rocblas_fill_18rocblas_operation_17rocblas_diagonal_iiT3_T4_lilT5_lili, .Lfunc_end33-_ZL38rocblas_trsm_small_left_device_sharedBILi28ELi28ELb1EffPKfPfEv13rocblas_fill_18rocblas_operation_17rocblas_diagonal_iiT3_T4_lilT5_lili
                                        ; -- End function
	.set _ZL38rocblas_trsm_small_left_device_sharedBILi28ELi28ELb1EffPKfPfEv13rocblas_fill_18rocblas_operation_17rocblas_diagonal_iiT3_T4_lilT5_lili.num_vgpr, 77
	.set _ZL38rocblas_trsm_small_left_device_sharedBILi28ELi28ELb1EffPKfPfEv13rocblas_fill_18rocblas_operation_17rocblas_diagonal_iiT3_T4_lilT5_lili.num_agpr, 0
	.set _ZL38rocblas_trsm_small_left_device_sharedBILi28ELi28ELb1EffPKfPfEv13rocblas_fill_18rocblas_operation_17rocblas_diagonal_iiT3_T4_lilT5_lili.numbered_sgpr, 47
	.set _ZL38rocblas_trsm_small_left_device_sharedBILi28ELi28ELb1EffPKfPfEv13rocblas_fill_18rocblas_operation_17rocblas_diagonal_iiT3_T4_lilT5_lili.num_named_barrier, 0
	.set _ZL38rocblas_trsm_small_left_device_sharedBILi28ELi28ELb1EffPKfPfEv13rocblas_fill_18rocblas_operation_17rocblas_diagonal_iiT3_T4_lilT5_lili.private_seg_size, 0
	.set _ZL38rocblas_trsm_small_left_device_sharedBILi28ELi28ELb1EffPKfPfEv13rocblas_fill_18rocblas_operation_17rocblas_diagonal_iiT3_T4_lilT5_lili.uses_vcc, 1
	.set _ZL38rocblas_trsm_small_left_device_sharedBILi28ELi28ELb1EffPKfPfEv13rocblas_fill_18rocblas_operation_17rocblas_diagonal_iiT3_T4_lilT5_lili.uses_flat_scratch, 0
	.set _ZL38rocblas_trsm_small_left_device_sharedBILi28ELi28ELb1EffPKfPfEv13rocblas_fill_18rocblas_operation_17rocblas_diagonal_iiT3_T4_lilT5_lili.has_dyn_sized_stack, 0
	.set _ZL38rocblas_trsm_small_left_device_sharedBILi28ELi28ELb1EffPKfPfEv13rocblas_fill_18rocblas_operation_17rocblas_diagonal_iiT3_T4_lilT5_lili.has_recursion, 0
	.set _ZL38rocblas_trsm_small_left_device_sharedBILi28ELi28ELb1EffPKfPfEv13rocblas_fill_18rocblas_operation_17rocblas_diagonal_iiT3_T4_lilT5_lili.has_indirect_call, 0
	.section	.AMDGPU.csdata,"",@progbits
; Kernel info:
; codeLenInByte = 2836
; TotalNumSgprs: 49
; NumVgprs: 77
; ScratchSize: 0
; MemoryBound: 0
; FloatMode: 240
; IeeeMode: 1
; LDSByteSize: 6272 bytes/workgroup (compile time only)
; SGPRBlocks: 0
; VGPRBlocks: 4
; NumSGPRsForWavesPerEU: 49
; NumVGPRsForWavesPerEU: 77
; NamedBarCnt: 0
; Occupancy: 12
; WaveLimiterHint : 0
; COMPUTE_PGM_RSRC2:SCRATCH_EN: 0
; COMPUTE_PGM_RSRC2:USER_SGPR: 2
; COMPUTE_PGM_RSRC2:TRAP_HANDLER: 0
; COMPUTE_PGM_RSRC2:TGID_X_EN: 1
; COMPUTE_PGM_RSRC2:TGID_Y_EN: 0
; COMPUTE_PGM_RSRC2:TGID_Z_EN: 1
; COMPUTE_PGM_RSRC2:TIDIG_COMP_CNT: 0
	.section	.text._ZL30rocblas_trsm_small_left_deviceILi28ELi28ELb1EffPKfPfEv13rocblas_fill_18rocblas_operation_17rocblas_diagonal_iiT3_T4_lilT5_lili,"axG",@progbits,_ZL30rocblas_trsm_small_left_deviceILi28ELi28ELb1EffPKfPfEv13rocblas_fill_18rocblas_operation_17rocblas_diagonal_iiT3_T4_lilT5_lili,comdat
	.globl	_ZL30rocblas_trsm_small_left_deviceILi28ELi28ELb1EffPKfPfEv13rocblas_fill_18rocblas_operation_17rocblas_diagonal_iiT3_T4_lilT5_lili ; -- Begin function _ZL30rocblas_trsm_small_left_deviceILi28ELi28ELb1EffPKfPfEv13rocblas_fill_18rocblas_operation_17rocblas_diagonal_iiT3_T4_lilT5_lili
	.p2align	8
	.type	_ZL30rocblas_trsm_small_left_deviceILi28ELi28ELb1EffPKfPfEv13rocblas_fill_18rocblas_operation_17rocblas_diagonal_iiT3_T4_lilT5_lili,@function
_ZL30rocblas_trsm_small_left_deviceILi28ELi28ELb1EffPKfPfEv13rocblas_fill_18rocblas_operation_17rocblas_diagonal_iiT3_T4_lilT5_lili: ; @_ZL30rocblas_trsm_small_left_deviceILi28ELi28ELb1EffPKfPfEv13rocblas_fill_18rocblas_operation_17rocblas_diagonal_iiT3_T4_lilT5_lili
; %bb.0:
	s_load_b32 s28, s[0:1], 0x58
	s_bfe_u32 s2, ttmp6, 0x40014
	s_lshr_b32 s4, ttmp7, 16
	s_add_co_i32 s2, s2, 1
	s_bfe_u32 s5, ttmp6, 0x40008
	s_mul_i32 s2, s4, s2
	s_getreg_b32 s3, hwreg(HW_REG_IB_STS2, 6, 4)
	s_add_co_i32 s5, s5, s2
	s_cmp_eq_u32 s3, 0
	s_mov_b32 s19, 0
	s_cselect_b32 s2, s4, s5
	s_wait_kmcnt 0x0
	s_cmp_ge_u32 s2, s28
	s_cbranch_scc1 .LBB34_57
; %bb.1:
	s_clause 0x7
	s_load_b32 s24, s[0:1], 0x28
	s_load_b96 s[16:18], s[0:1], 0x40
	s_load_b128 s[8:11], s[0:1], 0x4
	s_load_b128 s[4:7], s[0:1], 0x18
	s_load_b32 s26, s[0:1], 0x60
	s_load_b128 s[12:15], s[0:1], 0x30
	s_load_b64 s[20:21], s[0:1], 0x50
	s_load_b32 s29, s[0:1], 0x14
	v_dual_mov_b32 v67, 0 :: v_dual_lshlrev_b32 v66, 2, v0
	v_mul_u32_u24_e32 v32, 0x70, v0
	s_mov_b32 s39, 0
	s_get_pc_i64 s[22:23]
	s_add_nc_u64 s[22:23], s[22:23], __const._ZL30rocblas_trsm_small_left_deviceILi28ELi28ELb1EffPKfPfEv13rocblas_fill_18rocblas_operation_17rocblas_diagonal_iiT3_T4_lilT5_lili.step_sizes@rel64+4
	v_dual_mov_b32 v2, v67 :: v_dual_mov_b32 v3, v67
	v_dual_mov_b32 v4, v67 :: v_dual_mov_b32 v5, v67
	;; [unrolled: 1-line block ×4, first 2 shown]
	s_wait_kmcnt 0x0
	s_ashr_i32 s25, s24, 31
	v_dual_mov_b32 v10, v67 :: v_dual_mov_b32 v11, v67
	s_cmp_eq_u64 s[24:25], 1
	v_dual_mov_b32 v12, v67 :: v_dual_mov_b32 v13, v67
	s_cselect_b32 s27, -1, 0
	s_bfe_u32 s0, ttmp6, 0x4000c
	s_min_i32 s30, s10, 28
	s_add_co_i32 s0, s0, 1
	s_and_b32 s10, ttmp6, 15
	s_mul_i32 s0, ttmp9, s0
	s_ashr_i32 s1, s18, 31
	s_lshl_b64 s[16:17], s[16:17], 2
	s_add_co_i32 s26, s26, -1
	s_add_co_i32 s31, s30, -1
	s_add_co_i32 s10, s10, s0
	s_cmp_eq_u32 s3, 0
	s_mov_b32 s0, s18
	s_cselect_b32 s3, ttmp9, s10
	v_dual_mov_b32 v14, v67 :: v_dual_mov_b32 v15, v67
	v_mad_u32 v22, s3, 28, v0
	v_dual_mov_b32 v18, v67 :: v_dual_mov_b32 v16, v67
	v_dual_mov_b32 v17, v67 :: v_dual_mov_b32 v19, v67
	;; [unrolled: 1-line block ×5, first 2 shown]
	v_dual_mov_b32 v28, v67 :: v_dual_ashrrev_i32 v23, 31, v22
	v_mov_b32_e32 v29, v67
	s_delay_alu instid0(VALU_DEP_2)
	v_mul_u64_e32 v[30:31], s[0:1], v[22:23]
	s_mul_i32 s0, s3, 0xffffffe4
	v_mov_b32_e32 v22, v67
	s_add_co_i32 s0, s11, s0
	s_cmp_ge_u32 s3, s26
	s_add_nc_u64 s[10:11], s[14:15], s[16:17]
	s_cselect_b32 s1, s0, 28
	s_cmp_lg_u32 s9, 0x84
	v_cmp_gt_i32_e64 s0, s30, v0
	s_cselect_b32 s33, -1, 0
	s_cmp_lg_u32 s8, 0x6f
	v_cmp_gt_i32_e64 s1, s1, v0
	s_cselect_b32 s34, -1, 0
	s_cmp_gt_u32 s30, 1
	v_mov_b32_e32 v23, v67
	s_cselect_b32 s3, -1, 0
	s_and_b32 s35, s30, -2
	s_and_b32 s36, s3, s27
	s_cmp_lg_u32 s30, s35
	s_cselect_b32 s37, -1, 0
	s_lshl_b64 s[14:15], s[6:7], 2
	s_lshl_b32 s38, s30, 2
	s_add_nc_u64 s[4:5], s[4:5], s[14:15]
	s_lshl_b64 s[6:7], s[12:13], 2
	v_add_nc_u64_e32 v[0:1], s[4:5], v[66:67]
	v_add_nc_u32_e32 v67, v66, v32
	s_lshl_b64 s[8:9], s[24:25], 2
	s_lshl_b64 s[4:5], s[20:21], 2
	s_add_co_i32 s38, s38, -4
	v_lshl_add_u64 v[68:69], v[30:31], 2, s[10:11]
	s_branch .LBB34_5
.LBB34_2:                               ;   in Loop: Header=BB34_5 Depth=1
	s_wait_xcnt 0x0
	v_mov_b64_e32 v[64:65], v[32:33]
	v_mov_b64_e32 v[62:63], v[30:31]
	;; [unrolled: 1-line block ×16, first 2 shown]
.LBB34_3:                               ;   in Loop: Header=BB34_5 Depth=1
	s_add_co_i32 s2, s2, 0x10000
	s_delay_alu instid0(SALU_CYCLE_1) | instskip(SKIP_1) | instid1(SALU_CYCLE_1)
	s_cmp_ge_u32 s2, s28
	s_cselect_b32 s3, -1, 0
	s_or_not1_b32 s10, s3, exec_lo
.LBB34_4:                               ;   in Loop: Header=BB34_5 Depth=1
	s_wait_xcnt 0x0
	s_or_b32 exec_lo, exec_lo, s40
	v_mov_b64_e32 v[2:3], v[34:35]
	v_mov_b64_e32 v[4:5], v[36:37]
	v_mov_b64_e32 v[6:7], v[38:39]
	v_mov_b64_e32 v[8:9], v[40:41]
	v_mov_b64_e32 v[10:11], v[42:43]
	v_mov_b64_e32 v[12:13], v[44:45]
	v_mov_b64_e32 v[14:15], v[46:47]
	v_mov_b64_e32 v[16:17], v[48:49]
	v_mov_b64_e32 v[18:19], v[50:51]
	v_mov_b64_e32 v[20:21], v[52:53]
	v_mov_b64_e32 v[22:23], v[54:55]
	v_mov_b64_e32 v[24:25], v[56:57]
	v_mov_b64_e32 v[26:27], v[58:59]
	v_mov_b64_e32 v[28:29], v[60:61]
	v_mov_b64_e32 v[30:31], v[62:63]
	v_mov_b64_e32 v[32:33], v[64:65]
	s_and_b32 s3, exec_lo, s10
	s_delay_alu instid0(SALU_CYCLE_1) | instskip(NEXT) | instid1(SALU_CYCLE_1)
	s_or_b32 s39, s3, s39
	s_and_not1_b32 exec_lo, exec_lo, s39
	s_cbranch_execz .LBB34_57
.LBB34_5:                               ; =>This Loop Header: Depth=1
                                        ;     Child Loop BB34_8 Depth 2
                                        ;     Child Loop BB34_12 Depth 2
	;; [unrolled: 1-line block ×3, first 2 shown]
                                        ;       Child Loop BB34_22 Depth 3
                                        ;       Child Loop BB34_24 Depth 3
                                        ;         Child Loop BB34_25 Depth 4
                                        ;       Child Loop BB34_30 Depth 3
                                        ;         Child Loop BB34_32 Depth 4
                                        ;     Child Loop BB34_34 Depth 2
                                        ;     Child Loop BB34_39 Depth 2
                                        ;       Child Loop BB34_42 Depth 3
                                        ;         Child Loop BB34_43 Depth 4
                                        ;         Child Loop BB34_46 Depth 4
                                        ;           Child Loop BB34_47 Depth 5
                                        ;         Child Loop BB34_52 Depth 4
                                        ;           Child Loop BB34_54 Depth 5
	s_mov_b32 s3, s19
	s_and_saveexec_b32 s12, s0
	s_cbranch_execz .LBB34_16
; %bb.6:                                ;   in Loop: Header=BB34_5 Depth=1
	s_and_not1_b32 vcc_lo, exec_lo, s36
	s_mul_u64 s[10:11], s[6:7], s[2:3]
	s_cbranch_vccnz .LBB34_10
; %bb.7:                                ;   in Loop: Header=BB34_5 Depth=1
	v_add_nc_u64_e32 v[34:35], s[10:11], v[0:1]
	s_mov_b32 s13, 1
	s_mov_b32 s14, 0
	;; [unrolled: 1-line block ×3, first 2 shown]
.LBB34_8:                               ;   Parent Loop BB34_5 Depth=1
                                        ; =>  This Inner Loop Header: Depth=2
	global_load_b64 v[36:37], v[34:35], off
	v_mad_u32 v38, 0x70, s14, v66
	v_mad_u32 v39, 0x70, s13, v66
	s_wait_xcnt 0x0
	v_add_nc_u64_e32 v[34:35], 8, v[34:35]
	s_add_co_i32 s15, s15, -2
	s_add_co_i32 s14, s14, 2
	s_add_co_i32 s13, s13, 2
	s_mov_b32 s18, s35
	s_mov_b32 s16, s37
	s_cmp_lg_u32 s15, 0
	s_wait_loadcnt 0x0
	ds_store_b32 v38, v36
	ds_store_b32 v39, v37
	s_cbranch_scc1 .LBB34_8
; %bb.9:                                ;   in Loop: Header=BB34_5 Depth=1
	s_and_b32 vcc_lo, exec_lo, s16
	s_cbranch_vccnz .LBB34_11
	s_branch .LBB34_13
.LBB34_10:                              ;   in Loop: Header=BB34_5 Depth=1
	s_mov_b32 s18, 0
	s_cbranch_execz .LBB34_13
.LBB34_11:                              ;   in Loop: Header=BB34_5 Depth=1
	s_mul_u64 s[14:15], s[8:9], s[18:19]
	v_mad_u32 v36, 0x70, s18, v66
	s_add_nc_u64 s[10:11], s[14:15], s[10:11]
	s_delay_alu instid0(SALU_CYCLE_1)
	v_add_nc_u64_e32 v[34:35], s[10:11], v[0:1]
	s_sub_co_i32 s10, s30, s18
.LBB34_12:                              ;   Parent Loop BB34_5 Depth=1
                                        ; =>  This Inner Loop Header: Depth=2
	global_load_b32 v37, v[34:35], off
	s_wait_xcnt 0x0
	v_add_nc_u64_e32 v[34:35], s[8:9], v[34:35]
	s_add_co_i32 s10, s10, -1
	s_delay_alu instid0(SALU_CYCLE_1)
	s_cmp_eq_u32 s10, 0
	s_wait_loadcnt 0x0
	ds_store_b32 v36, v37
	v_add_nc_u32_e32 v36, 0x70, v36
	s_cbranch_scc0 .LBB34_12
.LBB34_13:                              ;   in Loop: Header=BB34_5 Depth=1
	v_mov_b32_e32 v34, 1.0
	s_and_b32 vcc_lo, exec_lo, s33
	s_cbranch_vccz .LBB34_15
; %bb.14:                               ;   in Loop: Header=BB34_5 Depth=1
	ds_load_b32 v34, v67
	s_wait_dscnt 0x0
	v_div_scale_f32 v35, null, v34, v34, 1.0
	s_delay_alu instid0(VALU_DEP_1) | instskip(SKIP_1) | instid1(TRANS32_DEP_1)
	v_rcp_f32_e32 v36, v35
	v_nop
	v_fma_f32 v37, -v35, v36, 1.0
	s_delay_alu instid0(VALU_DEP_1) | instskip(SKIP_1) | instid1(VALU_DEP_1)
	v_fmac_f32_e32 v36, v37, v36
	v_div_scale_f32 v37, vcc_lo, 1.0, v34, 1.0
	v_mul_f32_e32 v38, v37, v36
	s_delay_alu instid0(VALU_DEP_1) | instskip(NEXT) | instid1(VALU_DEP_1)
	v_fma_f32 v39, -v35, v38, v37
	v_fmac_f32_e32 v38, v39, v36
	s_delay_alu instid0(VALU_DEP_1) | instskip(NEXT) | instid1(VALU_DEP_1)
	v_fma_f32 v35, -v35, v38, v37
	v_div_fmas_f32 v35, v35, v36, v38
	s_delay_alu instid0(VALU_DEP_1)
	v_div_fixup_f32 v34, v35, v34, 1.0
.LBB34_15:                              ;   in Loop: Header=BB34_5 Depth=1
	ds_store_b32 v67, v34
.LBB34_16:                              ;   in Loop: Header=BB34_5 Depth=1
	s_or_b32 exec_lo, exec_lo, s12
	s_mov_b32 s10, -1
	s_wait_dscnt 0x0
	; wave barrier
                                        ; implicit-def: $vgpr34_vgpr35_vgpr36_vgpr37_vgpr38_vgpr39_vgpr40_vgpr41_vgpr42_vgpr43_vgpr44_vgpr45_vgpr46_vgpr47_vgpr48_vgpr49_vgpr50_vgpr51_vgpr52_vgpr53_vgpr54_vgpr55_vgpr56_vgpr57_vgpr58_vgpr59_vgpr60_vgpr61_vgpr62_vgpr63_vgpr64_vgpr65
	s_and_saveexec_b32 s40, s1
	s_cbranch_execz .LBB34_4
; %bb.17:                               ;   in Loop: Header=BB34_5 Depth=1
	s_mul_u64 s[10:11], s[20:21], s[2:3]
	s_and_not1_b32 vcc_lo, exec_lo, s34
	v_lshl_add_u64 v[70:71], s[10:11], 2, v[68:69]
	s_mul_u64 s[10:11], s[4:5], s[2:3]
	s_mov_b32 s3, -1
                                        ; implicit-def: $vgpr34_vgpr35_vgpr36_vgpr37_vgpr38_vgpr39_vgpr40_vgpr41_vgpr42_vgpr43_vgpr44_vgpr45_vgpr46_vgpr47_vgpr48_vgpr49_vgpr50_vgpr51_vgpr52_vgpr53_vgpr54_vgpr55_vgpr56_vgpr57_vgpr58_vgpr59_vgpr60_vgpr61_vgpr62_vgpr63_vgpr64_vgpr65
	s_cbranch_vccnz .LBB34_37
; %bb.18:                               ;   in Loop: Header=BB34_5 Depth=1
	v_mov_b64_e32 v[64:65], v[32:33]
	v_add_nc_u64_e32 v[72:73], s[10:11], v[68:69]
	v_mov_b64_e32 v[62:63], v[30:31]
	v_mov_b64_e32 v[60:61], v[28:29]
	;; [unrolled: 1-line block ×15, first 2 shown]
	s_mov_b32 s3, 0
	s_mov_b32 s12, s31
	s_load_b32 s18, s[22:23], s3 offset:0x0 scale_offset
	s_wait_kmcnt 0x0
	s_add_co_i32 s41, s18, -1
	s_delay_alu instid0(SALU_CYCLE_1)
	s_cmp_lt_i32 s12, s41
	s_cbranch_scc1 .LBB34_34
.LBB34_19:                              ;   in Loop: Header=BB34_5 Depth=1
	s_mul_i32 s13, s12, 0x70
	s_max_i32 s42, s18, 1
	s_add_co_i32 s43, s38, s13
	s_mul_i32 s44, s18, 0xffffff90
	s_mul_i32 s45, s12, 0x74
	;; [unrolled: 1-line block ×3, first 2 shown]
	s_branch .LBB34_21
.LBB34_20:                              ;   in Loop: Header=BB34_21 Depth=2
	s_sub_co_i32 s12, s12, s18
	s_add_co_i32 s43, s43, s44
	s_add_co_i32 s45, s45, s46
	s_cmp_lt_i32 s12, s41
	s_cbranch_scc1 .LBB34_34
.LBB34_21:                              ;   Parent Loop BB34_5 Depth=1
                                        ; =>  This Loop Header: Depth=2
                                        ;       Child Loop BB34_22 Depth 3
                                        ;       Child Loop BB34_24 Depth 3
                                        ;         Child Loop BB34_25 Depth 4
                                        ;       Child Loop BB34_30 Depth 3
                                        ;         Child Loop BB34_32 Depth 4
	s_ashr_i32 s13, s12, 31
	s_mov_b64 s[14:15], 0
	s_wait_xcnt 0x0
	v_lshl_add_u64 v[74:75], s[12:13], 2, v[72:73]
.LBB34_22:                              ;   Parent Loop BB34_5 Depth=1
                                        ;     Parent Loop BB34_21 Depth=2
                                        ; =>    This Inner Loop Header: Depth=3
	global_load_b32 v76, v[74:75], off
	s_wait_xcnt 0x0
	v_add_nc_u64_e32 v[74:75], -4, v[74:75]
	s_mov_b32 m0, s14
	s_add_nc_u64 s[14:15], s[14:15], 1
	s_delay_alu instid0(SALU_CYCLE_1) | instskip(SKIP_2) | instid1(VALU_DEP_1)
	s_cmp_eq_u32 s42, s14
	s_wait_loadcnt 0x0
	v_mul_f32_e32 v76, s29, v76
	v_movreld_b32_e32 v34, v76
	s_cbranch_scc0 .LBB34_22
; %bb.23:                               ;   in Loop: Header=BB34_21 Depth=2
	s_cmp_le_i32 s31, s12
	s_mov_b32 s24, s43
	s_mov_b32 s14, s31
	s_cbranch_scc1 .LBB34_27
.LBB34_24:                              ;   Parent Loop BB34_5 Depth=1
                                        ;     Parent Loop BB34_21 Depth=2
                                        ; =>    This Loop Header: Depth=3
                                        ;         Child Loop BB34_25 Depth 4
	s_ashr_i32 s15, s14, 31
	s_mov_b64 s[16:17], 0
	v_lshl_add_u64 v[74:75], s[14:15], 2, v[70:71]
	s_mov_b32 s15, s24
	global_load_b32 v74, v[74:75], off
.LBB34_25:                              ;   Parent Loop BB34_5 Depth=1
                                        ;     Parent Loop BB34_21 Depth=2
                                        ;       Parent Loop BB34_24 Depth=3
                                        ; =>      This Inner Loop Header: Depth=4
	s_wait_xcnt 0x0
	v_mov_b32_e32 v75, s15
	s_mov_b32 m0, s16
	s_add_nc_u64 s[16:17], s[16:17], 1
	v_movrels_b32_e32 v76, v34
	s_addk_co_i32 s15, 0xff90
	ds_load_b32 v75, v75
	s_cmp_eq_u32 s42, s16
	s_wait_loadcnt_dscnt 0x0
	v_fma_f32 v75, -v74, v75, v76
	s_delay_alu instid0(VALU_DEP_1)
	v_movreld_b32_e32 v34, v75
	s_cbranch_scc0 .LBB34_25
; %bb.26:                               ;   in Loop: Header=BB34_24 Depth=3
	s_add_co_i32 s14, s14, -1
	s_add_co_i32 s24, s24, -4
	s_cmp_le_i32 s14, s12
	s_cbranch_scc0 .LBB34_24
.LBB34_27:                              ;   in Loop: Header=BB34_21 Depth=2
	s_mov_b64 s[14:15], 0
	s_mov_b32 s47, s45
	s_branch .LBB34_30
.LBB34_28:                              ;   in Loop: Header=BB34_30 Depth=3
	s_mov_b32 s16, s12
	s_mov_b64 s[26:27], 0
	s_mov_b64 s[24:25], s[12:13]
.LBB34_29:                              ;   in Loop: Header=BB34_30 Depth=3
	s_mulk_i32 s16, 0x74
	s_mov_b32 m0, s26
	s_wait_xcnt 0x0
	v_mov_b32_e32 v74, s16
	v_movrels_b32_e32 v75, v34
	s_add_nc_u64 s[14:15], s[14:15], 1
	s_addk_co_i32 s47, 0xff90
	s_cmp_eq_u32 s14, s42
	ds_load_b32 v74, v74
	s_wait_dscnt 0x0
	v_mul_f32_e32 v76, v75, v74
	v_lshl_add_u64 v[74:75], s[24:25], 2, v[70:71]
	s_delay_alu instid0(VALU_DEP_2)
	v_movreld_b32_e32 v34, v76
	global_store_b32 v[74:75], v76, off
	s_cbranch_scc1 .LBB34_20
.LBB34_30:                              ;   Parent Loop BB34_5 Depth=1
                                        ;     Parent Loop BB34_21 Depth=2
                                        ; =>    This Loop Header: Depth=3
                                        ;         Child Loop BB34_32 Depth 4
	s_cmp_eq_u32 s14, 0
	s_cbranch_scc1 .LBB34_28
; %bb.31:                               ;   in Loop: Header=BB34_30 Depth=3
	s_mov_b64 s[16:17], 0
	s_mov_b32 s24, s47
.LBB34_32:                              ;   Parent Loop BB34_5 Depth=1
                                        ;     Parent Loop BB34_21 Depth=2
                                        ;       Parent Loop BB34_30 Depth=3
                                        ; =>      This Inner Loop Header: Depth=4
	s_wait_xcnt 0x0
	v_mov_b32_e32 v74, s24
	s_mov_b32 m0, s16
	s_add_nc_u64 s[16:17], s[16:17], 1
	v_movrels_b32_e32 v75, v34
	s_mov_b32 m0, s14
	ds_load_b32 v74, v74
	v_movrels_b32_e32 v76, v34
	s_add_co_i32 s24, s24, -4
	s_cmp_eq_u32 s14, s16
	s_wait_dscnt 0x0
	s_delay_alu instid0(VALU_DEP_1) | instskip(NEXT) | instid1(VALU_DEP_1)
	v_fma_f32 v74, -v75, v74, v76
	v_movreld_b32_e32 v34, v74
	s_cbranch_scc0 .LBB34_32
; %bb.33:                               ;   in Loop: Header=BB34_30 Depth=3
	s_sub_co_i32 s16, s12, s14
	s_mov_b64 s[26:27], s[14:15]
	s_ashr_i32 s17, s16, 31
	s_delay_alu instid0(SALU_CYCLE_1)
	s_mov_b64 s[24:25], s[16:17]
	s_branch .LBB34_29
.LBB34_34:                              ;   Parent Loop BB34_5 Depth=1
                                        ; =>  This Inner Loop Header: Depth=2
	s_cmp_gt_i32 s12, -1
	s_cselect_b32 s14, -1, 0
	s_add_co_i32 s13, s3, 1
	s_cmp_lt_u32 s3, 2
	s_wait_xcnt 0x0
	s_cselect_b32 s3, -1, 0
	s_delay_alu instid0(SALU_CYCLE_1) | instskip(NEXT) | instid1(SALU_CYCLE_1)
	s_and_b32 s3, s14, s3
	s_and_b32 vcc_lo, exec_lo, s3
	s_cbranch_vccz .LBB34_36
; %bb.35:                               ;   in Loop: Header=BB34_34 Depth=2
	s_mov_b32 s3, s13
	s_load_b32 s18, s[22:23], s3 offset:0x0 scale_offset
	s_wait_kmcnt 0x0
	s_add_co_i32 s41, s18, -1
	s_delay_alu instid0(SALU_CYCLE_1)
	s_cmp_lt_i32 s12, s41
	s_cbranch_scc0 .LBB34_19
	s_branch .LBB34_34
.LBB34_36:                              ;   in Loop: Header=BB34_5 Depth=1
	s_mov_b32 s3, 0
.LBB34_37:                              ;   in Loop: Header=BB34_5 Depth=1
	s_delay_alu instid0(SALU_CYCLE_1)
	s_and_b32 vcc_lo, exec_lo, s3
	s_cbranch_vccz .LBB34_3
; %bb.38:                               ;   in Loop: Header=BB34_5 Depth=1
	v_add_nc_u64_e32 v[34:35], s[10:11], v[68:69]
	s_mov_b32 s10, 0
	s_mov_b32 s3, 0
.LBB34_39:                              ;   Parent Loop BB34_5 Depth=1
                                        ; =>  This Loop Header: Depth=2
                                        ;       Child Loop BB34_42 Depth 3
                                        ;         Child Loop BB34_43 Depth 4
                                        ;         Child Loop BB34_46 Depth 4
                                        ;           Child Loop BB34_47 Depth 5
                                        ;         Child Loop BB34_52 Depth 4
                                        ;           Child Loop BB34_54 Depth 5
	s_load_b32 s12, s[22:23], s3 offset:0x0 scale_offset
	s_wait_kmcnt 0x0
	s_add_co_i32 s26, s12, -1
	s_delay_alu instid0(SALU_CYCLE_1) | instskip(NEXT) | instid1(SALU_CYCLE_1)
	s_add_co_i32 s11, s26, s10
	s_cmp_ge_i32 s11, s30
	s_cbranch_scc1 .LBB34_55
; %bb.40:                               ;   in Loop: Header=BB34_39 Depth=2
	s_ashr_i32 s11, s10, 31
	s_ashr_i32 s13, s12, 31
	v_lshl_add_u64 v[36:37], s[10:11], 2, v[34:35]
	s_max_i32 s27, s12, 1
	s_lshl_b64 s[14:15], s[12:13], 2
	s_lshl_b32 s11, s10, 2
	s_lshl_b32 s13, s12, 2
	s_mul_i32 s41, s10, 0x74
	s_mul_i32 s42, s12, 0x74
	s_branch .LBB34_42
.LBB34_41:                              ;   in Loop: Header=BB34_42 Depth=3
	v_add_nc_u64_e32 v[36:37], s[14:15], v[36:37]
	s_add_co_i32 s10, s10, s12
	s_add_co_i32 s11, s11, s13
	s_add_co_i32 s16, s26, s10
	s_add_co_i32 s41, s41, s42
	s_cmp_ge_i32 s16, s30
	s_cbranch_scc1 .LBB34_55
.LBB34_42:                              ;   Parent Loop BB34_5 Depth=1
                                        ;     Parent Loop BB34_39 Depth=2
                                        ; =>    This Loop Header: Depth=3
                                        ;         Child Loop BB34_43 Depth 4
                                        ;         Child Loop BB34_46 Depth 4
                                        ;           Child Loop BB34_47 Depth 5
                                        ;         Child Loop BB34_52 Depth 4
                                        ;           Child Loop BB34_54 Depth 5
	s_wait_xcnt 0x0
	v_mov_b64_e32 v[38:39], v[36:37]
	s_mov_b64 s[16:17], 0
.LBB34_43:                              ;   Parent Loop BB34_5 Depth=1
                                        ;     Parent Loop BB34_39 Depth=2
                                        ;       Parent Loop BB34_42 Depth=3
                                        ; =>      This Inner Loop Header: Depth=4
	global_load_b32 v40, v[38:39], off
	s_wait_xcnt 0x0
	v_add_nc_u64_e32 v[38:39], 4, v[38:39]
	s_mov_b32 m0, s16
	s_add_nc_u64 s[16:17], s[16:17], 1
	s_delay_alu instid0(SALU_CYCLE_1) | instskip(SKIP_2) | instid1(VALU_DEP_1)
	s_cmp_eq_u32 s27, s16
	s_wait_loadcnt 0x0
	v_mul_f32_e32 v40, s29, v40
	v_movreld_b32_e32 v2, v40
	s_cbranch_scc0 .LBB34_43
; %bb.44:                               ;   in Loop: Header=BB34_42 Depth=3
	s_cmp_lt_i32 s10, 1
	s_cbranch_scc1 .LBB34_49
; %bb.45:                               ;   in Loop: Header=BB34_42 Depth=3
	s_mov_b32 s18, 0
	s_mov_b32 s24, s11
.LBB34_46:                              ;   Parent Loop BB34_5 Depth=1
                                        ;     Parent Loop BB34_39 Depth=2
                                        ;       Parent Loop BB34_42 Depth=3
                                        ; =>      This Loop Header: Depth=4
                                        ;           Child Loop BB34_47 Depth 5
	v_lshl_add_u64 v[38:39], s[18:19], 2, v[70:71]
	s_mov_b64 s[16:17], 0
	s_mov_b32 s25, s24
	global_load_b32 v38, v[38:39], off
.LBB34_47:                              ;   Parent Loop BB34_5 Depth=1
                                        ;     Parent Loop BB34_39 Depth=2
                                        ;       Parent Loop BB34_42 Depth=3
                                        ;         Parent Loop BB34_46 Depth=4
                                        ; =>        This Inner Loop Header: Depth=5
	s_wait_xcnt 0x0
	v_mov_b32_e32 v39, s25
	s_mov_b32 m0, s16
	s_add_nc_u64 s[16:17], s[16:17], 1
	v_movrels_b32_e32 v40, v2
	s_add_co_i32 s25, s25, 4
	ds_load_b32 v39, v39
	s_cmp_eq_u32 s27, s16
	s_wait_loadcnt_dscnt 0x0
	v_fma_f32 v39, -v38, v39, v40
	s_delay_alu instid0(VALU_DEP_1)
	v_movreld_b32_e32 v2, v39
	s_cbranch_scc0 .LBB34_47
; %bb.48:                               ;   in Loop: Header=BB34_46 Depth=4
	s_add_co_i32 s18, s18, 1
	s_addk_co_i32 s24, 0x70
	s_cmp_eq_u32 s18, s10
	s_cbranch_scc0 .LBB34_46
.LBB34_49:                              ;   in Loop: Header=BB34_42 Depth=3
	s_mov_b64 s[16:17], 0
	s_mov_b32 s18, s41
	s_branch .LBB34_52
.LBB34_50:                              ;   in Loop: Header=BB34_52 Depth=4
	s_mov_b64 s[24:25], s[16:17]
.LBB34_51:                              ;   in Loop: Header=BB34_52 Depth=4
	s_delay_alu instid0(SALU_CYCLE_1)
	s_mov_b32 m0, s24
	s_add_co_i32 s24, s16, s10
	s_wait_xcnt 0x0
	v_movrels_b32_e32 v39, v2
	s_mul_i32 s25, s24, 0x74
	s_add_nc_u64 s[16:17], s[16:17], 1
	v_mov_b32_e32 v38, s25
	s_ashr_i32 s25, s24, 31
	s_add_co_i32 s18, s18, 4
	s_cmp_eq_u32 s16, s27
	ds_load_b32 v38, v38
	s_wait_dscnt 0x0
	v_mul_f32_e32 v40, v39, v38
	v_lshl_add_u64 v[38:39], s[24:25], 2, v[70:71]
	s_delay_alu instid0(VALU_DEP_2)
	v_movreld_b32_e32 v2, v40
	global_store_b32 v[38:39], v40, off
	s_cbranch_scc1 .LBB34_41
.LBB34_52:                              ;   Parent Loop BB34_5 Depth=1
                                        ;     Parent Loop BB34_39 Depth=2
                                        ;       Parent Loop BB34_42 Depth=3
                                        ; =>      This Loop Header: Depth=4
                                        ;           Child Loop BB34_54 Depth 5
	s_mov_b64 s[24:25], 0
	s_cmp_eq_u32 s16, 0
	s_cbranch_scc1 .LBB34_51
; %bb.53:                               ;   in Loop: Header=BB34_52 Depth=4
	s_mov_b32 s43, s18
.LBB34_54:                              ;   Parent Loop BB34_5 Depth=1
                                        ;     Parent Loop BB34_39 Depth=2
                                        ;       Parent Loop BB34_42 Depth=3
                                        ;         Parent Loop BB34_52 Depth=4
                                        ; =>        This Inner Loop Header: Depth=5
	s_wait_xcnt 0x0
	v_mov_b32_e32 v38, s43
	s_mov_b32 m0, s24
	s_add_nc_u64 s[24:25], s[24:25], 1
	v_movrels_b32_e32 v39, v2
	s_mov_b32 m0, s16
	ds_load_b32 v38, v38
	v_movrels_b32_e32 v40, v2
	s_addk_co_i32 s43, 0x70
	s_cmp_eq_u32 s16, s24
	s_wait_dscnt 0x0
	s_delay_alu instid0(VALU_DEP_1) | instskip(NEXT) | instid1(VALU_DEP_1)
	v_fma_f32 v38, -v39, v38, v40
	v_movreld_b32_e32 v2, v38
	s_cbranch_scc0 .LBB34_54
	s_branch .LBB34_50
.LBB34_55:                              ;   in Loop: Header=BB34_39 Depth=2
	s_cmp_lt_i32 s10, s30
	s_cselect_b32 s12, -1, 0
	s_add_co_i32 s11, s3, 1
	s_cmp_lt_u32 s3, 2
	s_wait_xcnt 0x0
	s_cselect_b32 s3, -1, 0
	s_delay_alu instid0(SALU_CYCLE_1) | instskip(NEXT) | instid1(SALU_CYCLE_1)
	s_and_b32 s3, s12, s3
	s_and_not1_b32 vcc_lo, exec_lo, s3
	s_cbranch_vccnz .LBB34_2
; %bb.56:                               ;   in Loop: Header=BB34_39 Depth=2
	s_mov_b32 s3, s11
	s_branch .LBB34_39
.LBB34_57:
	s_sendmsg sendmsg(MSG_DEALLOC_VGPRS)
	s_endpgm
	.section	.rodata,"a",@progbits
	.p2align	6, 0x0
	.amdhsa_kernel _ZL30rocblas_trsm_small_left_deviceILi28ELi28ELb1EffPKfPfEv13rocblas_fill_18rocblas_operation_17rocblas_diagonal_iiT3_T4_lilT5_lili
		.amdhsa_group_segment_fixed_size 3136
		.amdhsa_private_segment_fixed_size 0
		.amdhsa_kernarg_size 352
		.amdhsa_user_sgpr_count 2
		.amdhsa_user_sgpr_dispatch_ptr 0
		.amdhsa_user_sgpr_queue_ptr 0
		.amdhsa_user_sgpr_kernarg_segment_ptr 1
		.amdhsa_user_sgpr_dispatch_id 0
		.amdhsa_user_sgpr_kernarg_preload_length 0
		.amdhsa_user_sgpr_kernarg_preload_offset 0
		.amdhsa_user_sgpr_private_segment_size 0
		.amdhsa_wavefront_size32 1
		.amdhsa_uses_dynamic_stack 0
		.amdhsa_enable_private_segment 0
		.amdhsa_system_sgpr_workgroup_id_x 1
		.amdhsa_system_sgpr_workgroup_id_y 0
		.amdhsa_system_sgpr_workgroup_id_z 1
		.amdhsa_system_sgpr_workgroup_info 0
		.amdhsa_system_vgpr_workitem_id 0
		.amdhsa_next_free_vgpr 77
		.amdhsa_next_free_sgpr 48
		.amdhsa_named_barrier_count 0
		.amdhsa_reserve_vcc 1
		.amdhsa_float_round_mode_32 0
		.amdhsa_float_round_mode_16_64 0
		.amdhsa_float_denorm_mode_32 3
		.amdhsa_float_denorm_mode_16_64 3
		.amdhsa_fp16_overflow 0
		.amdhsa_memory_ordered 1
		.amdhsa_forward_progress 1
		.amdhsa_inst_pref_size 19
		.amdhsa_round_robin_scheduling 0
		.amdhsa_exception_fp_ieee_invalid_op 0
		.amdhsa_exception_fp_denorm_src 0
		.amdhsa_exception_fp_ieee_div_zero 0
		.amdhsa_exception_fp_ieee_overflow 0
		.amdhsa_exception_fp_ieee_underflow 0
		.amdhsa_exception_fp_ieee_inexact 0
		.amdhsa_exception_int_div_zero 0
	.end_amdhsa_kernel
	.section	.text._ZL30rocblas_trsm_small_left_deviceILi28ELi28ELb1EffPKfPfEv13rocblas_fill_18rocblas_operation_17rocblas_diagonal_iiT3_T4_lilT5_lili,"axG",@progbits,_ZL30rocblas_trsm_small_left_deviceILi28ELi28ELb1EffPKfPfEv13rocblas_fill_18rocblas_operation_17rocblas_diagonal_iiT3_T4_lilT5_lili,comdat
.Lfunc_end34:
	.size	_ZL30rocblas_trsm_small_left_deviceILi28ELi28ELb1EffPKfPfEv13rocblas_fill_18rocblas_operation_17rocblas_diagonal_iiT3_T4_lilT5_lili, .Lfunc_end34-_ZL30rocblas_trsm_small_left_deviceILi28ELi28ELb1EffPKfPfEv13rocblas_fill_18rocblas_operation_17rocblas_diagonal_iiT3_T4_lilT5_lili
                                        ; -- End function
	.set _ZL30rocblas_trsm_small_left_deviceILi28ELi28ELb1EffPKfPfEv13rocblas_fill_18rocblas_operation_17rocblas_diagonal_iiT3_T4_lilT5_lili.num_vgpr, 77
	.set _ZL30rocblas_trsm_small_left_deviceILi28ELi28ELb1EffPKfPfEv13rocblas_fill_18rocblas_operation_17rocblas_diagonal_iiT3_T4_lilT5_lili.num_agpr, 0
	.set _ZL30rocblas_trsm_small_left_deviceILi28ELi28ELb1EffPKfPfEv13rocblas_fill_18rocblas_operation_17rocblas_diagonal_iiT3_T4_lilT5_lili.numbered_sgpr, 48
	.set _ZL30rocblas_trsm_small_left_deviceILi28ELi28ELb1EffPKfPfEv13rocblas_fill_18rocblas_operation_17rocblas_diagonal_iiT3_T4_lilT5_lili.num_named_barrier, 0
	.set _ZL30rocblas_trsm_small_left_deviceILi28ELi28ELb1EffPKfPfEv13rocblas_fill_18rocblas_operation_17rocblas_diagonal_iiT3_T4_lilT5_lili.private_seg_size, 0
	.set _ZL30rocblas_trsm_small_left_deviceILi28ELi28ELb1EffPKfPfEv13rocblas_fill_18rocblas_operation_17rocblas_diagonal_iiT3_T4_lilT5_lili.uses_vcc, 1
	.set _ZL30rocblas_trsm_small_left_deviceILi28ELi28ELb1EffPKfPfEv13rocblas_fill_18rocblas_operation_17rocblas_diagonal_iiT3_T4_lilT5_lili.uses_flat_scratch, 0
	.set _ZL30rocblas_trsm_small_left_deviceILi28ELi28ELb1EffPKfPfEv13rocblas_fill_18rocblas_operation_17rocblas_diagonal_iiT3_T4_lilT5_lili.has_dyn_sized_stack, 0
	.set _ZL30rocblas_trsm_small_left_deviceILi28ELi28ELb1EffPKfPfEv13rocblas_fill_18rocblas_operation_17rocblas_diagonal_iiT3_T4_lilT5_lili.has_recursion, 0
	.set _ZL30rocblas_trsm_small_left_deviceILi28ELi28ELb1EffPKfPfEv13rocblas_fill_18rocblas_operation_17rocblas_diagonal_iiT3_T4_lilT5_lili.has_indirect_call, 0
	.section	.AMDGPU.csdata,"",@progbits
; Kernel info:
; codeLenInByte = 2352
; TotalNumSgprs: 50
; NumVgprs: 77
; ScratchSize: 0
; MemoryBound: 0
; FloatMode: 240
; IeeeMode: 1
; LDSByteSize: 3136 bytes/workgroup (compile time only)
; SGPRBlocks: 0
; VGPRBlocks: 4
; NumSGPRsForWavesPerEU: 50
; NumVGPRsForWavesPerEU: 77
; NamedBarCnt: 0
; Occupancy: 12
; WaveLimiterHint : 0
; COMPUTE_PGM_RSRC2:SCRATCH_EN: 0
; COMPUTE_PGM_RSRC2:USER_SGPR: 2
; COMPUTE_PGM_RSRC2:TRAP_HANDLER: 0
; COMPUTE_PGM_RSRC2:TGID_X_EN: 1
; COMPUTE_PGM_RSRC2:TGID_Y_EN: 0
; COMPUTE_PGM_RSRC2:TGID_Z_EN: 1
; COMPUTE_PGM_RSRC2:TIDIG_COMP_CNT: 0
	.section	.text._ZL31rocblas_trsm_small_right_deviceIffPKfPfLi28EEv13rocblas_fill_18rocblas_operation_17rocblas_diagonal_iiT0_T1_lilT2_lili,"axG",@progbits,_ZL31rocblas_trsm_small_right_deviceIffPKfPfLi28EEv13rocblas_fill_18rocblas_operation_17rocblas_diagonal_iiT0_T1_lilT2_lili,comdat
	.globl	_ZL31rocblas_trsm_small_right_deviceIffPKfPfLi28EEv13rocblas_fill_18rocblas_operation_17rocblas_diagonal_iiT0_T1_lilT2_lili ; -- Begin function _ZL31rocblas_trsm_small_right_deviceIffPKfPfLi28EEv13rocblas_fill_18rocblas_operation_17rocblas_diagonal_iiT0_T1_lilT2_lili
	.p2align	8
	.type	_ZL31rocblas_trsm_small_right_deviceIffPKfPfLi28EEv13rocblas_fill_18rocblas_operation_17rocblas_diagonal_iiT0_T1_lilT2_lili,@function
_ZL31rocblas_trsm_small_right_deviceIffPKfPfLi28EEv13rocblas_fill_18rocblas_operation_17rocblas_diagonal_iiT0_T1_lilT2_lili: ; @_ZL31rocblas_trsm_small_right_deviceIffPKfPfLi28EEv13rocblas_fill_18rocblas_operation_17rocblas_diagonal_iiT0_T1_lilT2_lili
; %bb.0:
	s_load_b32 s28, s[0:1], 0x58
	s_bfe_u32 s2, ttmp6, 0x40014
	s_lshr_b32 s3, ttmp7, 16
	s_add_co_i32 s2, s2, 1
	s_bfe_u32 s4, ttmp6, 0x40008
	s_mul_i32 s2, s3, s2
	s_getreg_b32 s19, hwreg(HW_REG_IB_STS2, 6, 4)
	s_add_co_i32 s4, s4, s2
	s_cmp_eq_u32 s19, 0
	s_cselect_b32 s2, s3, s4
	s_mov_b32 s3, 0
	s_wait_kmcnt 0x0
	s_cmp_ge_u32 s2, s28
	s_cbranch_scc1 .LBB35_97
; %bb.1:
	s_clause 0x6
	s_load_b32 s22, s[0:1], 0x28
	s_load_b96 s[16:18], s[0:1], 0x40
	s_load_b128 s[12:15], s[0:1], 0x0
	s_load_b64 s[20:21], s[0:1], 0x10
	s_load_b32 s26, s[0:1], 0x60
	s_load_b128 s[4:7], s[0:1], 0x18
	s_load_b128 s[8:11], s[0:1], 0x30
	v_dual_mov_b32 v3, 0 :: v_dual_lshlrev_b32 v2, 2, v0
	v_mul_u32_u24_e32 v6, 0x70, v0
	s_delay_alu instid0(VALU_DEP_2)
	v_dual_mov_b32 v15, 1.0 :: v_dual_add_nc_u32 v12, 0xc40, v2
	s_wait_kmcnt 0x0
	s_ashr_i32 s23, s22, 31
	s_mov_b32 s24, s18
	s_cmp_eq_u64 s[22:23], 1
	s_cselect_b32 s37, -1, 0
	s_ashr_i32 s25, s18, 31
	s_delay_alu instid0(SALU_CYCLE_1)
	s_cmp_eq_u64 s[24:25], 1
	s_cselect_b32 s40, -1, 0
	s_cmp_lg_u32 s12, 0x7a
	s_cselect_b32 s31, -1, 0
	s_bfe_u32 s18, ttmp6, 0x4000c
	s_min_i32 s29, s20, 28
	s_add_co_i32 s18, s18, 1
	s_add_co_i32 s27, s26, -1
	s_and_b32 s26, ttmp6, 15
	s_mul_i32 s18, ttmp9, s18
	s_add_co_i32 s30, s29, -1
	s_add_co_i32 s26, s26, s18
	s_cmp_eq_u32 s19, 0
	s_load_b64 s[18:19], s[0:1], 0x50
	s_cselect_b32 s26, ttmp9, s26
	s_mul_i32 s46, s29, 0x70
	s_wait_xcnt 0x0
	s_mul_i32 s0, s26, 0xffffffe4
	v_add3_u32 v14, s46, v2, 0xbd0
	s_add_co_i32 s0, s15, s0
	s_cmp_ge_u32 s26, s27
	s_mul_i32 s41, s29, 0x74
	s_cselect_b32 s0, s0, 28
	s_ashr_i32 s27, s26, 31
	s_cmp_eq_u32 s14, 0x84
	v_cmp_gt_i32_e32 vcc_lo, s0, v0
	s_cselect_b32 s1, -1, 0
	s_cmp_gt_i32 s20, 0
	s_mul_u64 s[42:43], s[26:27], 0x70
	s_cselect_b32 s35, -1, 0
	s_cmp_lg_u32 s13, 0x6f
	s_mov_b32 s14, s21
	s_cselect_b32 s13, -1, 0
	s_cmp_lg_u32 s12, 0x79
	s_mov_b32 s15, s21
	s_cselect_b32 s0, -1, 0
	s_or_b32 s31, s31, s13
	s_or_b32 s33, s0, s13
	s_cmp_gt_i32 s20, 3
	v_cndmask_b32_e64 v13, 0, 1, s0
	s_cselect_b32 s34, -1, 0
	s_and_b32 s35, vcc_lo, s35
	s_cmp_gt_u32 s29, 1
	v_cmp_gt_i32_e64 s0, s29, v0
	s_cselect_b32 s12, -1, 0
	s_and_b32 s36, s29, -2
	s_and_b32 s37, s12, s37
	s_cmp_lg_u32 s29, s36
	s_cselect_b32 s38, -1, 0
	s_cmp_gt_u32 s20, 1
	s_cselect_b32 s12, -1, 0
	s_and_b32 s39, s20, 0x7ffffffe
	s_and_b32 s40, s12, s40
	s_cmp_lg_u32 s20, s39
	s_cselect_b32 s26, -1, 0
	s_lshl_b64 s[44:45], s[6:7], 2
	s_lshl_b64 s[6:7], s[8:9], 2
	;; [unrolled: 1-line block ×4, first 2 shown]
	s_add_nc_u64 s[4:5], s[4:5], s[44:45]
	s_add_nc_u64 s[22:23], s[42:43], s[22:23]
	v_add_nc_u64_e32 v[0:1], s[4:5], v[2:3]
	s_add_nc_u64 s[10:11], s[10:11], s[22:23]
	s_lshl_b64 s[16:17], s[24:25], 2
	v_add_nc_u64_e32 v[4:5], s[10:11], v[2:3]
	v_add_nc_u32_e32 v3, v2, v6
	s_lshl_b32 s25, s29, 2
	s_wait_kmcnt 0x0
	s_lshl_b64 s[12:13], s[18:19], 2
	s_add_co_i32 s18, s41, 0xffffff80
	s_add_co_i32 s19, s46, 0xffffff90
	;; [unrolled: 1-line block ×4, first 2 shown]
	s_add_co_i32 s24, s25, -4
	s_addk_co_i32 s25, 0xff8c
	s_branch .LBB35_3
.LBB35_2:                               ;   in Loop: Header=BB35_3 Depth=1
	s_or_b32 exec_lo, exec_lo, s27
	s_add_co_i32 s2, s2, 0x10000
	s_delay_alu instid0(SALU_CYCLE_1)
	s_cmp_lt_u32 s2, s28
	s_cbranch_scc0 .LBB35_97
.LBB35_3:                               ; =>This Loop Header: Depth=1
                                        ;     Child Loop BB35_6 Depth 2
                                        ;     Child Loop BB35_10 Depth 2
	;; [unrolled: 1-line block ×5, first 2 shown]
                                        ;       Child Loop BB35_27 Depth 3
                                        ;     Child Loop BB35_33 Depth 2
                                        ;       Child Loop BB35_34 Depth 3
                                        ;     Child Loop BB35_38 Depth 2
	;; [unrolled: 2-line block ×3, first 2 shown]
                                        ;     Child Loop BB35_52 Depth 2
                                        ;       Child Loop BB35_53 Depth 3
                                        ;       Child Loop BB35_55 Depth 3
                                        ;     Child Loop BB35_59 Depth 2
                                        ;       Child Loop BB35_60 Depth 3
                                        ;     Child Loop BB35_67 Depth 2
                                        ;     Child Loop BB35_72 Depth 2
                                        ;       Child Loop BB35_73 Depth 3
                                        ;       Child Loop BB35_75 Depth 3
                                        ;     Child Loop BB35_80 Depth 2
                                        ;       Child Loop BB35_81 Depth 3
                                        ;     Child Loop BB35_87 Depth 2
	;; [unrolled: 2-line block ×3, first 2 shown]
                                        ;     Child Loop BB35_96 Depth 2
	s_and_saveexec_b32 s27, s0
	s_cbranch_execz .LBB35_13
; %bb.4:                                ;   in Loop: Header=BB35_3 Depth=1
	s_and_not1_b32 vcc_lo, exec_lo, s37
	s_mul_u64 s[4:5], s[6:7], s[2:3]
	s_cbranch_vccnz .LBB35_8
; %bb.5:                                ;   in Loop: Header=BB35_3 Depth=1
	v_add_nc_u64_e32 v[6:7], s[4:5], v[0:1]
	s_mov_b32 s11, 1
	s_mov_b32 s41, 0
	;; [unrolled: 1-line block ×3, first 2 shown]
.LBB35_6:                               ;   Parent Loop BB35_3 Depth=1
                                        ; =>  This Inner Loop Header: Depth=2
	global_load_b64 v[8:9], v[6:7], off
	v_mad_u32 v10, 0x70, s41, v2
	v_mad_u32 v11, 0x70, s11, v2
	s_wait_xcnt 0x0
	v_add_nc_u64_e32 v[6:7], 8, v[6:7]
	s_add_co_i32 s42, s42, -2
	s_add_co_i32 s41, s41, 2
	s_add_co_i32 s11, s11, 2
	s_mov_b32 s10, s36
	s_mov_b32 s43, s38
	s_cmp_lg_u32 s42, 0
	s_wait_loadcnt 0x0
	ds_store_b32 v10, v8
	ds_store_b32 v11, v9
	s_cbranch_scc1 .LBB35_6
; %bb.7:                                ;   in Loop: Header=BB35_3 Depth=1
	s_and_b32 vcc_lo, exec_lo, s43
	s_cbranch_vccnz .LBB35_9
	s_branch .LBB35_11
.LBB35_8:                               ;   in Loop: Header=BB35_3 Depth=1
	s_mov_b32 s10, 0
	s_cbranch_execz .LBB35_11
.LBB35_9:                               ;   in Loop: Header=BB35_3 Depth=1
	s_mov_b32 s11, s3
	v_mad_u32 v8, 0x70, s10, v2
	s_mul_u64 s[42:43], s[8:9], s[10:11]
	s_delay_alu instid0(SALU_CYCLE_1) | instskip(NEXT) | instid1(SALU_CYCLE_1)
	s_add_nc_u64 s[4:5], s[42:43], s[4:5]
	v_add_nc_u64_e32 v[6:7], s[4:5], v[0:1]
	s_sub_co_i32 s4, s29, s10
.LBB35_10:                              ;   Parent Loop BB35_3 Depth=1
                                        ; =>  This Inner Loop Header: Depth=2
	global_load_b32 v9, v[6:7], off
	s_wait_xcnt 0x0
	v_add_nc_u64_e32 v[6:7], s[8:9], v[6:7]
	s_add_co_i32 s4, s4, -1
	s_delay_alu instid0(SALU_CYCLE_1)
	s_cmp_eq_u32 s4, 0
	s_wait_loadcnt 0x0
	ds_store_b32 v8, v9
	v_add_nc_u32_e32 v8, 0x70, v8
	s_cbranch_scc0 .LBB35_10
.LBB35_11:                              ;   in Loop: Header=BB35_3 Depth=1
	s_and_b32 vcc_lo, exec_lo, s1
	s_cbranch_vccz .LBB35_13
; %bb.12:                               ;   in Loop: Header=BB35_3 Depth=1
	ds_store_b32 v3, v15
.LBB35_13:                              ;   in Loop: Header=BB35_3 Depth=1
	s_or_b32 exec_lo, exec_lo, s27
	s_mul_u64 s[4:5], s[12:13], s[2:3]
	s_delay_alu instid0(SALU_CYCLE_1)
	v_add_nc_u64_e32 v[6:7], s[4:5], v[4:5]
	s_and_saveexec_b32 s27, s35
	s_cbranch_execz .LBB35_21
; %bb.14:                               ;   in Loop: Header=BB35_3 Depth=1
	s_and_not1_b32 vcc_lo, exec_lo, s40
	s_cbranch_vccnz .LBB35_18
; %bb.15:                               ;   in Loop: Header=BB35_3 Depth=1
	s_delay_alu instid0(VALU_DEP_1)
	v_mov_b64_e32 v[8:9], v[6:7]
	s_mov_b32 s11, 1
	s_mov_b32 s41, 0
	;; [unrolled: 1-line block ×3, first 2 shown]
.LBB35_16:                              ;   Parent Loop BB35_3 Depth=1
                                        ; =>  This Inner Loop Header: Depth=2
	global_load_b64 v[10:11], v[8:9], off
	v_mov_b64_e32 v[16:17], s[14:15]
	v_mad_u32 v18, 0x70, s41, v12
	v_mad_u32 v19, 0x70, s11, v12
	s_wait_xcnt 0x0
	v_add_nc_u64_e32 v[8:9], 8, v[8:9]
	s_add_co_i32 s42, s42, -2
	s_add_co_i32 s41, s41, 2
	s_add_co_i32 s11, s11, 2
	s_mov_b32 s10, s39
	s_mov_b32 s43, s26
	s_cmp_lg_u32 s42, 0
	s_wait_loadcnt 0x0
	v_pk_mul_f32 v[10:11], v[16:17], v[10:11]
	ds_store_b32 v18, v10
	ds_store_b32 v19, v11
	s_cbranch_scc1 .LBB35_16
; %bb.17:                               ;   in Loop: Header=BB35_3 Depth=1
	s_and_b32 vcc_lo, exec_lo, s43
	s_cbranch_vccnz .LBB35_19
	s_branch .LBB35_21
.LBB35_18:                              ;   in Loop: Header=BB35_3 Depth=1
	s_mov_b32 s10, 0
	s_cbranch_execz .LBB35_21
.LBB35_19:                              ;   in Loop: Header=BB35_3 Depth=1
	s_mov_b32 s11, s3
	v_mad_u32 v10, 0x70, s10, v12
	s_mul_u64 s[42:43], s[16:17], s[10:11]
	s_sub_co_i32 s10, s20, s10
	s_add_nc_u64 s[42:43], s[42:43], s[4:5]
	s_delay_alu instid0(SALU_CYCLE_1)
	v_add_nc_u64_e32 v[8:9], s[42:43], v[4:5]
.LBB35_20:                              ;   Parent Loop BB35_3 Depth=1
                                        ; =>  This Inner Loop Header: Depth=2
	global_load_b32 v11, v[8:9], off
	s_wait_xcnt 0x0
	v_add_nc_u64_e32 v[8:9], s[16:17], v[8:9]
	s_add_co_i32 s10, s10, -1
	s_delay_alu instid0(SALU_CYCLE_1)
	s_cmp_lg_u32 s10, 0
	s_wait_loadcnt 0x0
	v_mul_f32_e32 v11, s21, v11
	ds_store_b32 v10, v11
	v_add_nc_u32_e32 v10, 0x70, v10
	s_cbranch_scc1 .LBB35_20
.LBB35_21:                              ;   in Loop: Header=BB35_3 Depth=1
	s_or_b32 exec_lo, exec_lo, s27
	s_delay_alu instid0(SALU_CYCLE_1)
	s_and_b32 vcc_lo, exec_lo, s33
	s_mov_b32 s10, -1
	s_wait_dscnt 0x0
	; wave barrier
	s_cbranch_vccz .LBB35_77
; %bb.22:                               ;   in Loop: Header=BB35_3 Depth=1
	s_and_b32 vcc_lo, exec_lo, s31
	s_cbranch_vccz .LBB35_57
; %bb.23:                               ;   in Loop: Header=BB35_3 Depth=1
	v_cmp_ne_u32_e32 vcc_lo, 1, v13
	s_cbranch_vccnz .LBB35_36
; %bb.24:                               ;   in Loop: Header=BB35_3 Depth=1
	s_and_not1_b32 vcc_lo, exec_lo, s34
	s_mov_b32 s27, 0
	s_cbranch_vccnz .LBB35_30
; %bb.25:                               ;   in Loop: Header=BB35_3 Depth=1
	s_mov_b32 s10, 0
	s_mov_b32 s11, 0
.LBB35_26:                              ;   Parent Loop BB35_3 Depth=1
                                        ; =>  This Loop Header: Depth=2
                                        ;       Child Loop BB35_27 Depth 3
	s_delay_alu instid0(SALU_CYCLE_1) | instskip(SKIP_3) | instid1(SALU_CYCLE_1)
	v_mad_u32 v16, 0x70, s11, v12
	s_or_b32 s27, s11, 3
	s_cmp_eq_u32 s11, 0
	s_mulk_i32 s27, 0x70
	v_dual_mov_b32 v18, v12 :: v_dual_add_nc_u32 v17, s27, v12
	s_mov_b32 s27, s10
	s_mov_b32 s41, s11
	ds_load_2addr_b32 v[10:11], v16 offset1:28
	ds_load_b32 v8, v16 offset:224
	ds_load_b32 v9, v17
	s_cbranch_scc1 .LBB35_28
.LBB35_27:                              ;   Parent Loop BB35_3 Depth=1
                                        ;     Parent Loop BB35_26 Depth=2
                                        ; =>    This Inner Loop Header: Depth=3
	v_mov_b32_e32 v19, s27
	s_add_co_i32 s41, s41, -1
	s_addk_co_i32 s27, 0x70
	s_cmp_eq_u32 s41, 0
	ds_load_b32 v24, v18
	ds_load_b128 v[20:23], v19
	v_add_nc_u32_e32 v18, 0x70, v18
	s_wait_dscnt 0x0
	v_pk_fma_f32 v[10:11], v[24:25], v[20:21], v[10:11] op_sel_hi:[0,1,1] neg_lo:[1,0,0] neg_hi:[1,0,0]
	v_pk_fma_f32 v[8:9], v[24:25], v[22:23], v[8:9] op_sel_hi:[0,1,1] neg_lo:[1,0,0] neg_hi:[1,0,0]
	s_cbranch_scc0 .LBB35_27
.LBB35_28:                              ;   in Loop: Header=BB35_26 Depth=2
	s_lshl_b32 s27, s11, 2
	s_mul_i32 s41, s11, 0x70
	s_or_b32 s42, s27, 4
	s_add_co_i32 s41, s27, s41
	s_add_co_i32 s10, s10, 16
	v_mov_b32_e32 v24, s41
	s_addk_co_i32 s41, 0x74
	ds_load_b128 v[18:21], v24
	ds_load_2addr_b32 v[22:23], v24 offset0:29 offset1:30
	s_sub_co_i32 s41, s41, s42
	s_delay_alu instid0(SALU_CYCLE_1) | instskip(SKIP_3) | instid1(VALU_DEP_2)
	s_add_co_i32 s27, s41, s27
	s_wait_dscnt 0x1
	v_div_scale_f32 v25, null, v18, v18, v10
	v_div_scale_f32 v28, vcc_lo, v10, v18, v10
	v_rcp_f32_e32 v26, v25
	v_nop
	s_delay_alu instid0(TRANS32_DEP_1) | instskip(NEXT) | instid1(VALU_DEP_1)
	v_fma_f32 v27, -v25, v26, 1.0
	v_fmac_f32_e32 v26, v27, v26
	s_delay_alu instid0(VALU_DEP_1) | instskip(NEXT) | instid1(VALU_DEP_1)
	v_mul_f32_e32 v27, v28, v26
	v_fma_f32 v29, -v25, v27, v28
	s_delay_alu instid0(VALU_DEP_1) | instskip(NEXT) | instid1(VALU_DEP_1)
	v_fmac_f32_e32 v27, v29, v26
	v_fma_f32 v25, -v25, v27, v28
	s_delay_alu instid0(VALU_DEP_1) | instskip(NEXT) | instid1(VALU_DEP_1)
	v_div_fmas_f32 v25, v25, v26, v27
	v_div_fixup_f32 v18, v25, v18, v10
	s_delay_alu instid0(VALU_DEP_1)
	v_dual_fma_f32 v19, -v18, v19, v11 :: v_dual_fma_f32 v8, -v18, v20, v8
	ds_load_b32 v20, v24 offset:348
	v_fma_f32 v9, -v18, v21, v9
	s_wait_dscnt 0x1
	v_div_scale_f32 v25, null, v22, v22, v19
	v_div_scale_f32 v27, vcc_lo, v19, v22, v19
	s_delay_alu instid0(VALU_DEP_2) | instskip(SKIP_1) | instid1(TRANS32_DEP_1)
	v_rcp_f32_e32 v26, v25
	v_nop
	v_fma_f32 v10, -v25, v26, 1.0
	s_delay_alu instid0(VALU_DEP_1) | instskip(NEXT) | instid1(VALU_DEP_1)
	v_fmac_f32_e32 v26, v10, v26
	v_mul_f32_e32 v28, v27, v26
	s_delay_alu instid0(VALU_DEP_1) | instskip(NEXT) | instid1(VALU_DEP_1)
	v_fma_f32 v10, -v25, v28, v27
	v_fmac_f32_e32 v28, v10, v26
	ds_load_b64 v[10:11], v24 offset:232
	v_fma_f32 v25, -v25, v28, v27
	s_delay_alu instid0(VALU_DEP_1) | instskip(NEXT) | instid1(VALU_DEP_1)
	v_div_fmas_f32 v25, v25, v26, v28
	v_div_fixup_f32 v19, v25, v22, v19
	s_delay_alu instid0(VALU_DEP_1) | instskip(SKIP_3) | instid1(VALU_DEP_1)
	v_fma_f32 v8, -v19, v23, v8
	ds_store_2addr_b32 v16, v18, v19 offset1:28
	s_wait_dscnt 0x1
	v_div_scale_f32 v22, null, v10, v10, v8
	v_rcp_f32_e32 v23, v22
	v_nop
	s_delay_alu instid0(TRANS32_DEP_1) | instskip(NEXT) | instid1(VALU_DEP_1)
	v_fma_f32 v24, -v22, v23, 1.0
	v_dual_fmac_f32 v23, v24, v23 :: v_dual_mov_b32 v24, s27
	v_div_scale_f32 v25, vcc_lo, v8, v10, v8
	s_add_co_i32 s27, s11, 4
	s_add_co_i32 s11, s11, 7
	ds_load_b32 v24, v24 offset:12
	v_mul_f32_e32 v26, v25, v23
	s_cmp_ge_i32 s11, s29
	s_delay_alu instid0(VALU_DEP_1) | instskip(NEXT) | instid1(VALU_DEP_1)
	v_fma_f32 v27, -v22, v26, v25
	v_fmac_f32_e32 v26, v27, v23
	s_delay_alu instid0(VALU_DEP_1) | instskip(SKIP_2) | instid1(VALU_DEP_2)
	v_fma_f32 v22, -v22, v26, v25
	s_wait_dscnt 0x0
	v_fma_f32 v9, -v19, v24, v9
	v_div_fmas_f32 v21, v22, v23, v26
	s_delay_alu instid0(VALU_DEP_1) | instskip(NEXT) | instid1(VALU_DEP_1)
	v_div_fixup_f32 v8, v21, v10, v8
	v_fma_f32 v9, -v8, v11, v9
	s_delay_alu instid0(VALU_DEP_1) | instskip(SKIP_1) | instid1(VALU_DEP_2)
	v_div_scale_f32 v10, null, v20, v20, v9
	v_div_scale_f32 v22, vcc_lo, v9, v20, v9
	v_rcp_f32_e32 v11, v10
	v_nop
	s_delay_alu instid0(TRANS32_DEP_1) | instskip(NEXT) | instid1(VALU_DEP_1)
	v_fma_f32 v21, -v10, v11, 1.0
	v_fmac_f32_e32 v11, v21, v11
	s_delay_alu instid0(VALU_DEP_1) | instskip(NEXT) | instid1(VALU_DEP_1)
	v_mul_f32_e32 v21, v22, v11
	v_fma_f32 v23, -v10, v21, v22
	s_delay_alu instid0(VALU_DEP_1) | instskip(NEXT) | instid1(VALU_DEP_1)
	v_fmac_f32_e32 v21, v23, v11
	v_fma_f32 v10, -v10, v21, v22
	s_delay_alu instid0(VALU_DEP_1) | instskip(NEXT) | instid1(VALU_DEP_1)
	v_div_fmas_f32 v10, v10, v11, v21
	v_div_fixup_f32 v9, v10, v20, v9
	ds_store_b32 v16, v8 offset:224
	ds_store_b32 v17, v9
	s_cbranch_scc1 .LBB35_30
; %bb.29:                               ;   in Loop: Header=BB35_26 Depth=2
	s_mov_b32 s11, s27
	s_branch .LBB35_26
.LBB35_30:                              ;   in Loop: Header=BB35_3 Depth=1
	s_cmp_ge_i32 s27, s29
	s_cbranch_scc1 .LBB35_35
; %bb.31:                               ;   in Loop: Header=BB35_3 Depth=1
	s_lshl_b32 s10, s27, 2
	s_branch .LBB35_33
.LBB35_32:                              ;   in Loop: Header=BB35_33 Depth=2
	s_lshl_b32 s41, s27, 2
	s_add_co_i32 s27, s27, 1
	s_add_co_i32 s11, s41, s11
	;; [unrolled: 1-line block ×3, first 2 shown]
	v_mov_b32_e32 v10, s11
	s_cmp_ge_i32 s27, s29
	ds_load_b32 v10, v10
	s_wait_dscnt 0x0
	v_div_scale_f32 v11, null, v10, v10, v9
	s_delay_alu instid0(VALU_DEP_1) | instskip(SKIP_1) | instid1(TRANS32_DEP_1)
	v_rcp_f32_e32 v16, v11
	v_nop
	v_fma_f32 v17, -v11, v16, 1.0
	s_delay_alu instid0(VALU_DEP_1) | instskip(SKIP_1) | instid1(VALU_DEP_1)
	v_fmac_f32_e32 v16, v17, v16
	v_div_scale_f32 v17, vcc_lo, v9, v10, v9
	v_mul_f32_e32 v18, v17, v16
	s_delay_alu instid0(VALU_DEP_1) | instskip(NEXT) | instid1(VALU_DEP_1)
	v_fma_f32 v19, -v11, v18, v17
	v_fmac_f32_e32 v18, v19, v16
	s_delay_alu instid0(VALU_DEP_1) | instskip(NEXT) | instid1(VALU_DEP_1)
	v_fma_f32 v11, -v11, v18, v17
	v_div_fmas_f32 v11, v11, v16, v18
	s_delay_alu instid0(VALU_DEP_1)
	v_div_fixup_f32 v9, v11, v10, v9
	ds_store_b32 v8, v9
	s_cbranch_scc1 .LBB35_35
.LBB35_33:                              ;   Parent Loop BB35_3 Depth=1
                                        ; =>  This Loop Header: Depth=2
                                        ;       Child Loop BB35_34 Depth 3
	s_mul_i32 s11, s27, 0x70
	s_cmp_eq_u32 s27, 0
	v_dual_add_nc_u32 v8, s11, v12 :: v_dual_mov_b32 v10, v12
	s_mov_b32 s41, s10
	s_mov_b32 s42, s27
	ds_load_b32 v9, v8
	s_cbranch_scc1 .LBB35_32
.LBB35_34:                              ;   Parent Loop BB35_3 Depth=1
                                        ;     Parent Loop BB35_33 Depth=2
                                        ; =>    This Inner Loop Header: Depth=3
	v_mov_b32_e32 v11, s41
	s_add_co_i32 s42, s42, -1
	s_addk_co_i32 s41, 0x70
	s_cmp_eq_u32 s42, 0
	ds_load_b32 v16, v10
	ds_load_b32 v11, v11
	v_add_nc_u32_e32 v10, 0x70, v10
	s_wait_dscnt 0x0
	v_fma_f32 v9, -v16, v11, v9
	s_cbranch_scc0 .LBB35_34
	s_branch .LBB35_32
.LBB35_35:                              ;   in Loop: Header=BB35_3 Depth=1
	s_mov_b32 s10, 0
.LBB35_36:                              ;   in Loop: Header=BB35_3 Depth=1
	s_delay_alu instid0(SALU_CYCLE_1)
	s_and_b32 vcc_lo, exec_lo, s10
	s_cbranch_vccz .LBB35_56
; %bb.37:                               ;   in Loop: Header=BB35_3 Depth=1
	s_mov_b32 s27, s30
	s_and_not1_b32 vcc_lo, exec_lo, s34
	s_mov_b32 s10, s18
	s_mov_b32 s11, s30
	s_cbranch_vccnz .LBB35_43
.LBB35_38:                              ;   Parent Loop BB35_3 Depth=1
                                        ; =>  This Loop Header: Depth=2
                                        ;       Child Loop BB35_39 Depth 3
	s_mul_i32 s27, s11, 0x70
	s_mov_b32 s41, s10
	v_add_nc_u32_e32 v16, s27, v12
	s_addk_co_i32 s27, 0xfeb0
	s_cmp_le_i32 s30, s11
	v_add_nc_u32_e32 v19, s27, v12
	s_mov_b32 s42, s30
	v_dual_mov_b32 v20, v14 :: v_dual_add_nc_u32 v17, 0xffffff90, v16
	v_add_nc_u32_e32 v18, 0xffffff20, v16
	ds_load_b32 v11, v16
	ds_load_b32 v10, v17
	;; [unrolled: 1-line block ×4, first 2 shown]
	s_cbranch_scc1 .LBB35_40
.LBB35_39:                              ;   Parent Loop BB35_3 Depth=1
                                        ;     Parent Loop BB35_38 Depth=2
                                        ; =>    This Inner Loop Header: Depth=3
	v_mov_b32_e32 v21, s41
	s_add_co_i32 s42, s42, -1
	s_addk_co_i32 s41, 0xff90
	s_cmp_le_i32 s42, s11
	ds_load_b32 v22, v20
	ds_load_2addr_b32 v[24:25], v21 offset0:2 offset1:3
	ds_load_2addr_b32 v[26:27], v21 offset1:1
	v_add_nc_u32_e32 v20, 0xffffff90, v20
	s_wait_dscnt 0x1
	v_pk_fma_f32 v[10:11], v[22:23], v[24:25], v[10:11] op_sel_hi:[0,1,1] neg_lo:[1,0,0] neg_hi:[1,0,0]
	s_wait_dscnt 0x0
	v_pk_fma_f32 v[8:9], v[22:23], v[26:27], v[8:9] op_sel_hi:[0,1,1] neg_lo:[1,0,0] neg_hi:[1,0,0]
	s_cbranch_scc0 .LBB35_39
.LBB35_40:                              ;   in Loop: Header=BB35_38 Depth=2
	s_add_co_i32 s41, s11, -3
; %bb.41:                               ;   in Loop: Header=BB35_38 Depth=2
	s_mul_i32 s42, s11, 0x74
	s_lshl_b32 s41, s41, 2
	s_add_co_i32 s43, s42, -4
	s_add_co_i32 s42, s42, -12
	v_mov_b32_e32 v20, s43
	s_add_co_i32 s43, s11, -1
	s_add_co_i32 s27, s41, s27
	s_lshl_b32 s44, s43, 2
	s_mulk_i32 s43, 0x70
	s_add_co_i32 s10, s10, -16
	s_add_co_i32 s44, s44, s43
	s_add_co_i32 s43, s41, s43
	v_mov_b32_e32 v22, s44
	ds_load_2addr_b32 v[20:21], v20 offset1:1
	v_dual_mov_b32 v23, s42 :: v_dual_mov_b32 v24, s43
	s_lshl_b32 s42, s11, 2
	ds_load_b32 v26, v22
	ds_load_2addr_b32 v[22:23], v23 offset1:1
	ds_load_2addr_b32 v[24:25], v24 offset1:1
	s_sub_co_i32 s42, s44, s42
	s_delay_alu instid0(SALU_CYCLE_1) | instskip(NEXT) | instid1(SALU_CYCLE_1)
	s_add_co_i32 s42, s42, s41
	s_addk_co_i32 s42, 0xff94
	s_wait_dscnt 0x3
	v_div_scale_f32 v27, null, v21, v21, v11
	v_div_scale_f32 v30, vcc_lo, v11, v21, v11
	s_delay_alu instid0(VALU_DEP_2) | instskip(SKIP_1) | instid1(TRANS32_DEP_1)
	v_rcp_f32_e32 v28, v27
	v_nop
	v_fma_f32 v29, -v27, v28, 1.0
	s_delay_alu instid0(VALU_DEP_1) | instskip(NEXT) | instid1(VALU_DEP_1)
	v_fmac_f32_e32 v28, v29, v28
	v_mul_f32_e32 v29, v30, v28
	s_delay_alu instid0(VALU_DEP_1) | instskip(NEXT) | instid1(VALU_DEP_1)
	v_fma_f32 v31, -v27, v29, v30
	v_fmac_f32_e32 v29, v31, v28
	s_delay_alu instid0(VALU_DEP_1) | instskip(NEXT) | instid1(VALU_DEP_1)
	v_fma_f32 v27, -v27, v29, v30
	v_div_fmas_f32 v27, v27, v28, v29
	s_delay_alu instid0(VALU_DEP_1) | instskip(NEXT) | instid1(VALU_DEP_1)
	v_div_fixup_f32 v21, v27, v21, v11
	v_dual_mov_b32 v11, s42 :: v_dual_fma_f32 v20, -v21, v20, v10
	s_wait_dscnt 0x1
	v_dual_fma_f32 v8, -v21, v22, v8 :: v_dual_fma_f32 v9, -v21, v23, v9
	v_mov_b32_e32 v23, s27
	s_add_co_i32 s27, s11, -4
	v_div_scale_f32 v27, null, v26, v26, v20
	v_div_scale_f32 v29, vcc_lo, v20, v26, v20
	s_cmp_lt_i32 s11, 7
	v_rcp_f32_e32 v28, v27
	ds_load_b32 v23, v23
	v_nop
	v_fma_f32 v10, -v27, v28, 1.0
	s_delay_alu instid0(VALU_DEP_1) | instskip(NEXT) | instid1(VALU_DEP_1)
	v_fmac_f32_e32 v28, v10, v28
	v_mul_f32_e32 v30, v29, v28
	s_delay_alu instid0(VALU_DEP_1) | instskip(NEXT) | instid1(VALU_DEP_1)
	v_fma_f32 v10, -v27, v30, v29
	v_fmac_f32_e32 v30, v10, v28
	ds_load_2addr_b32 v[10:11], v11 offset1:1
	v_fma_f32 v27, -v27, v30, v29
	s_delay_alu instid0(VALU_DEP_1) | instskip(NEXT) | instid1(VALU_DEP_1)
	v_div_fmas_f32 v27, v27, v28, v30
	v_div_fixup_f32 v20, v27, v26, v20
	s_wait_dscnt 0x2
	s_delay_alu instid0(VALU_DEP_1) | instskip(SKIP_1) | instid1(VALU_DEP_1)
	v_dual_fma_f32 v9, -v20, v25, v9 :: v_dual_fma_f32 v8, -v20, v24, v8
	s_wait_dscnt 0x0
	v_div_scale_f32 v25, null, v11, v11, v9
	s_delay_alu instid0(VALU_DEP_1) | instskip(SKIP_1) | instid1(TRANS32_DEP_1)
	v_rcp_f32_e32 v26, v25
	v_nop
	v_fma_f32 v27, -v25, v26, 1.0
	s_delay_alu instid0(VALU_DEP_1) | instskip(SKIP_1) | instid1(VALU_DEP_1)
	v_fmac_f32_e32 v26, v27, v26
	v_div_scale_f32 v28, vcc_lo, v9, v11, v9
	v_mul_f32_e32 v27, v28, v26
	s_delay_alu instid0(VALU_DEP_1) | instskip(NEXT) | instid1(VALU_DEP_1)
	v_fma_f32 v29, -v25, v27, v28
	v_fmac_f32_e32 v27, v29, v26
	s_delay_alu instid0(VALU_DEP_1) | instskip(NEXT) | instid1(VALU_DEP_1)
	v_fma_f32 v25, -v25, v27, v28
	v_div_fmas_f32 v22, v25, v26, v27
	s_delay_alu instid0(VALU_DEP_1) | instskip(NEXT) | instid1(VALU_DEP_1)
	v_div_fixup_f32 v9, v22, v11, v9
	v_fma_f32 v8, -v9, v10, v8
	s_delay_alu instid0(VALU_DEP_1) | instskip(SKIP_1) | instid1(VALU_DEP_2)
	v_div_scale_f32 v10, null, v23, v23, v8
	v_div_scale_f32 v24, vcc_lo, v8, v23, v8
	v_rcp_f32_e32 v11, v10
	v_nop
	s_delay_alu instid0(TRANS32_DEP_1) | instskip(NEXT) | instid1(VALU_DEP_1)
	v_fma_f32 v22, -v10, v11, 1.0
	v_fmac_f32_e32 v11, v22, v11
	s_delay_alu instid0(VALU_DEP_1) | instskip(NEXT) | instid1(VALU_DEP_1)
	v_mul_f32_e32 v22, v24, v11
	v_fma_f32 v25, -v10, v22, v24
	s_delay_alu instid0(VALU_DEP_1) | instskip(NEXT) | instid1(VALU_DEP_1)
	v_fmac_f32_e32 v22, v25, v11
	v_fma_f32 v10, -v10, v22, v24
	s_delay_alu instid0(VALU_DEP_1) | instskip(NEXT) | instid1(VALU_DEP_1)
	v_div_fmas_f32 v10, v10, v11, v22
	v_div_fixup_f32 v8, v10, v23, v8
	ds_store_b32 v16, v21
	ds_store_b32 v17, v20
	;; [unrolled: 1-line block ×4, first 2 shown]
	s_cbranch_scc1 .LBB35_43
; %bb.42:                               ;   in Loop: Header=BB35_38 Depth=2
	s_mov_b32 s11, s27
	s_branch .LBB35_38
.LBB35_43:                              ;   in Loop: Header=BB35_3 Depth=1
	s_cmp_lt_i32 s27, 0
	s_cbranch_scc1 .LBB35_56
; %bb.44:                               ;   in Loop: Header=BB35_3 Depth=1
	s_bitcmp1_b32 s27, 0
	s_cselect_b32 s10, -1, 0
	s_delay_alu instid0(SALU_CYCLE_1)
	s_and_b32 vcc_lo, exec_lo, s10
	s_mov_b32 s10, s27
	s_cbranch_vccnz .LBB35_49
; %bb.45:                               ;   in Loop: Header=BB35_3 Depth=1
	s_mul_i32 s10, s27, 0x70
	s_cmp_le_i32 s30, s27
	v_add_nc_u32_e32 v8, s10, v12
	ds_load_b32 v9, v8
	s_cbranch_scc1 .LBB35_48
; %bb.46:                               ;   in Loop: Header=BB35_3 Depth=1
	v_mov_b32_e32 v10, v14
	s_lshl_b32 s11, s27, 2
	s_mov_b32 s41, s30
	s_add_co_i32 s11, s19, s11
.LBB35_47:                              ;   Parent Loop BB35_3 Depth=1
                                        ; =>  This Inner Loop Header: Depth=2
	s_delay_alu instid0(SALU_CYCLE_1)
	v_mov_b32_e32 v11, s11
	s_add_co_i32 s41, s41, -1
	s_addk_co_i32 s11, 0xff90
	s_cmp_gt_i32 s41, s27
	ds_load_b32 v16, v10
	ds_load_b32 v11, v11
	v_add_nc_u32_e32 v10, 0xffffff90, v10
	s_wait_dscnt 0x0
	v_fma_f32 v9, -v16, v11, v9
	s_cbranch_scc1 .LBB35_47
.LBB35_48:                              ;   in Loop: Header=BB35_3 Depth=1
	s_lshl_b32 s11, s27, 2
	s_delay_alu instid0(SALU_CYCLE_1) | instskip(NEXT) | instid1(SALU_CYCLE_1)
	s_add_co_i32 s10, s11, s10
	v_mov_b32_e32 v10, s10
	s_add_co_i32 s10, s27, -1
	ds_load_b32 v10, v10
	s_wait_dscnt 0x0
	v_div_scale_f32 v11, null, v10, v10, v9
	s_delay_alu instid0(VALU_DEP_1) | instskip(SKIP_1) | instid1(TRANS32_DEP_1)
	v_rcp_f32_e32 v16, v11
	v_nop
	v_fma_f32 v17, -v11, v16, 1.0
	s_delay_alu instid0(VALU_DEP_1) | instskip(SKIP_1) | instid1(VALU_DEP_1)
	v_fmac_f32_e32 v16, v17, v16
	v_div_scale_f32 v17, vcc_lo, v9, v10, v9
	v_mul_f32_e32 v18, v17, v16
	s_delay_alu instid0(VALU_DEP_1) | instskip(NEXT) | instid1(VALU_DEP_1)
	v_fma_f32 v19, -v11, v18, v17
	v_fmac_f32_e32 v18, v19, v16
	s_delay_alu instid0(VALU_DEP_1) | instskip(NEXT) | instid1(VALU_DEP_1)
	v_fma_f32 v11, -v11, v18, v17
	v_div_fmas_f32 v11, v11, v16, v18
	s_delay_alu instid0(VALU_DEP_1)
	v_div_fixup_f32 v9, v11, v10, v9
	ds_store_b32 v8, v9
.LBB35_49:                              ;   in Loop: Header=BB35_3 Depth=1
	s_cmp_eq_u32 s27, 0
	s_cbranch_scc1 .LBB35_56
; %bb.50:                               ;   in Loop: Header=BB35_3 Depth=1
	s_lshl_b32 s27, s10, 2
	s_delay_alu instid0(SALU_CYCLE_1)
	s_add_co_i32 s11, s19, s27
	s_add_co_i32 s27, s22, s27
	s_branch .LBB35_52
.LBB35_51:                              ;   in Loop: Header=BB35_52 Depth=2
	s_addk_co_i32 s41, 0xff8c
	s_add_co_i32 s11, s11, -8
	v_mov_b32_e32 v8, s41
	s_add_co_i32 s41, s10, -2
	s_add_co_i32 s27, s27, -8
	s_cmp_lt_i32 s10, 2
	s_mov_b32 s10, s41
	ds_load_b32 v8, v8
	s_wait_dscnt 0x0
	v_div_scale_f32 v10, null, v8, v8, v11
	v_div_scale_f32 v18, vcc_lo, v11, v8, v11
	s_delay_alu instid0(VALU_DEP_2) | instskip(SKIP_1) | instid1(TRANS32_DEP_1)
	v_rcp_f32_e32 v16, v10
	v_nop
	v_fma_f32 v17, -v10, v16, 1.0
	s_delay_alu instid0(VALU_DEP_1) | instskip(NEXT) | instid1(VALU_DEP_1)
	v_fmac_f32_e32 v16, v17, v16
	v_mul_f32_e32 v17, v18, v16
	s_delay_alu instid0(VALU_DEP_1) | instskip(NEXT) | instid1(VALU_DEP_1)
	v_fma_f32 v19, -v10, v17, v18
	v_fmac_f32_e32 v17, v19, v16
	s_delay_alu instid0(VALU_DEP_1) | instskip(NEXT) | instid1(VALU_DEP_1)
	v_fma_f32 v10, -v10, v17, v18
	v_div_fmas_f32 v10, v10, v16, v17
	s_delay_alu instid0(VALU_DEP_1)
	v_div_fixup_f32 v8, v10, v8, v11
	ds_store_b32 v9, v8
	s_cbranch_scc1 .LBB35_56
.LBB35_52:                              ;   Parent Loop BB35_3 Depth=1
                                        ; =>  This Loop Header: Depth=2
                                        ;       Child Loop BB35_53 Depth 3
                                        ;       Child Loop BB35_55 Depth 3
	s_mul_i32 s42, s10, 0x70
	s_cmp_le_i32 s30, s10
	v_dual_mov_b32 v9, v14 :: v_dual_add_nc_u32 v8, s42, v12
	s_mov_b32 s41, s11
	s_mov_b32 s43, s30
	ds_load_b32 v10, v8
	s_cbranch_scc1 .LBB35_54
.LBB35_53:                              ;   Parent Loop BB35_3 Depth=1
                                        ;     Parent Loop BB35_52 Depth=2
                                        ; =>    This Inner Loop Header: Depth=3
	v_mov_b32_e32 v11, s41
	s_add_co_i32 s43, s43, -1
	s_addk_co_i32 s41, 0xff90
	s_cmp_le_i32 s43, s10
	ds_load_b32 v16, v9
	ds_load_b32 v11, v11
	v_add_nc_u32_e32 v9, 0xffffff90, v9
	s_wait_dscnt 0x0
	v_fma_f32 v10, -v16, v11, v10
	s_cbranch_scc0 .LBB35_53
.LBB35_54:                              ;   in Loop: Header=BB35_52 Depth=2
	s_lshl_b32 s41, s10, 2
	s_mov_b32 s43, s29
	s_add_co_i32 s41, s41, s42
	s_addk_co_i32 s42, 0xff90
	v_mov_b32_e32 v9, s41
	s_cmp_le_i32 s29, s10
	ds_load_b32 v16, v9
	s_wait_dscnt 0x0
	v_div_scale_f32 v17, null, v16, v16, v10
	s_delay_alu instid0(VALU_DEP_1) | instskip(SKIP_1) | instid1(TRANS32_DEP_1)
	v_rcp_f32_e32 v18, v17
	v_nop
	v_fma_f32 v19, -v17, v18, 1.0
	s_delay_alu instid0(VALU_DEP_1) | instskip(SKIP_3) | instid1(VALU_DEP_2)
	v_fmac_f32_e32 v18, v19, v18
	v_div_scale_f32 v19, vcc_lo, v10, v16, v10
	v_add_nc_u32_e32 v9, s42, v12
	s_mov_b32 s42, s27
	v_mul_f32_e32 v20, v19, v18
	ds_load_b32 v11, v9
	v_fma_f32 v21, -v17, v20, v19
	s_delay_alu instid0(VALU_DEP_1) | instskip(NEXT) | instid1(VALU_DEP_1)
	v_fmac_f32_e32 v20, v21, v18
	v_fma_f32 v17, -v17, v20, v19
	s_delay_alu instid0(VALU_DEP_1) | instskip(NEXT) | instid1(VALU_DEP_1)
	v_div_fmas_f32 v17, v17, v18, v20
	v_div_fixup_f32 v16, v17, v16, v10
	v_mov_b32_e32 v10, v14
	ds_store_b32 v8, v16
	s_cbranch_scc1 .LBB35_51
.LBB35_55:                              ;   Parent Loop BB35_3 Depth=1
                                        ;     Parent Loop BB35_52 Depth=2
                                        ; =>    This Inner Loop Header: Depth=3
	v_mov_b32_e32 v8, s42
	s_add_co_i32 s43, s43, -1
	s_addk_co_i32 s42, 0xff90
	s_cmp_gt_i32 s43, s10
	ds_load_b32 v16, v10
	ds_load_b32 v8, v8
	v_add_nc_u32_e32 v10, 0xffffff90, v10
	s_wait_dscnt 0x0
	v_fma_f32 v11, -v16, v8, v11
	s_cbranch_scc1 .LBB35_55
	s_branch .LBB35_51
.LBB35_56:                              ;   in Loop: Header=BB35_3 Depth=1
	s_mov_b32 s10, 0
.LBB35_57:                              ;   in Loop: Header=BB35_3 Depth=1
	s_delay_alu instid0(SALU_CYCLE_1)
	s_and_not1_b32 vcc_lo, exec_lo, s10
	s_cbranch_vccnz .LBB35_76
; %bb.58:                               ;   in Loop: Header=BB35_3 Depth=1
	s_mov_b32 s27, s30
	s_and_not1_b32 vcc_lo, exec_lo, s34
	s_mov_b32 s10, s23
	s_mov_b32 s11, s30
	s_cbranch_vccnz .LBB35_63
.LBB35_59:                              ;   Parent Loop BB35_3 Depth=1
                                        ; =>  This Loop Header: Depth=2
                                        ;       Child Loop BB35_60 Depth 3
	s_mul_i32 s27, s11, 28
	s_cmp_le_i32 s30, s11
	v_lshl_add_u32 v16, s27, 2, v12
	s_mov_b32 s41, s10
	s_mov_b32 s42, s30
	s_delay_alu instid0(VALU_DEP_1)
	v_dual_mov_b32 v20, v14 :: v_dual_add_nc_u32 v17, 0xffffff90, v16
	v_add_nc_u32_e32 v18, 0xffffff20, v16
	v_add_nc_u32_e32 v19, 0xfffffeb0, v16
	ds_load_b32 v10, v16
	ds_load_b32 v11, v17
	;; [unrolled: 1-line block ×4, first 2 shown]
	s_cbranch_scc1 .LBB35_61
.LBB35_60:                              ;   Parent Loop BB35_3 Depth=1
                                        ;     Parent Loop BB35_59 Depth=2
                                        ; =>    This Inner Loop Header: Depth=3
	v_mov_b32_e32 v21, s41
	s_add_co_i32 s42, s42, -1
	s_add_co_i32 s41, s41, -4
	s_cmp_le_i32 s42, s11
	ds_load_2addr_b32 v[22:23], v21 offset0:56 offset1:84
	ds_load_2addr_b32 v[24:25], v21 offset1:28
	ds_load_b32 v26, v20
	v_add_nc_u32_e32 v20, 0xffffff90, v20
	s_wait_dscnt 0x2
	v_dual_mov_b32 v28, v23 :: v_dual_mov_b32 v29, v22
	s_wait_dscnt 0x1
	v_dual_mov_b32 v22, v25 :: v_dual_mov_b32 v23, v24
	s_wait_dscnt 0x0
	s_delay_alu instid0(VALU_DEP_2) | instskip(NEXT) | instid1(VALU_DEP_2)
	v_pk_fma_f32 v[10:11], v[26:27], v[28:29], v[10:11] op_sel_hi:[0,1,1] neg_lo:[1,0,0] neg_hi:[1,0,0]
	v_pk_fma_f32 v[8:9], v[26:27], v[22:23], v[8:9] op_sel_hi:[0,1,1] neg_lo:[1,0,0] neg_hi:[1,0,0]
	s_cbranch_scc0 .LBB35_60
.LBB35_61:                              ;   in Loop: Header=BB35_59 Depth=2
	s_mul_i32 s41, s11, 0x74
	s_lshl_b32 s27, s27, 2
	v_mov_b32_e32 v20, s41
	s_lshl_b32 s41, s11, 2
	s_addk_co_i32 s10, 0xfe40
	s_add_co_i32 s27, s27, s41
	s_delay_alu instid0(SALU_CYCLE_1) | instskip(SKIP_4) | instid1(SALU_CYCLE_1)
	s_add_co_i32 s42, s27, 0xffffff20
	s_add_co_i32 s41, s27, 0xffffff8c
	v_mov_b32_e32 v22, s42
	ds_load_b32 v24, v20
	s_add_co_i32 s43, s27, 0xffffff18
	v_dual_mov_b32 v20, s41 :: v_dual_mov_b32 v23, s43
	ds_load_2addr_b32 v[20:21], v20 offset1:1
	ds_load_b32 v25, v22
	ds_load_2addr_b32 v[22:23], v23 offset1:1
	s_add_co_i32 s41, s27, 0xfffffeac
	s_addk_co_i32 s27, 0xfea4
	s_wait_dscnt 0x3
	v_div_scale_f32 v26, null, v24, v24, v10
	v_div_scale_f32 v29, vcc_lo, v10, v24, v10
	s_delay_alu instid0(VALU_DEP_2) | instskip(SKIP_1) | instid1(TRANS32_DEP_1)
	v_rcp_f32_e32 v27, v26
	v_nop
	v_fma_f32 v28, -v26, v27, 1.0
	s_delay_alu instid0(VALU_DEP_1) | instskip(NEXT) | instid1(VALU_DEP_1)
	v_fmac_f32_e32 v27, v28, v27
	v_mul_f32_e32 v28, v29, v27
	s_delay_alu instid0(VALU_DEP_1) | instskip(NEXT) | instid1(VALU_DEP_1)
	v_fma_f32 v30, -v26, v28, v29
	v_fmac_f32_e32 v28, v30, v27
	s_delay_alu instid0(VALU_DEP_1) | instskip(NEXT) | instid1(VALU_DEP_1)
	v_fma_f32 v26, -v26, v28, v29
	v_div_fmas_f32 v26, v26, v27, v28
	s_delay_alu instid0(VALU_DEP_1) | instskip(SKIP_1) | instid1(VALU_DEP_1)
	v_div_fixup_f32 v24, v26, v24, v10
	s_wait_dscnt 0x2
	v_fma_f32 v10, -v24, v21, v11
	s_wait_dscnt 0x1
	v_fma_f32 v8, -v24, v25, v8
	s_delay_alu instid0(VALU_DEP_2) | instskip(SKIP_1) | instid1(VALU_DEP_2)
	v_div_scale_f32 v11, null, v20, v20, v10
	v_div_scale_f32 v27, vcc_lo, v10, v20, v10
	v_rcp_f32_e32 v21, v11
	v_nop
	s_delay_alu instid0(TRANS32_DEP_1) | instskip(NEXT) | instid1(VALU_DEP_1)
	v_fma_f32 v26, -v11, v21, 1.0
	v_fmac_f32_e32 v21, v26, v21
	s_delay_alu instid0(VALU_DEP_1) | instskip(NEXT) | instid1(VALU_DEP_1)
	v_mul_f32_e32 v26, v27, v21
	v_fma_f32 v28, -v11, v26, v27
	s_delay_alu instid0(VALU_DEP_1) | instskip(NEXT) | instid1(VALU_DEP_1)
	v_fmac_f32_e32 v26, v28, v21
	v_fma_f32 v11, -v11, v26, v27
	s_delay_alu instid0(VALU_DEP_1) | instskip(NEXT) | instid1(VALU_DEP_1)
	v_div_fmas_f32 v11, v11, v21, v26
	v_div_fixup_f32 v25, v11, v20, v10
	s_wait_dscnt 0x0
	s_delay_alu instid0(VALU_DEP_1) | instskip(NEXT) | instid1(VALU_DEP_1)
	v_fma_f32 v8, -v25, v23, v8
	v_div_scale_f32 v23, null, v22, v22, v8
	v_div_scale_f32 v27, vcc_lo, v8, v22, v8
	s_delay_alu instid0(VALU_DEP_2) | instskip(SKIP_1) | instid1(TRANS32_DEP_1)
	v_rcp_f32_e32 v26, v23
	v_nop
	v_fma_f32 v10, -v23, v26, 1.0
	s_delay_alu instid0(VALU_DEP_1) | instskip(NEXT) | instid1(VALU_DEP_1)
	v_dual_fmac_f32 v26, v10, v26 :: v_dual_mov_b32 v11, s41
	v_mul_f32_e32 v28, v27, v26
	ds_load_2addr_b32 v[10:11], v11 offset1:1
	v_mov_b32_e32 v20, s27
	s_add_co_i32 s27, s11, -4
	s_cmp_lt_i32 s11, 7
	v_fma_f32 v29, -v23, v28, v27
	ds_load_2addr_b32 v[20:21], v20 offset1:1
	s_wait_dscnt 0x1
	v_dual_fmac_f32 v28, v29, v26 :: v_dual_fma_f32 v9, -v24, v11, v9
	s_delay_alu instid0(VALU_DEP_1) | instskip(NEXT) | instid1(VALU_DEP_1)
	v_dual_fma_f32 v23, -v23, v28, v27 :: v_dual_fma_f32 v9, -v25, v10, v9
	v_div_fmas_f32 v11, v23, v26, v28
	s_delay_alu instid0(VALU_DEP_1) | instskip(SKIP_1) | instid1(VALU_DEP_1)
	v_div_fixup_f32 v8, v11, v22, v8
	s_wait_dscnt 0x0
	v_fma_f32 v9, -v8, v21, v9
	s_delay_alu instid0(VALU_DEP_1) | instskip(NEXT) | instid1(VALU_DEP_1)
	v_div_scale_f32 v10, null, v20, v20, v9
	v_rcp_f32_e32 v11, v10
	v_nop
	s_delay_alu instid0(TRANS32_DEP_1) | instskip(NEXT) | instid1(VALU_DEP_1)
	v_fma_f32 v21, -v10, v11, 1.0
	v_fmac_f32_e32 v11, v21, v11
	v_div_scale_f32 v22, vcc_lo, v9, v20, v9
	s_delay_alu instid0(VALU_DEP_1) | instskip(NEXT) | instid1(VALU_DEP_1)
	v_mul_f32_e32 v21, v22, v11
	v_fma_f32 v23, -v10, v21, v22
	s_delay_alu instid0(VALU_DEP_1) | instskip(NEXT) | instid1(VALU_DEP_1)
	v_fmac_f32_e32 v21, v23, v11
	v_fma_f32 v10, -v10, v21, v22
	s_delay_alu instid0(VALU_DEP_1) | instskip(NEXT) | instid1(VALU_DEP_1)
	v_div_fmas_f32 v10, v10, v11, v21
	v_div_fixup_f32 v9, v10, v20, v9
	ds_store_b32 v16, v24
	ds_store_b32 v17, v25
	;; [unrolled: 1-line block ×4, first 2 shown]
	s_cbranch_scc1 .LBB35_63
; %bb.62:                               ;   in Loop: Header=BB35_59 Depth=2
	s_mov_b32 s11, s27
	s_branch .LBB35_59
.LBB35_63:                              ;   in Loop: Header=BB35_3 Depth=1
	s_cmp_lt_i32 s27, 0
	s_cbranch_scc1 .LBB35_76
; %bb.64:                               ;   in Loop: Header=BB35_3 Depth=1
	s_bitcmp1_b32 s27, 0
	s_cselect_b32 s10, -1, 0
	s_delay_alu instid0(SALU_CYCLE_1)
	s_and_b32 vcc_lo, exec_lo, s10
	s_mov_b32 s10, s27
	s_cbranch_vccnz .LBB35_69
; %bb.65:                               ;   in Loop: Header=BB35_3 Depth=1
	v_mad_u32 v8, 0x70, s27, v12
	s_cmp_le_i32 s30, s27
	ds_load_b32 v9, v8
	s_cbranch_scc1 .LBB35_68
; %bb.66:                               ;   in Loop: Header=BB35_3 Depth=1
	v_mov_b32_e32 v10, v14
	s_mul_i32 s10, s27, 0x70
	s_mov_b32 s11, s30
	s_add_co_i32 s10, s24, s10
.LBB35_67:                              ;   Parent Loop BB35_3 Depth=1
                                        ; =>  This Inner Loop Header: Depth=2
	s_delay_alu instid0(SALU_CYCLE_1)
	v_mov_b32_e32 v11, s10
	s_add_co_i32 s11, s11, -1
	s_add_co_i32 s10, s10, -4
	s_cmp_gt_u32 s11, s27
	ds_load_b32 v16, v10
	ds_load_b32 v11, v11
	v_add_nc_u32_e32 v10, 0xffffff90, v10
	s_wait_dscnt 0x0
	v_fma_f32 v9, -v16, v11, v9
	s_cbranch_scc1 .LBB35_67
.LBB35_68:                              ;   in Loop: Header=BB35_3 Depth=1
	s_mul_i32 s10, s27, 0x74
	s_delay_alu instid0(SALU_CYCLE_1) | instskip(SKIP_4) | instid1(VALU_DEP_1)
	v_mov_b32_e32 v10, s10
	s_add_co_i32 s10, s27, -1
	ds_load_b32 v10, v10
	s_wait_dscnt 0x0
	v_div_scale_f32 v11, null, v10, v10, v9
	v_rcp_f32_e32 v16, v11
	v_nop
	s_delay_alu instid0(TRANS32_DEP_1) | instskip(NEXT) | instid1(VALU_DEP_1)
	v_fma_f32 v17, -v11, v16, 1.0
	v_fmac_f32_e32 v16, v17, v16
	v_div_scale_f32 v17, vcc_lo, v9, v10, v9
	s_delay_alu instid0(VALU_DEP_1) | instskip(NEXT) | instid1(VALU_DEP_1)
	v_mul_f32_e32 v18, v17, v16
	v_fma_f32 v19, -v11, v18, v17
	s_delay_alu instid0(VALU_DEP_1) | instskip(NEXT) | instid1(VALU_DEP_1)
	v_fmac_f32_e32 v18, v19, v16
	v_fma_f32 v11, -v11, v18, v17
	s_delay_alu instid0(VALU_DEP_1) | instskip(NEXT) | instid1(VALU_DEP_1)
	v_div_fmas_f32 v11, v11, v16, v18
	v_div_fixup_f32 v9, v11, v10, v9
	ds_store_b32 v8, v9
.LBB35_69:                              ;   in Loop: Header=BB35_3 Depth=1
	s_cmp_eq_u32 s27, 0
	s_cbranch_scc1 .LBB35_76
; %bb.70:                               ;   in Loop: Header=BB35_3 Depth=1
	s_mul_i32 s27, s10, 0x70
	s_delay_alu instid0(SALU_CYCLE_1)
	s_add_co_i32 s11, s24, s27
	s_add_co_i32 s27, s25, s27
	s_branch .LBB35_72
.LBB35_71:                              ;   in Loop: Header=BB35_72 Depth=2
	s_addk_co_i32 s41, 0xff8c
	s_add_co_i32 s10, s10, -2
	v_mov_b32_e32 v8, s41
	s_addk_co_i32 s11, 0xff20
	s_addk_co_i32 s27, 0xff20
	s_cmp_eq_u32 s42, 0
	ds_load_b32 v8, v8
	s_wait_dscnt 0x0
	v_div_scale_f32 v10, null, v8, v8, v11
	v_div_scale_f32 v18, vcc_lo, v11, v8, v11
	s_delay_alu instid0(VALU_DEP_2) | instskip(SKIP_1) | instid1(TRANS32_DEP_1)
	v_rcp_f32_e32 v16, v10
	v_nop
	v_fma_f32 v17, -v10, v16, 1.0
	s_delay_alu instid0(VALU_DEP_1) | instskip(NEXT) | instid1(VALU_DEP_1)
	v_fmac_f32_e32 v16, v17, v16
	v_mul_f32_e32 v17, v18, v16
	s_delay_alu instid0(VALU_DEP_1) | instskip(NEXT) | instid1(VALU_DEP_1)
	v_fma_f32 v19, -v10, v17, v18
	v_fmac_f32_e32 v17, v19, v16
	s_delay_alu instid0(VALU_DEP_1) | instskip(NEXT) | instid1(VALU_DEP_1)
	v_fma_f32 v10, -v10, v17, v18
	v_div_fmas_f32 v10, v10, v16, v17
	s_delay_alu instid0(VALU_DEP_1)
	v_div_fixup_f32 v8, v10, v8, v11
	ds_store_b32 v9, v8
	s_cbranch_scc1 .LBB35_76
.LBB35_72:                              ;   Parent Loop BB35_3 Depth=1
                                        ; =>  This Loop Header: Depth=2
                                        ;       Child Loop BB35_73 Depth 3
                                        ;       Child Loop BB35_75 Depth 3
	v_mad_u32 v8, 0x70, s10, v12
	v_mov_b32_e32 v9, v14
	s_cmp_le_i32 s30, s10
	s_mov_b32 s41, s11
	s_mov_b32 s42, s30
	ds_load_b32 v10, v8
	s_cbranch_scc1 .LBB35_74
.LBB35_73:                              ;   Parent Loop BB35_3 Depth=1
                                        ;     Parent Loop BB35_72 Depth=2
                                        ; =>    This Inner Loop Header: Depth=3
	v_mov_b32_e32 v11, s41
	s_add_co_i32 s42, s42, -1
	s_add_co_i32 s41, s41, -4
	s_cmp_le_u32 s42, s10
	ds_load_b32 v16, v9
	ds_load_b32 v11, v11
	v_add_nc_u32_e32 v9, 0xffffff90, v9
	s_wait_dscnt 0x0
	v_fma_f32 v10, -v16, v11, v10
	s_cbranch_scc0 .LBB35_73
.LBB35_74:                              ;   in Loop: Header=BB35_72 Depth=2
	s_mul_i32 s41, s10, 0x74
	s_add_co_i32 s42, s10, -1
	v_mov_b32_e32 v9, s41
	s_cmp_le_i32 s29, s10
	s_mov_b32 s43, s27
	s_mov_b32 s44, s30
	ds_load_b32 v16, v9
	v_add_nc_u32_e32 v9, 0xffffff90, v8
	s_wait_dscnt 0x0
	v_div_scale_f32 v17, null, v16, v16, v10
	v_div_scale_f32 v20, vcc_lo, v10, v16, v10
	s_delay_alu instid0(VALU_DEP_2) | instskip(SKIP_1) | instid1(TRANS32_DEP_1)
	v_rcp_f32_e32 v18, v17
	v_nop
	v_fma_f32 v19, -v17, v18, 1.0
	s_delay_alu instid0(VALU_DEP_1) | instskip(NEXT) | instid1(VALU_DEP_1)
	v_fmac_f32_e32 v18, v19, v18
	v_mul_f32_e32 v19, v20, v18
	s_delay_alu instid0(VALU_DEP_1) | instskip(NEXT) | instid1(VALU_DEP_1)
	v_fma_f32 v21, -v17, v19, v20
	v_fmac_f32_e32 v19, v21, v18
	s_delay_alu instid0(VALU_DEP_1) | instskip(NEXT) | instid1(VALU_DEP_1)
	v_fma_f32 v17, -v17, v19, v20
	v_div_fmas_f32 v17, v17, v18, v19
	s_delay_alu instid0(VALU_DEP_1)
	v_div_fixup_f32 v16, v17, v16, v10
	v_mov_b32_e32 v10, v14
	ds_load_b32 v11, v9
	ds_store_b32 v8, v16
	s_cbranch_scc1 .LBB35_71
.LBB35_75:                              ;   Parent Loop BB35_3 Depth=1
                                        ;     Parent Loop BB35_72 Depth=2
                                        ; =>    This Inner Loop Header: Depth=3
	v_mov_b32_e32 v8, s43
	s_add_co_i32 s44, s44, -1
	s_add_co_i32 s43, s43, -4
	s_cmp_gt_u32 s44, s42
	ds_load_b32 v16, v10
	ds_load_b32 v8, v8
	v_add_nc_u32_e32 v10, 0xffffff90, v10
	s_wait_dscnt 0x0
	v_fma_f32 v11, -v16, v8, v11
	s_cbranch_scc1 .LBB35_75
	s_branch .LBB35_71
.LBB35_76:                              ;   in Loop: Header=BB35_3 Depth=1
	s_mov_b32 s10, 0
.LBB35_77:                              ;   in Loop: Header=BB35_3 Depth=1
	s_delay_alu instid0(SALU_CYCLE_1)
	s_and_not1_b32 vcc_lo, exec_lo, s10
	s_cbranch_vccnz .LBB35_89
; %bb.78:                               ;   in Loop: Header=BB35_3 Depth=1
	s_and_not1_b32 vcc_lo, exec_lo, s34
	s_mov_b32 s27, 0
	s_cbranch_vccnz .LBB35_84
; %bb.79:                               ;   in Loop: Header=BB35_3 Depth=1
	s_mov_b32 s10, 0
	s_mov_b32 s11, 0
.LBB35_80:                              ;   Parent Loop BB35_3 Depth=1
                                        ; =>  This Loop Header: Depth=2
                                        ;       Child Loop BB35_81 Depth 3
	s_delay_alu instid0(SALU_CYCLE_1)
	s_mul_i32 s27, s11, 28
	v_mov_b32_e32 v17, v12
	v_lshl_add_u32 v16, s27, 2, v12
	s_cmp_eq_u32 s11, 0
	s_mov_b32 s41, s10
	s_mov_b32 s42, s11
	ds_load_2addr_b32 v[10:11], v16 offset1:28
	ds_load_2addr_b32 v[8:9], v16 offset0:56 offset1:84
	s_cbranch_scc1 .LBB35_82
.LBB35_81:                              ;   Parent Loop BB35_3 Depth=1
                                        ;     Parent Loop BB35_80 Depth=2
                                        ; =>    This Inner Loop Header: Depth=3
	v_mov_b32_e32 v19, s41
	s_add_co_i32 s42, s42, -1
	s_add_co_i32 s41, s41, 4
	s_cmp_eq_u32 s42, 0
	ds_load_b32 v18, v17
	ds_load_2addr_b32 v[20:21], v19 offset1:28
	ds_load_2addr_b32 v[22:23], v19 offset0:56 offset1:84
	v_add_nc_u32_e32 v17, 0x70, v17
	s_wait_dscnt 0x1
	v_pk_fma_f32 v[10:11], v[18:19], v[20:21], v[10:11] op_sel_hi:[0,1,1] neg_lo:[1,0,0] neg_hi:[1,0,0]
	s_wait_dscnt 0x0
	v_pk_fma_f32 v[8:9], v[18:19], v[22:23], v[8:9] op_sel_hi:[0,1,1] neg_lo:[1,0,0] neg_hi:[1,0,0]
	s_cbranch_scc0 .LBB35_81
.LBB35_82:                              ;   in Loop: Header=BB35_80 Depth=2
	s_mul_i32 s41, s11, 0x74
	s_lshl_b32 s27, s27, 2
	v_mov_b32_e32 v17, s41
	s_lshl_b32 s41, s11, 2
	s_addk_co_i32 s10, 0x1c0
	s_add_co_i32 s27, s27, s41
	s_delay_alu instid0(SALU_CYCLE_1)
	v_mov_b32_e32 v23, s27
	ds_load_b32 v17, v17
	s_add_co_i32 s27, s11, 4
	s_add_co_i32 s11, s11, 7
	ds_load_b64 v[18:19], v23 offset:112
	ds_load_b96 v[20:22], v23 offset:224
	s_cmp_ge_i32 s11, s29
	s_wait_dscnt 0x2
	v_div_scale_f32 v24, null, v17, v17, v10
	v_div_scale_f32 v27, vcc_lo, v10, v17, v10
	s_delay_alu instid0(VALU_DEP_2) | instskip(SKIP_1) | instid1(TRANS32_DEP_1)
	v_rcp_f32_e32 v25, v24
	v_nop
	v_fma_f32 v26, -v24, v25, 1.0
	s_delay_alu instid0(VALU_DEP_1) | instskip(NEXT) | instid1(VALU_DEP_1)
	v_fmac_f32_e32 v25, v26, v25
	v_mul_f32_e32 v26, v27, v25
	s_delay_alu instid0(VALU_DEP_1) | instskip(NEXT) | instid1(VALU_DEP_1)
	v_fma_f32 v28, -v24, v26, v27
	v_fmac_f32_e32 v26, v28, v25
	s_delay_alu instid0(VALU_DEP_1) | instskip(NEXT) | instid1(VALU_DEP_1)
	v_fma_f32 v24, -v24, v26, v27
	v_div_fmas_f32 v24, v24, v25, v26
	s_delay_alu instid0(VALU_DEP_1) | instskip(SKIP_1) | instid1(VALU_DEP_1)
	v_div_fixup_f32 v10, v24, v17, v10
	s_wait_dscnt 0x0
	v_dual_fma_f32 v11, -v10, v18, v11 :: v_dual_fma_f32 v8, -v10, v20, v8
	s_delay_alu instid0(VALU_DEP_1) | instskip(SKIP_1) | instid1(VALU_DEP_2)
	v_div_scale_f32 v17, null, v19, v19, v11
	v_div_scale_f32 v25, vcc_lo, v11, v19, v11
	v_rcp_f32_e32 v18, v17
	v_nop
	s_delay_alu instid0(TRANS32_DEP_1) | instskip(NEXT) | instid1(VALU_DEP_1)
	v_fma_f32 v24, -v17, v18, 1.0
	v_fmac_f32_e32 v18, v24, v18
	s_delay_alu instid0(VALU_DEP_1) | instskip(NEXT) | instid1(VALU_DEP_1)
	v_mul_f32_e32 v24, v25, v18
	v_fma_f32 v26, -v17, v24, v25
	s_delay_alu instid0(VALU_DEP_1) | instskip(NEXT) | instid1(VALU_DEP_1)
	v_fmac_f32_e32 v24, v26, v18
	v_fma_f32 v17, -v17, v24, v25
	s_delay_alu instid0(VALU_DEP_1) | instskip(NEXT) | instid1(VALU_DEP_1)
	v_div_fmas_f32 v17, v17, v18, v24
	v_div_fixup_f32 v11, v17, v19, v11
	s_delay_alu instid0(VALU_DEP_1) | instskip(NEXT) | instid1(VALU_DEP_1)
	v_fma_f32 v8, -v11, v21, v8
	v_div_scale_f32 v17, null, v22, v22, v8
	v_div_scale_f32 v25, vcc_lo, v8, v22, v8
	s_delay_alu instid0(VALU_DEP_2) | instskip(SKIP_1) | instid1(TRANS32_DEP_1)
	v_rcp_f32_e32 v24, v17
	v_nop
	v_fma_f32 v18, -v17, v24, 1.0
	s_delay_alu instid0(VALU_DEP_1) | instskip(SKIP_3) | instid1(VALU_DEP_1)
	v_fmac_f32_e32 v24, v18, v24
	ds_load_b128 v[18:21], v23 offset:336
	s_wait_dscnt 0x0
	v_dual_mul_f32 v23, v25, v24 :: v_dual_fma_f32 v9, -v10, v18, v9
	v_fma_f32 v26, -v17, v23, v25
	s_delay_alu instid0(VALU_DEP_1) | instskip(NEXT) | instid1(VALU_DEP_1)
	v_dual_fma_f32 v9, -v11, v19, v9 :: v_dual_fmac_f32 v23, v26, v24
	v_fma_f32 v17, -v17, v23, v25
	s_delay_alu instid0(VALU_DEP_1) | instskip(NEXT) | instid1(VALU_DEP_1)
	v_div_fmas_f32 v17, v17, v24, v23
	v_div_fixup_f32 v8, v17, v22, v8
	s_delay_alu instid0(VALU_DEP_1) | instskip(NEXT) | instid1(VALU_DEP_1)
	v_fma_f32 v9, -v8, v20, v9
	v_div_scale_f32 v17, null, v21, v21, v9
	s_delay_alu instid0(VALU_DEP_1) | instskip(SKIP_1) | instid1(TRANS32_DEP_1)
	v_rcp_f32_e32 v18, v17
	v_nop
	v_fma_f32 v19, -v17, v18, 1.0
	s_delay_alu instid0(VALU_DEP_1) | instskip(SKIP_1) | instid1(VALU_DEP_1)
	v_fmac_f32_e32 v18, v19, v18
	v_div_scale_f32 v20, vcc_lo, v9, v21, v9
	v_mul_f32_e32 v19, v20, v18
	s_delay_alu instid0(VALU_DEP_1) | instskip(NEXT) | instid1(VALU_DEP_1)
	v_fma_f32 v22, -v17, v19, v20
	v_fmac_f32_e32 v19, v22, v18
	s_delay_alu instid0(VALU_DEP_1) | instskip(NEXT) | instid1(VALU_DEP_1)
	v_fma_f32 v17, -v17, v19, v20
	v_div_fmas_f32 v17, v17, v18, v19
	s_delay_alu instid0(VALU_DEP_1)
	v_div_fixup_f32 v9, v17, v21, v9
	ds_store_2addr_b32 v16, v10, v11 offset1:28
	ds_store_2addr_b32 v16, v8, v9 offset0:56 offset1:84
	s_cbranch_scc1 .LBB35_84
; %bb.83:                               ;   in Loop: Header=BB35_80 Depth=2
	s_mov_b32 s11, s27
	s_branch .LBB35_80
.LBB35_84:                              ;   in Loop: Header=BB35_3 Depth=1
	s_cmp_ge_i32 s27, s29
	s_cbranch_scc1 .LBB35_89
; %bb.85:                               ;   in Loop: Header=BB35_3 Depth=1
	s_mul_i32 s10, s27, 0x70
	s_branch .LBB35_87
.LBB35_86:                              ;   in Loop: Header=BB35_87 Depth=2
	s_mul_i32 s11, s27, 0x74
	s_add_co_i32 s27, s27, 1
	v_mov_b32_e32 v10, s11
	s_addk_co_i32 s10, 0x70
	s_cmp_ge_i32 s27, s29
	ds_load_b32 v10, v10
	s_wait_dscnt 0x0
	v_div_scale_f32 v11, null, v10, v10, v9
	s_delay_alu instid0(VALU_DEP_1) | instskip(SKIP_1) | instid1(TRANS32_DEP_1)
	v_rcp_f32_e32 v16, v11
	v_nop
	v_fma_f32 v17, -v11, v16, 1.0
	s_delay_alu instid0(VALU_DEP_1) | instskip(SKIP_1) | instid1(VALU_DEP_1)
	v_fmac_f32_e32 v16, v17, v16
	v_div_scale_f32 v17, vcc_lo, v9, v10, v9
	v_mul_f32_e32 v18, v17, v16
	s_delay_alu instid0(VALU_DEP_1) | instskip(NEXT) | instid1(VALU_DEP_1)
	v_fma_f32 v19, -v11, v18, v17
	v_fmac_f32_e32 v18, v19, v16
	s_delay_alu instid0(VALU_DEP_1) | instskip(NEXT) | instid1(VALU_DEP_1)
	v_fma_f32 v11, -v11, v18, v17
	v_div_fmas_f32 v11, v11, v16, v18
	s_delay_alu instid0(VALU_DEP_1)
	v_div_fixup_f32 v9, v11, v10, v9
	ds_store_b32 v8, v9
	s_cbranch_scc1 .LBB35_89
.LBB35_87:                              ;   Parent Loop BB35_3 Depth=1
                                        ; =>  This Loop Header: Depth=2
                                        ;       Child Loop BB35_88 Depth 3
	v_mad_u32 v8, 0x70, s27, v12
	v_mov_b32_e32 v10, v12
	s_cmp_eq_u32 s27, 0
	s_mov_b32 s11, s10
	s_mov_b32 s41, s27
	ds_load_b32 v9, v8
	s_cbranch_scc1 .LBB35_86
.LBB35_88:                              ;   Parent Loop BB35_3 Depth=1
                                        ;     Parent Loop BB35_87 Depth=2
                                        ; =>    This Inner Loop Header: Depth=3
	v_mov_b32_e32 v11, s11
	s_add_co_i32 s41, s41, -1
	s_add_co_i32 s11, s11, 4
	s_cmp_eq_u32 s41, 0
	ds_load_b32 v16, v10
	ds_load_b32 v11, v11
	v_add_nc_u32_e32 v10, 0x70, v10
	s_wait_dscnt 0x0
	v_fma_f32 v9, -v16, v11, v9
	s_cbranch_scc0 .LBB35_88
	s_branch .LBB35_86
.LBB35_89:                              ;   in Loop: Header=BB35_3 Depth=1
	s_and_saveexec_b32 s27, s35
	s_cbranch_execz .LBB35_2
; %bb.90:                               ;   in Loop: Header=BB35_3 Depth=1
	s_and_not1_b32 vcc_lo, exec_lo, s40
	s_cbranch_vccnz .LBB35_94
; %bb.91:                               ;   in Loop: Header=BB35_3 Depth=1
	s_mov_b32 s11, 1
	s_mov_b32 s41, 0
	;; [unrolled: 1-line block ×3, first 2 shown]
.LBB35_92:                              ;   Parent Loop BB35_3 Depth=1
                                        ; =>  This Inner Loop Header: Depth=2
	v_mad_u32 v8, 0x70, s41, v12
	v_mad_u32 v9, 0x70, s11, v12
	s_add_co_i32 s42, s42, -2
	s_add_co_i32 s41, s41, 2
	s_add_co_i32 s11, s11, 2
	s_mov_b32 s10, s39
	s_cmp_lg_u32 s42, 0
	s_mov_b32 s43, s26
	ds_load_b32 v8, v8
	ds_load_b32 v9, v9
	s_wait_dscnt 0x0
	global_store_b64 v[6:7], v[8:9], off
	s_wait_xcnt 0x0
	v_add_nc_u64_e32 v[6:7], 8, v[6:7]
	s_cbranch_scc1 .LBB35_92
; %bb.93:                               ;   in Loop: Header=BB35_3 Depth=1
	s_and_b32 vcc_lo, exec_lo, s43
	s_cbranch_vccz .LBB35_2
	s_branch .LBB35_95
.LBB35_94:                              ;   in Loop: Header=BB35_3 Depth=1
	s_mov_b32 s10, 0
	s_cbranch_execz .LBB35_2
.LBB35_95:                              ;   in Loop: Header=BB35_3 Depth=1
	s_mov_b32 s11, s3
	v_mad_u32 v8, 0x70, s10, v12
	s_mul_u64 s[42:43], s[16:17], s[10:11]
	s_delay_alu instid0(SALU_CYCLE_1) | instskip(NEXT) | instid1(SALU_CYCLE_1)
	s_add_nc_u64 s[4:5], s[42:43], s[4:5]
	v_add_nc_u64_e32 v[6:7], s[4:5], v[4:5]
	s_sub_co_i32 s4, s20, s10
.LBB35_96:                              ;   Parent Loop BB35_3 Depth=1
                                        ; =>  This Inner Loop Header: Depth=2
	ds_load_b32 v9, v8
	v_add_nc_u32_e32 v8, 0x70, v8
	s_add_co_i32 s4, s4, -1
	s_delay_alu instid0(SALU_CYCLE_1)
	s_cmp_lg_u32 s4, 0
	s_wait_dscnt 0x0
	global_store_b32 v[6:7], v9, off
	s_wait_xcnt 0x0
	v_add_nc_u64_e32 v[6:7], s[16:17], v[6:7]
	s_cbranch_scc1 .LBB35_96
	s_branch .LBB35_2
.LBB35_97:
	s_endpgm
	.section	.rodata,"a",@progbits
	.p2align	6, 0x0
	.amdhsa_kernel _ZL31rocblas_trsm_small_right_deviceIffPKfPfLi28EEv13rocblas_fill_18rocblas_operation_17rocblas_diagonal_iiT0_T1_lilT2_lili
		.amdhsa_group_segment_fixed_size 6272
		.amdhsa_private_segment_fixed_size 0
		.amdhsa_kernarg_size 352
		.amdhsa_user_sgpr_count 2
		.amdhsa_user_sgpr_dispatch_ptr 0
		.amdhsa_user_sgpr_queue_ptr 0
		.amdhsa_user_sgpr_kernarg_segment_ptr 1
		.amdhsa_user_sgpr_dispatch_id 0
		.amdhsa_user_sgpr_kernarg_preload_length 0
		.amdhsa_user_sgpr_kernarg_preload_offset 0
		.amdhsa_user_sgpr_private_segment_size 0
		.amdhsa_wavefront_size32 1
		.amdhsa_uses_dynamic_stack 0
		.amdhsa_enable_private_segment 0
		.amdhsa_system_sgpr_workgroup_id_x 1
		.amdhsa_system_sgpr_workgroup_id_y 0
		.amdhsa_system_sgpr_workgroup_id_z 1
		.amdhsa_system_sgpr_workgroup_info 0
		.amdhsa_system_vgpr_workitem_id 0
		.amdhsa_next_free_vgpr 32
		.amdhsa_next_free_sgpr 47
		.amdhsa_named_barrier_count 0
		.amdhsa_reserve_vcc 1
		.amdhsa_float_round_mode_32 0
		.amdhsa_float_round_mode_16_64 0
		.amdhsa_float_denorm_mode_32 3
		.amdhsa_float_denorm_mode_16_64 3
		.amdhsa_fp16_overflow 0
		.amdhsa_memory_ordered 1
		.amdhsa_forward_progress 1
		.amdhsa_inst_pref_size 52
		.amdhsa_round_robin_scheduling 0
		.amdhsa_exception_fp_ieee_invalid_op 0
		.amdhsa_exception_fp_denorm_src 0
		.amdhsa_exception_fp_ieee_div_zero 0
		.amdhsa_exception_fp_ieee_overflow 0
		.amdhsa_exception_fp_ieee_underflow 0
		.amdhsa_exception_fp_ieee_inexact 0
		.amdhsa_exception_int_div_zero 0
	.end_amdhsa_kernel
	.section	.text._ZL31rocblas_trsm_small_right_deviceIffPKfPfLi28EEv13rocblas_fill_18rocblas_operation_17rocblas_diagonal_iiT0_T1_lilT2_lili,"axG",@progbits,_ZL31rocblas_trsm_small_right_deviceIffPKfPfLi28EEv13rocblas_fill_18rocblas_operation_17rocblas_diagonal_iiT0_T1_lilT2_lili,comdat
.Lfunc_end35:
	.size	_ZL31rocblas_trsm_small_right_deviceIffPKfPfLi28EEv13rocblas_fill_18rocblas_operation_17rocblas_diagonal_iiT0_T1_lilT2_lili, .Lfunc_end35-_ZL31rocblas_trsm_small_right_deviceIffPKfPfLi28EEv13rocblas_fill_18rocblas_operation_17rocblas_diagonal_iiT0_T1_lilT2_lili
                                        ; -- End function
	.set _ZL31rocblas_trsm_small_right_deviceIffPKfPfLi28EEv13rocblas_fill_18rocblas_operation_17rocblas_diagonal_iiT0_T1_lilT2_lili.num_vgpr, 32
	.set _ZL31rocblas_trsm_small_right_deviceIffPKfPfLi28EEv13rocblas_fill_18rocblas_operation_17rocblas_diagonal_iiT0_T1_lilT2_lili.num_agpr, 0
	.set _ZL31rocblas_trsm_small_right_deviceIffPKfPfLi28EEv13rocblas_fill_18rocblas_operation_17rocblas_diagonal_iiT0_T1_lilT2_lili.numbered_sgpr, 47
	.set _ZL31rocblas_trsm_small_right_deviceIffPKfPfLi28EEv13rocblas_fill_18rocblas_operation_17rocblas_diagonal_iiT0_T1_lilT2_lili.num_named_barrier, 0
	.set _ZL31rocblas_trsm_small_right_deviceIffPKfPfLi28EEv13rocblas_fill_18rocblas_operation_17rocblas_diagonal_iiT0_T1_lilT2_lili.private_seg_size, 0
	.set _ZL31rocblas_trsm_small_right_deviceIffPKfPfLi28EEv13rocblas_fill_18rocblas_operation_17rocblas_diagonal_iiT0_T1_lilT2_lili.uses_vcc, 1
	.set _ZL31rocblas_trsm_small_right_deviceIffPKfPfLi28EEv13rocblas_fill_18rocblas_operation_17rocblas_diagonal_iiT0_T1_lilT2_lili.uses_flat_scratch, 0
	.set _ZL31rocblas_trsm_small_right_deviceIffPKfPfLi28EEv13rocblas_fill_18rocblas_operation_17rocblas_diagonal_iiT0_T1_lilT2_lili.has_dyn_sized_stack, 0
	.set _ZL31rocblas_trsm_small_right_deviceIffPKfPfLi28EEv13rocblas_fill_18rocblas_operation_17rocblas_diagonal_iiT0_T1_lilT2_lili.has_recursion, 0
	.set _ZL31rocblas_trsm_small_right_deviceIffPKfPfLi28EEv13rocblas_fill_18rocblas_operation_17rocblas_diagonal_iiT0_T1_lilT2_lili.has_indirect_call, 0
	.section	.AMDGPU.csdata,"",@progbits
; Kernel info:
; codeLenInByte = 6612
; TotalNumSgprs: 49
; NumVgprs: 32
; ScratchSize: 0
; MemoryBound: 0
; FloatMode: 240
; IeeeMode: 1
; LDSByteSize: 6272 bytes/workgroup (compile time only)
; SGPRBlocks: 0
; VGPRBlocks: 1
; NumSGPRsForWavesPerEU: 49
; NumVGPRsForWavesPerEU: 32
; NamedBarCnt: 0
; Occupancy: 13
; WaveLimiterHint : 0
; COMPUTE_PGM_RSRC2:SCRATCH_EN: 0
; COMPUTE_PGM_RSRC2:USER_SGPR: 2
; COMPUTE_PGM_RSRC2:TRAP_HANDLER: 0
; COMPUTE_PGM_RSRC2:TGID_X_EN: 1
; COMPUTE_PGM_RSRC2:TGID_Y_EN: 0
; COMPUTE_PGM_RSRC2:TGID_Z_EN: 1
; COMPUTE_PGM_RSRC2:TIDIG_COMP_CNT: 0
	.section	.text._ZL38rocblas_trsm_small_left_device_sharedBILi32ELi32ELb0EffPKfPfEv13rocblas_fill_18rocblas_operation_17rocblas_diagonal_iiT3_T4_lilT5_lili,"axG",@progbits,_ZL38rocblas_trsm_small_left_device_sharedBILi32ELi32ELb0EffPKfPfEv13rocblas_fill_18rocblas_operation_17rocblas_diagonal_iiT3_T4_lilT5_lili,comdat
	.globl	_ZL38rocblas_trsm_small_left_device_sharedBILi32ELi32ELb0EffPKfPfEv13rocblas_fill_18rocblas_operation_17rocblas_diagonal_iiT3_T4_lilT5_lili ; -- Begin function _ZL38rocblas_trsm_small_left_device_sharedBILi32ELi32ELb0EffPKfPfEv13rocblas_fill_18rocblas_operation_17rocblas_diagonal_iiT3_T4_lilT5_lili
	.p2align	8
	.type	_ZL38rocblas_trsm_small_left_device_sharedBILi32ELi32ELb0EffPKfPfEv13rocblas_fill_18rocblas_operation_17rocblas_diagonal_iiT3_T4_lilT5_lili,@function
_ZL38rocblas_trsm_small_left_device_sharedBILi32ELi32ELb0EffPKfPfEv13rocblas_fill_18rocblas_operation_17rocblas_diagonal_iiT3_T4_lilT5_lili: ; @_ZL38rocblas_trsm_small_left_device_sharedBILi32ELi32ELb0EffPKfPfEv13rocblas_fill_18rocblas_operation_17rocblas_diagonal_iiT3_T4_lilT5_lili
; %bb.0:
	s_load_b32 s19, s[0:1], 0x58
	s_bfe_u32 s2, ttmp6, 0x40014
	s_lshr_b32 s3, ttmp7, 16
	s_add_co_i32 s2, s2, 1
	s_bfe_u32 s4, ttmp6, 0x40008
	s_mul_i32 s2, s3, s2
	s_getreg_b32 s21, hwreg(HW_REG_IB_STS2, 6, 4)
	s_add_co_i32 s4, s4, s2
	s_cmp_eq_u32 s21, 0
	s_cselect_b32 s2, s3, s4
	s_mov_b32 s3, 0
	s_wait_kmcnt 0x0
	s_cmp_ge_u32 s2, s19
	s_cbranch_scc1 .LBB36_72
; %bb.1:
	s_clause 0x7
	s_load_b32 s22, s[0:1], 0x28
	s_load_b96 s[16:18], s[0:1], 0x40
	s_load_b128 s[12:15], s[0:1], 0x4
	s_load_b32 s26, s[0:1], 0x60
	s_load_b128 s[4:7], s[0:1], 0x18
	s_load_b128 s[8:11], s[0:1], 0x30
	s_load_b64 s[24:25], s[0:1], 0x50
	s_load_b32 s20, s[0:1], 0x14
	v_dual_lshlrev_b32 v66, 2, v0 :: v_dual_lshlrev_b32 v34, 7, v0
	s_delay_alu instid0(VALU_DEP_1) | instskip(SKIP_2) | instid1(SALU_CYCLE_1)
	v_or_b32_e32 v72, 0x1000, v66
	s_wait_kmcnt 0x0
	s_ashr_i32 s23, s22, 31
	s_cmp_eq_u64 s[22:23], 1
	s_cselect_b32 s0, -1, 0
	s_bfe_u32 s27, ttmp6, 0x4000c
	s_min_i32 s1, s14, 32
	s_add_co_i32 s27, s27, 1
	s_and_b32 s29, ttmp6, 15
	s_mul_i32 s27, ttmp9, s27
	s_ashr_i32 s37, s18, 31
	s_add_co_i32 s28, s26, -1
	s_add_co_i32 s26, s1, -1
	s_add_co_i32 s29, s29, s27
	s_cmp_eq_u32 s21, 0
	s_cselect_b32 s21, ttmp9, s29
	s_delay_alu instid0(SALU_CYCLE_1) | instskip(NEXT) | instid1(SALU_CYCLE_1)
	s_lshl_b32 s38, s21, 5
	s_sub_co_i32 s15, s15, s38
	s_cmp_ge_u32 s21, s28
	s_mov_b32 s21, s20
	s_cselect_b32 s15, s15, 32
	s_ashr_i32 s39, s38, 31
	s_cmp_lg_u32 s13, 0x84
	v_cmp_gt_i32_e32 vcc_lo, s15, v0
	s_cselect_b32 s27, -1, 0
	s_cmp_gt_i32 s14, 0
	s_cselect_b32 s13, -1, 0
	s_cmp_lg_u32 s12, 0x6f
	s_cselect_b32 s28, -1, 0
	s_and_b32 s29, vcc_lo, s13
	s_cmp_gt_u32 s1, 1
	s_cselect_b32 s12, -1, 0
	s_and_b32 s30, s1, -2
	s_and_b32 s31, s12, s0
	s_cmp_lg_u32 s1, s30
	v_cmp_gt_i32_e64 s0, s1, v0
	s_cselect_b32 s33, -1, 0
	s_cmp_gt_i32 s14, 1
	s_cselect_b32 s34, -1, 0
	s_and_b32 s35, s1, 62
	s_delay_alu instid0(SALU_CYCLE_1) | instskip(SKIP_2) | instid1(SALU_CYCLE_1)
	s_cmp_lg_u32 s1, s35
	s_cselect_b32 s36, -1, 0
	s_lshl_b64 s[12:13], s[38:39], 2
	v_dual_mov_b32 v67, 0 :: v_dual_bitop2_b32 v29, s12, v66 bitop3:0x54
	s_lshl_b64 s[14:15], s[16:17], 2
	s_delay_alu instid0(SALU_CYCLE_1) | instskip(NEXT) | instid1(VALU_DEP_1)
	s_add_nc_u64 s[10:11], s[10:11], s[14:15]
	v_dual_mov_b32 v2, v67 :: v_dual_mov_b32 v3, v67
	s_delay_alu instid0(VALU_DEP_2)
	v_mad_nc_u64_u32 v[68:69], v29, s18, s[10:11]
	s_lshl_b64 s[10:11], s[6:7], 2
	s_lshl_b64 s[6:7], s[8:9], 2
	s_add_nc_u64 s[8:9], s[4:5], s[10:11]
	v_dual_mov_b32 v4, v67 :: v_dual_mov_b32 v5, v67
	v_add_nc_u64_e32 v[0:1], s[8:9], v[66:67]
	v_dual_mov_b32 v6, v67 :: v_dual_mov_b32 v7, v67
	v_dual_mov_b32 v8, v67 :: v_dual_mov_b32 v9, v67
	v_mad_u32 v30, s13, s18, v69
	v_dual_mov_b32 v10, v67 :: v_dual_mov_b32 v11, v67
	v_dual_mov_b32 v12, v67 :: v_dual_mov_b32 v13, v67
	;; [unrolled: 1-line block ×5, first 2 shown]
	v_mad_u32 v69, v29, s37, v30
	v_dual_mov_b32 v20, v67 :: v_dual_mov_b32 v21, v67
	v_dual_mov_b32 v22, v67 :: v_dual_mov_b32 v23, v67
	;; [unrolled: 1-line block ×7, first 2 shown]
	v_add_nc_u32_e32 v67, v66, v34
	s_lshl_b32 s18, s1, 7
	s_lshl_b64 s[4:5], s[22:23], 2
	s_lshl_b64 s[10:11], s[24:25], 2
	s_addk_co_i32 s18, 0xff80
	s_get_pc_i64 s[8:9]
	s_add_nc_u64 s[8:9], s[8:9], __const._ZL38rocblas_trsm_small_left_device_sharedBILi32ELi32ELb0EffPKfPfEv13rocblas_fill_18rocblas_operation_17rocblas_diagonal_iiT3_T4_lilT5_lili.step_sizes@rel64+4
	s_branch .LBB36_3
.LBB36_2:                               ;   in Loop: Header=BB36_3 Depth=1
	s_or_b32 exec_lo, exec_lo, s14
	s_add_co_i32 s2, s2, 0x10000
	s_delay_alu instid0(SALU_CYCLE_1)
	s_cmp_lt_u32 s2, s19
	s_cbranch_scc0 .LBB36_72
.LBB36_3:                               ; =>This Loop Header: Depth=1
                                        ;     Child Loop BB36_6 Depth 2
                                        ;     Child Loop BB36_10 Depth 2
	;; [unrolled: 1-line block ×5, first 2 shown]
                                        ;       Child Loop BB36_27 Depth 3
                                        ;         Child Loop BB36_28 Depth 4
                                        ;         Child Loop BB36_31 Depth 4
                                        ;           Child Loop BB36_32 Depth 5
                                        ;         Child Loop BB36_37 Depth 4
                                        ;           Child Loop BB36_39 Depth 5
                                        ;     Child Loop BB36_48 Depth 2
                                        ;       Child Loop BB36_49 Depth 3
                                        ;       Child Loop BB36_51 Depth 3
                                        ;         Child Loop BB36_52 Depth 4
                                        ;       Child Loop BB36_57 Depth 3
                                        ;         Child Loop BB36_59 Depth 4
                                        ;     Child Loop BB36_61 Depth 2
                                        ;     Child Loop BB36_67 Depth 2
	;; [unrolled: 1-line block ×3, first 2 shown]
	s_and_saveexec_b32 s16, s0
	s_cbranch_execz .LBB36_14
; %bb.4:                                ;   in Loop: Header=BB36_3 Depth=1
	s_and_not1_b32 vcc_lo, exec_lo, s31
	s_mul_u64 s[12:13], s[6:7], s[2:3]
	s_cbranch_vccnz .LBB36_8
; %bb.5:                                ;   in Loop: Header=BB36_3 Depth=1
	v_add_nc_u64_e32 v[34:35], s[12:13], v[0:1]
	s_mov_b32 s15, 1
	s_mov_b32 s17, 0
	;; [unrolled: 1-line block ×3, first 2 shown]
.LBB36_6:                               ;   Parent Loop BB36_3 Depth=1
                                        ; =>  This Inner Loop Header: Depth=2
	global_load_b64 v[36:37], v[34:35], off
	s_wait_xcnt 0x0
	v_add_nc_u64_e32 v[34:35], 8, v[34:35]
	v_lshl_or_b32 v38, s17, 7, v66
	v_lshl_or_b32 v39, s15, 7, v66
	s_add_co_i32 s22, s22, -2
	s_add_co_i32 s17, s17, 2
	s_add_co_i32 s15, s15, 2
	s_mov_b32 s14, s30
	s_mov_b32 s23, s33
	s_cmp_lg_u32 s22, 0
	s_wait_loadcnt 0x0
	ds_store_b32 v38, v36
	ds_store_b32 v39, v37
	s_cbranch_scc1 .LBB36_6
; %bb.7:                                ;   in Loop: Header=BB36_3 Depth=1
	s_and_b32 vcc_lo, exec_lo, s23
	s_cbranch_vccnz .LBB36_9
	s_branch .LBB36_11
.LBB36_8:                               ;   in Loop: Header=BB36_3 Depth=1
	s_wait_xcnt 0x0
	s_mov_b32 s14, 0
	s_cbranch_execz .LBB36_11
.LBB36_9:                               ;   in Loop: Header=BB36_3 Depth=1
	s_mov_b32 s15, s3
	v_lshl_or_b32 v36, s14, 7, v66
	s_mul_u64 s[22:23], s[4:5], s[14:15]
	s_delay_alu instid0(SALU_CYCLE_1) | instskip(NEXT) | instid1(SALU_CYCLE_1)
	s_add_nc_u64 s[12:13], s[22:23], s[12:13]
	v_add_nc_u64_e32 v[34:35], s[12:13], v[0:1]
	s_sub_co_i32 s12, s1, s14
.LBB36_10:                              ;   Parent Loop BB36_3 Depth=1
                                        ; =>  This Inner Loop Header: Depth=2
	global_load_b32 v37, v[34:35], off
	s_wait_xcnt 0x0
	v_add_nc_u64_e32 v[34:35], s[4:5], v[34:35]
	s_add_co_i32 s12, s12, -1
	s_delay_alu instid0(SALU_CYCLE_1)
	s_cmp_eq_u32 s12, 0
	s_wait_loadcnt 0x0
	ds_store_b32 v36, v37
	v_add_nc_u32_e32 v36, 0x80, v36
	s_cbranch_scc0 .LBB36_10
.LBB36_11:                              ;   in Loop: Header=BB36_3 Depth=1
	v_mov_b32_e32 v34, 1.0
	s_and_b32 vcc_lo, exec_lo, s27
	s_cbranch_vccz .LBB36_13
; %bb.12:                               ;   in Loop: Header=BB36_3 Depth=1
	ds_load_b32 v34, v67
	s_wait_dscnt 0x0
	v_div_scale_f32 v35, null, v34, v34, 1.0
	s_delay_alu instid0(VALU_DEP_1) | instskip(SKIP_1) | instid1(TRANS32_DEP_1)
	v_rcp_f32_e32 v36, v35
	v_nop
	v_fma_f32 v37, -v35, v36, 1.0
	s_delay_alu instid0(VALU_DEP_1) | instskip(SKIP_1) | instid1(VALU_DEP_1)
	v_fmac_f32_e32 v36, v37, v36
	v_div_scale_f32 v37, vcc_lo, 1.0, v34, 1.0
	v_mul_f32_e32 v38, v37, v36
	s_delay_alu instid0(VALU_DEP_1) | instskip(NEXT) | instid1(VALU_DEP_1)
	v_fma_f32 v39, -v35, v38, v37
	v_fmac_f32_e32 v38, v39, v36
	s_delay_alu instid0(VALU_DEP_1) | instskip(NEXT) | instid1(VALU_DEP_1)
	v_fma_f32 v35, -v35, v38, v37
	v_div_fmas_f32 v35, v35, v36, v38
	s_delay_alu instid0(VALU_DEP_1)
	v_div_fixup_f32 v34, v35, v34, 1.0
.LBB36_13:                              ;   in Loop: Header=BB36_3 Depth=1
	ds_store_b32 v67, v34
.LBB36_14:                              ;   in Loop: Header=BB36_3 Depth=1
	s_or_b32 exec_lo, exec_lo, s16
	s_mul_u64 s[12:13], s[10:11], s[2:3]
	s_delay_alu instid0(SALU_CYCLE_1)
	v_add_nc_u64_e32 v[70:71], s[12:13], v[68:69]
	s_and_saveexec_b32 s14, s29
	s_cbranch_execz .LBB36_22
; %bb.15:                               ;   in Loop: Header=BB36_3 Depth=1
	s_and_not1_b32 vcc_lo, exec_lo, s34
	s_cbranch_vccnz .LBB36_19
; %bb.16:                               ;   in Loop: Header=BB36_3 Depth=1
	s_delay_alu instid0(VALU_DEP_1)
	v_mov_b64_e32 v[34:35], v[70:71]
	s_mov_b32 s15, 1
	s_mov_b32 s16, 0
	;; [unrolled: 1-line block ×3, first 2 shown]
.LBB36_17:                              ;   Parent Loop BB36_3 Depth=1
                                        ; =>  This Inner Loop Header: Depth=2
	global_load_b64 v[36:37], v[34:35], off
	v_mov_b64_e32 v[38:39], s[20:21]
	s_wait_xcnt 0x0
	v_add_nc_u64_e32 v[34:35], 8, v[34:35]
	v_lshl_add_u32 v40, s16, 7, v72
	v_lshl_add_u32 v41, s15, 7, v72
	s_add_co_i32 s17, s17, -2
	s_add_co_i32 s16, s16, 2
	s_add_co_i32 s15, s15, 2
	s_mov_b32 s22, s35
	s_mov_b32 s23, s36
	s_cmp_lg_u32 s17, 0
	s_wait_loadcnt 0x0
	v_pk_mul_f32 v[36:37], v[38:39], v[36:37]
	ds_store_b32 v40, v36
	ds_store_b32 v41, v37
	s_cbranch_scc1 .LBB36_17
; %bb.18:                               ;   in Loop: Header=BB36_3 Depth=1
	s_and_b32 vcc_lo, exec_lo, s23
	s_cbranch_vccnz .LBB36_20
	s_branch .LBB36_22
.LBB36_19:                              ;   in Loop: Header=BB36_3 Depth=1
	s_wait_xcnt 0x0
	s_mov_b32 s22, 0
	s_cbranch_execz .LBB36_22
.LBB36_20:                              ;   in Loop: Header=BB36_3 Depth=1
	s_lshl_b32 s16, s22, 2
	s_mov_b32 s17, s3
	v_lshl_add_u32 v36, s22, 7, v72
	s_add_nc_u64 s[16:17], s[12:13], s[16:17]
	s_sub_co_i32 s15, s1, s22
	v_add_nc_u64_e32 v[34:35], s[16:17], v[68:69]
.LBB36_21:                              ;   Parent Loop BB36_3 Depth=1
                                        ; =>  This Inner Loop Header: Depth=2
	global_load_b32 v37, v[34:35], off
	s_wait_xcnt 0x0
	v_add_nc_u64_e32 v[34:35], 4, v[34:35]
	s_add_co_i32 s15, s15, -1
	s_delay_alu instid0(SALU_CYCLE_1)
	s_cmp_lg_u32 s15, 0
	s_wait_loadcnt 0x0
	v_mul_f32_e32 v37, s20, v37
	ds_store_b32 v36, v37
	v_add_nc_u32_e32 v36, 0x80, v36
	s_cbranch_scc1 .LBB36_21
.LBB36_22:                              ;   in Loop: Header=BB36_3 Depth=1
	s_or_b32 exec_lo, exec_lo, s14
	s_delay_alu instid0(SALU_CYCLE_1)
	s_and_not1_b32 vcc_lo, exec_lo, s28
	s_mov_b32 s14, -1
	s_wait_dscnt 0x0
	; wave barrier
                                        ; implicit-def: $vgpr34_vgpr35_vgpr36_vgpr37_vgpr38_vgpr39_vgpr40_vgpr41_vgpr42_vgpr43_vgpr44_vgpr45_vgpr46_vgpr47_vgpr48_vgpr49_vgpr50_vgpr51_vgpr52_vgpr53_vgpr54_vgpr55_vgpr56_vgpr57_vgpr58_vgpr59_vgpr60_vgpr61_vgpr62_vgpr63_vgpr64_vgpr65
	s_cbranch_vccnz .LBB36_44
; %bb.23:                               ;   in Loop: Header=BB36_3 Depth=1
	v_mov_b64_e32 v[64:65], v[32:33]
	v_mov_b64_e32 v[62:63], v[30:31]
	;; [unrolled: 1-line block ×16, first 2 shown]
	s_wait_xcnt 0x0
	s_mov_b32 s23, 0
	s_mov_b32 s22, 0
.LBB36_24:                              ;   Parent Loop BB36_3 Depth=1
                                        ; =>  This Loop Header: Depth=2
                                        ;       Child Loop BB36_27 Depth 3
                                        ;         Child Loop BB36_28 Depth 4
                                        ;         Child Loop BB36_31 Depth 4
                                        ;           Child Loop BB36_32 Depth 5
                                        ;         Child Loop BB36_37 Depth 4
                                        ;           Child Loop BB36_39 Depth 5
	s_load_b32 s24, s[8:9], s23 offset:0x0 scale_offset
	s_wait_kmcnt 0x0
	s_add_co_i32 s25, s24, -1
	s_delay_alu instid0(SALU_CYCLE_1) | instskip(NEXT) | instid1(SALU_CYCLE_1)
	s_add_co_i32 s14, s25, s22
	s_cmp_ge_i32 s14, s1
	s_cbranch_scc1 .LBB36_41
; %bb.25:                               ;   in Loop: Header=BB36_24 Depth=2
	s_lshl_b32 s37, s22, 7
	s_max_i32 s38, s24, 1
	v_add_nc_u32_e32 v73, s37, v72
	s_lshl_b32 s39, s24, 7
	s_mul_i32 s40, s22, 0x84
	s_mul_i32 s41, s24, 0x84
	s_branch .LBB36_27
.LBB36_26:                              ;   in Loop: Header=BB36_27 Depth=3
	s_add_co_i32 s22, s22, s24
	v_add_nc_u32_e32 v73, s39, v73
	s_add_co_i32 s14, s25, s22
	s_add_co_i32 s37, s37, s39
	s_add_co_i32 s40, s40, s41
	s_cmp_ge_i32 s14, s1
	s_cbranch_scc1 .LBB36_41
.LBB36_27:                              ;   Parent Loop BB36_3 Depth=1
                                        ;     Parent Loop BB36_24 Depth=2
                                        ; =>    This Loop Header: Depth=3
                                        ;         Child Loop BB36_28 Depth 4
                                        ;         Child Loop BB36_31 Depth 4
                                        ;           Child Loop BB36_32 Depth 5
                                        ;         Child Loop BB36_37 Depth 4
                                        ;           Child Loop BB36_39 Depth 5
	v_mov_b32_e32 v74, v73
	s_mov_b64 s[14:15], 0
.LBB36_28:                              ;   Parent Loop BB36_3 Depth=1
                                        ;     Parent Loop BB36_24 Depth=2
                                        ;       Parent Loop BB36_27 Depth=3
                                        ; =>      This Inner Loop Header: Depth=4
	ds_load_b32 v75, v74
	v_add_nc_u32_e32 v74, 0x80, v74
	s_mov_b32 m0, s14
	s_add_nc_u64 s[14:15], s[14:15], 1
	s_delay_alu instid0(SALU_CYCLE_1)
	s_cmp_eq_u32 s38, s14
	s_wait_dscnt 0x0
	v_movreld_b32_e32 v34, v75
	s_cbranch_scc0 .LBB36_28
; %bb.29:                               ;   in Loop: Header=BB36_27 Depth=3
	s_cmp_lt_i32 s22, 1
	s_cbranch_scc1 .LBB36_34
; %bb.30:                               ;   in Loop: Header=BB36_27 Depth=3
	s_mov_b32 s16, 0
	s_mov_b32 s17, s37
.LBB36_31:                              ;   Parent Loop BB36_3 Depth=1
                                        ;     Parent Loop BB36_24 Depth=2
                                        ;       Parent Loop BB36_27 Depth=3
                                        ; =>      This Loop Header: Depth=4
                                        ;           Child Loop BB36_32 Depth 5
	v_lshl_add_u32 v74, s16, 7, v72
	s_mov_b64 s[14:15], 0
	s_mov_b32 s42, s17
	ds_load_b32 v74, v74
.LBB36_32:                              ;   Parent Loop BB36_3 Depth=1
                                        ;     Parent Loop BB36_24 Depth=2
                                        ;       Parent Loop BB36_27 Depth=3
                                        ;         Parent Loop BB36_31 Depth=4
                                        ; =>        This Inner Loop Header: Depth=5
	v_mov_b32_e32 v75, s42
	s_mov_b32 m0, s14
	s_add_nc_u64 s[14:15], s[14:15], 1
	v_movrels_b32_e32 v76, v34
	s_addk_co_i32 s42, 0x80
	ds_load_b32 v75, v75
	s_cmp_eq_u32 s38, s14
	s_wait_dscnt 0x0
	v_fma_f32 v75, -v74, v75, v76
	s_delay_alu instid0(VALU_DEP_1)
	v_movreld_b32_e32 v34, v75
	s_cbranch_scc0 .LBB36_32
; %bb.33:                               ;   in Loop: Header=BB36_31 Depth=4
	s_add_co_i32 s16, s16, 1
	s_add_co_i32 s17, s17, 4
	s_cmp_eq_u32 s16, s22
	s_cbranch_scc0 .LBB36_31
.LBB36_34:                              ;   in Loop: Header=BB36_27 Depth=3
	s_lshl_b32 s42, s22, 7
	s_mov_b64 s[14:15], 0
	s_mov_b32 s43, s40
	s_branch .LBB36_37
.LBB36_35:                              ;   in Loop: Header=BB36_37 Depth=4
	s_mov_b32 s45, s22
	s_mov_b64 s[16:17], 0
	s_mov_b32 s44, s42
.LBB36_36:                              ;   in Loop: Header=BB36_37 Depth=4
	s_mov_b32 m0, s16
	s_mul_i32 s16, s45, 0x84
	v_movrels_b32_e32 v75, v34
	v_mov_b32_e32 v74, s16
	s_add_nc_u64 s[14:15], s[14:15], 1
	s_addk_co_i32 s43, 0x80
	s_cmp_eq_u32 s14, s38
	ds_load_b32 v74, v74
	s_wait_dscnt 0x0
	v_dual_mul_f32 v74, v75, v74 :: v_dual_add_nc_u32 v75, s44, v72
	s_delay_alu instid0(VALU_DEP_1)
	v_movreld_b32_e32 v34, v74
	ds_store_b32 v75, v74
	s_cbranch_scc1 .LBB36_26
.LBB36_37:                              ;   Parent Loop BB36_3 Depth=1
                                        ;     Parent Loop BB36_24 Depth=2
                                        ;       Parent Loop BB36_27 Depth=3
                                        ; =>      This Loop Header: Depth=4
                                        ;           Child Loop BB36_39 Depth 5
	s_cmp_eq_u32 s14, 0
	s_cbranch_scc1 .LBB36_35
; %bb.38:                               ;   in Loop: Header=BB36_37 Depth=4
	s_add_co_i32 s45, s14, s22
	s_mov_b64 s[16:17], 0
	s_lshl_b32 s44, s45, 7
	s_mov_b32 s46, s43
.LBB36_39:                              ;   Parent Loop BB36_3 Depth=1
                                        ;     Parent Loop BB36_24 Depth=2
                                        ;       Parent Loop BB36_27 Depth=3
                                        ;         Parent Loop BB36_37 Depth=4
                                        ; =>        This Inner Loop Header: Depth=5
	s_delay_alu instid0(SALU_CYCLE_1)
	v_mov_b32_e32 v74, s46
	s_mov_b32 m0, s16
	s_add_nc_u64 s[16:17], s[16:17], 1
	v_movrels_b32_e32 v75, v34
	s_mov_b32 m0, s14
	ds_load_b32 v74, v74
	v_movrels_b32_e32 v76, v34
	s_add_co_i32 s46, s46, 4
	s_cmp_eq_u32 s14, s16
	s_wait_dscnt 0x0
	s_delay_alu instid0(VALU_DEP_1) | instskip(NEXT) | instid1(VALU_DEP_1)
	v_fma_f32 v74, -v75, v74, v76
	v_movreld_b32_e32 v34, v74
	s_cbranch_scc0 .LBB36_39
; %bb.40:                               ;   in Loop: Header=BB36_37 Depth=4
	s_mov_b64 s[16:17], s[14:15]
	s_branch .LBB36_36
.LBB36_41:                              ;   in Loop: Header=BB36_24 Depth=2
	s_cmp_lt_i32 s22, s1
	s_cselect_b32 s15, -1, 0
	s_add_co_i32 s14, s23, 1
	s_cmp_lt_u32 s23, 2
	s_cselect_b32 s16, -1, 0
	s_delay_alu instid0(SALU_CYCLE_1) | instskip(NEXT) | instid1(SALU_CYCLE_1)
	s_and_b32 s15, s15, s16
	s_and_b32 vcc_lo, exec_lo, s15
	s_cbranch_vccz .LBB36_43
; %bb.42:                               ;   in Loop: Header=BB36_24 Depth=2
	s_wait_xcnt 0x0
	s_mov_b32 s23, s14
	s_branch .LBB36_24
.LBB36_43:                              ;   in Loop: Header=BB36_3 Depth=1
	s_mov_b32 s14, 0
.LBB36_44:                              ;   in Loop: Header=BB36_3 Depth=1
	s_delay_alu instid0(SALU_CYCLE_1)
	s_and_b32 vcc_lo, exec_lo, s14
	s_cbranch_vccz .LBB36_64
; %bb.45:                               ;   in Loop: Header=BB36_3 Depth=1
	s_wait_xcnt 0x0
	s_mov_b32 s23, 0
	s_mov_b32 s22, s26
	s_load_b32 s24, s[8:9], s23 offset:0x0 scale_offset
	s_wait_kmcnt 0x0
	s_add_co_i32 s25, s24, -1
	s_delay_alu instid0(SALU_CYCLE_1)
	s_cmp_lt_i32 s22, s25
	s_cbranch_scc1 .LBB36_61
.LBB36_46:                              ;   in Loop: Header=BB36_3 Depth=1
	s_lshl_b32 s14, s24, 7
	v_lshl_add_u32 v34, s22, 7, v72
	s_sub_co_i32 s38, 0, s14
	s_lshl_b32 s14, s22, 2
	s_lshl_b32 s15, s24, 2
	s_max_i32 s37, s24, 1
	s_add_co_i32 s39, s18, s14
	s_sub_co_i32 s40, 0, s15
	s_mul_i32 s41, s22, 0x84
	s_mul_i32 s42, s24, 0xffffff7c
	s_branch .LBB36_48
.LBB36_47:                              ;   in Loop: Header=BB36_48 Depth=2
	v_add_nc_u32_e32 v34, s38, v34
	s_sub_co_i32 s22, s22, s24
	s_add_co_i32 s39, s39, s40
	s_add_co_i32 s41, s41, s42
	s_cmp_lt_i32 s22, s25
	s_cbranch_scc1 .LBB36_61
.LBB36_48:                              ;   Parent Loop BB36_3 Depth=1
                                        ; =>  This Loop Header: Depth=2
                                        ;       Child Loop BB36_49 Depth 3
                                        ;       Child Loop BB36_51 Depth 3
                                        ;         Child Loop BB36_52 Depth 4
                                        ;       Child Loop BB36_57 Depth 3
                                        ;         Child Loop BB36_59 Depth 4
	v_mov_b32_e32 v35, v34
	s_mov_b64 s[14:15], 0
.LBB36_49:                              ;   Parent Loop BB36_3 Depth=1
                                        ;     Parent Loop BB36_48 Depth=2
                                        ; =>    This Inner Loop Header: Depth=3
	ds_load_b32 v36, v35
	v_add_nc_u32_e32 v35, 0xffffff80, v35
	s_mov_b32 m0, s14
	s_add_nc_u64 s[14:15], s[14:15], 1
	s_delay_alu instid0(SALU_CYCLE_1)
	s_cmp_eq_u32 s37, s14
	s_wait_dscnt 0x0
	v_movreld_b32_e32 v2, v36
	s_cbranch_scc0 .LBB36_49
; %bb.50:                               ;   in Loop: Header=BB36_48 Depth=2
	s_cmp_le_i32 s26, s22
	s_mov_b32 s16, s39
	s_mov_b32 s17, s26
	s_cbranch_scc1 .LBB36_54
.LBB36_51:                              ;   Parent Loop BB36_3 Depth=1
                                        ;     Parent Loop BB36_48 Depth=2
                                        ; =>    This Loop Header: Depth=3
                                        ;         Child Loop BB36_52 Depth 4
	v_lshl_add_u32 v35, s17, 7, v72
	s_mov_b64 s[14:15], 0
	s_mov_b32 s43, s16
	ds_load_b32 v35, v35
.LBB36_52:                              ;   Parent Loop BB36_3 Depth=1
                                        ;     Parent Loop BB36_48 Depth=2
                                        ;       Parent Loop BB36_51 Depth=3
                                        ; =>      This Inner Loop Header: Depth=4
	v_mov_b32_e32 v36, s43
	s_mov_b32 m0, s14
	s_add_nc_u64 s[14:15], s[14:15], 1
	v_movrels_b32_e32 v37, v2
	s_add_co_i32 s43, s43, -4
	ds_load_b32 v36, v36
	s_cmp_eq_u32 s37, s14
	s_wait_dscnt 0x0
	v_fma_f32 v36, -v35, v36, v37
	s_delay_alu instid0(VALU_DEP_1)
	v_movreld_b32_e32 v2, v36
	s_cbranch_scc0 .LBB36_52
; %bb.53:                               ;   in Loop: Header=BB36_51 Depth=3
	s_add_co_i32 s17, s17, -1
	s_addk_co_i32 s16, 0xff80
	s_cmp_le_i32 s17, s22
	s_cbranch_scc0 .LBB36_51
.LBB36_54:                              ;   in Loop: Header=BB36_48 Depth=2
	s_mov_b64 s[14:15], 0
	s_mov_b32 s43, s41
	s_branch .LBB36_57
.LBB36_55:                              ;   in Loop: Header=BB36_57 Depth=3
	s_mov_b32 s44, s22
	s_mov_b64 s[16:17], 0
.LBB36_56:                              ;   in Loop: Header=BB36_57 Depth=3
	s_delay_alu instid0(SALU_CYCLE_1)
	s_mov_b32 m0, s16
	s_mul_i32 s16, s44, 0x84
	v_movrels_b32_e32 v36, v2
	v_mov_b32_e32 v35, s16
	s_add_nc_u64 s[14:15], s[14:15], 1
	s_add_co_i32 s43, s43, -4
	s_cmp_eq_u32 s14, s37
	ds_load_b32 v35, v35
	s_wait_dscnt 0x0
	v_mul_f32_e32 v35, v36, v35
	v_lshl_add_u32 v36, s44, 7, v72
	s_delay_alu instid0(VALU_DEP_2)
	v_movreld_b32_e32 v2, v35
	ds_store_b32 v36, v35
	s_cbranch_scc1 .LBB36_47
.LBB36_57:                              ;   Parent Loop BB36_3 Depth=1
                                        ;     Parent Loop BB36_48 Depth=2
                                        ; =>    This Loop Header: Depth=3
                                        ;         Child Loop BB36_59 Depth 4
	s_cmp_eq_u32 s14, 0
	s_cbranch_scc1 .LBB36_55
; %bb.58:                               ;   in Loop: Header=BB36_57 Depth=3
	s_sub_co_i32 s44, s22, s14
	s_mov_b64 s[16:17], 0
	s_mov_b32 s45, s43
.LBB36_59:                              ;   Parent Loop BB36_3 Depth=1
                                        ;     Parent Loop BB36_48 Depth=2
                                        ;       Parent Loop BB36_57 Depth=3
                                        ; =>      This Inner Loop Header: Depth=4
	s_delay_alu instid0(SALU_CYCLE_1)
	v_mov_b32_e32 v35, s45
	s_mov_b32 m0, s16
	s_add_nc_u64 s[16:17], s[16:17], 1
	v_movrels_b32_e32 v36, v2
	s_mov_b32 m0, s14
	ds_load_b32 v35, v35
	v_movrels_b32_e32 v37, v2
	s_addk_co_i32 s45, 0xff80
	s_cmp_eq_u32 s14, s16
	s_wait_dscnt 0x0
	s_delay_alu instid0(VALU_DEP_1) | instskip(NEXT) | instid1(VALU_DEP_1)
	v_fma_f32 v35, -v36, v35, v37
	v_movreld_b32_e32 v2, v35
	s_cbranch_scc0 .LBB36_59
; %bb.60:                               ;   in Loop: Header=BB36_57 Depth=3
	s_mov_b64 s[16:17], s[14:15]
	s_branch .LBB36_56
.LBB36_61:                              ;   Parent Loop BB36_3 Depth=1
                                        ; =>  This Inner Loop Header: Depth=2
	s_cmp_gt_i32 s22, -1
	s_cselect_b32 s15, -1, 0
	s_add_co_i32 s14, s23, 1
	s_cmp_lt_u32 s23, 2
	s_cselect_b32 s16, -1, 0
	s_delay_alu instid0(SALU_CYCLE_1) | instskip(NEXT) | instid1(SALU_CYCLE_1)
	s_and_b32 s15, s15, s16
	s_and_not1_b32 vcc_lo, exec_lo, s15
	s_cbranch_vccnz .LBB36_63
; %bb.62:                               ;   in Loop: Header=BB36_61 Depth=2
	s_wait_xcnt 0x0
	s_mov_b32 s23, s14
	s_load_b32 s24, s[8:9], s23 offset:0x0 scale_offset
	s_wait_kmcnt 0x0
	s_add_co_i32 s25, s24, -1
	s_delay_alu instid0(SALU_CYCLE_1)
	s_cmp_lt_i32 s22, s25
	s_cbranch_scc0 .LBB36_46
	s_branch .LBB36_61
.LBB36_63:                              ;   in Loop: Header=BB36_3 Depth=1
	v_mov_b64_e32 v[64:65], v[32:33]
	v_mov_b64_e32 v[62:63], v[30:31]
	;; [unrolled: 1-line block ×16, first 2 shown]
.LBB36_64:                              ;   in Loop: Header=BB36_3 Depth=1
	s_delay_alu instid0(VALU_DEP_1) | instskip(NEXT) | instid1(VALU_DEP_3)
	v_mov_b64_e32 v[2:3], v[34:35]
	v_mov_b64_e32 v[4:5], v[36:37]
	;; [unrolled: 1-line block ×16, first 2 shown]
	s_wait_dscnt 0x0
	; wave barrier
	s_and_saveexec_b32 s14, s29
	s_cbranch_execz .LBB36_2
; %bb.65:                               ;   in Loop: Header=BB36_3 Depth=1
	s_and_not1_b32 vcc_lo, exec_lo, s34
	s_cbranch_vccnz .LBB36_69
; %bb.66:                               ;   in Loop: Header=BB36_3 Depth=1
	s_mov_b32 s15, 1
	s_mov_b32 s16, 0
	s_mov_b32 s17, s35
.LBB36_67:                              ;   Parent Loop BB36_3 Depth=1
                                        ; =>  This Inner Loop Header: Depth=2
	v_lshl_add_u32 v34, s16, 7, v72
	v_lshl_add_u32 v35, s15, 7, v72
	s_add_co_i32 s17, s17, -2
	s_add_co_i32 s16, s16, 2
	s_add_co_i32 s15, s15, 2
	ds_load_b32 v34, v34
	ds_load_b32 v35, v35
	s_mov_b32 s22, s35
	s_cmp_lg_u32 s17, 0
	s_wait_xcnt 0x0
	s_mov_b32 s23, s36
	s_wait_dscnt 0x0
	global_store_b64 v[70:71], v[34:35], off
	s_wait_xcnt 0x0
	v_add_nc_u64_e32 v[70:71], 8, v[70:71]
	s_cbranch_scc1 .LBB36_67
; %bb.68:                               ;   in Loop: Header=BB36_3 Depth=1
	s_and_b32 vcc_lo, exec_lo, s23
	s_cbranch_vccz .LBB36_2
	s_branch .LBB36_70
.LBB36_69:                              ;   in Loop: Header=BB36_3 Depth=1
	s_wait_xcnt 0x0
	s_mov_b32 s22, 0
	s_cbranch_execz .LBB36_2
.LBB36_70:                              ;   in Loop: Header=BB36_3 Depth=1
	s_lshl_b32 s16, s22, 2
	s_mov_b32 s17, s3
	v_lshl_add_u32 v36, s22, 7, v72
	s_add_nc_u64 s[12:13], s[12:13], s[16:17]
	s_delay_alu instid0(SALU_CYCLE_1)
	v_add_nc_u64_e32 v[34:35], s[12:13], v[68:69]
	s_sub_co_i32 s12, s1, s22
.LBB36_71:                              ;   Parent Loop BB36_3 Depth=1
                                        ; =>  This Inner Loop Header: Depth=2
	ds_load_b32 v37, v36
	v_add_nc_u32_e32 v36, 0x80, v36
	s_add_co_i32 s12, s12, -1
	s_delay_alu instid0(SALU_CYCLE_1)
	s_cmp_lg_u32 s12, 0
	s_wait_dscnt 0x0
	global_store_b32 v[34:35], v37, off
	s_wait_xcnt 0x0
	v_add_nc_u64_e32 v[34:35], 4, v[34:35]
	s_cbranch_scc1 .LBB36_71
	s_branch .LBB36_2
.LBB36_72:
	s_sendmsg sendmsg(MSG_DEALLOC_VGPRS)
	s_endpgm
	.section	.rodata,"a",@progbits
	.p2align	6, 0x0
	.amdhsa_kernel _ZL38rocblas_trsm_small_left_device_sharedBILi32ELi32ELb0EffPKfPfEv13rocblas_fill_18rocblas_operation_17rocblas_diagonal_iiT3_T4_lilT5_lili
		.amdhsa_group_segment_fixed_size 8192
		.amdhsa_private_segment_fixed_size 0
		.amdhsa_kernarg_size 352
		.amdhsa_user_sgpr_count 2
		.amdhsa_user_sgpr_dispatch_ptr 0
		.amdhsa_user_sgpr_queue_ptr 0
		.amdhsa_user_sgpr_kernarg_segment_ptr 1
		.amdhsa_user_sgpr_dispatch_id 0
		.amdhsa_user_sgpr_kernarg_preload_length 0
		.amdhsa_user_sgpr_kernarg_preload_offset 0
		.amdhsa_user_sgpr_private_segment_size 0
		.amdhsa_wavefront_size32 1
		.amdhsa_uses_dynamic_stack 0
		.amdhsa_enable_private_segment 0
		.amdhsa_system_sgpr_workgroup_id_x 1
		.amdhsa_system_sgpr_workgroup_id_y 0
		.amdhsa_system_sgpr_workgroup_id_z 1
		.amdhsa_system_sgpr_workgroup_info 0
		.amdhsa_system_vgpr_workitem_id 0
		.amdhsa_next_free_vgpr 81
		.amdhsa_next_free_sgpr 47
		.amdhsa_named_barrier_count 0
		.amdhsa_reserve_vcc 1
		.amdhsa_float_round_mode_32 0
		.amdhsa_float_round_mode_16_64 0
		.amdhsa_float_denorm_mode_32 3
		.amdhsa_float_denorm_mode_16_64 3
		.amdhsa_fp16_overflow 0
		.amdhsa_memory_ordered 1
		.amdhsa_forward_progress 1
		.amdhsa_inst_pref_size 22
		.amdhsa_round_robin_scheduling 0
		.amdhsa_exception_fp_ieee_invalid_op 0
		.amdhsa_exception_fp_denorm_src 0
		.amdhsa_exception_fp_ieee_div_zero 0
		.amdhsa_exception_fp_ieee_overflow 0
		.amdhsa_exception_fp_ieee_underflow 0
		.amdhsa_exception_fp_ieee_inexact 0
		.amdhsa_exception_int_div_zero 0
	.end_amdhsa_kernel
	.section	.text._ZL38rocblas_trsm_small_left_device_sharedBILi32ELi32ELb0EffPKfPfEv13rocblas_fill_18rocblas_operation_17rocblas_diagonal_iiT3_T4_lilT5_lili,"axG",@progbits,_ZL38rocblas_trsm_small_left_device_sharedBILi32ELi32ELb0EffPKfPfEv13rocblas_fill_18rocblas_operation_17rocblas_diagonal_iiT3_T4_lilT5_lili,comdat
.Lfunc_end36:
	.size	_ZL38rocblas_trsm_small_left_device_sharedBILi32ELi32ELb0EffPKfPfEv13rocblas_fill_18rocblas_operation_17rocblas_diagonal_iiT3_T4_lilT5_lili, .Lfunc_end36-_ZL38rocblas_trsm_small_left_device_sharedBILi32ELi32ELb0EffPKfPfEv13rocblas_fill_18rocblas_operation_17rocblas_diagonal_iiT3_T4_lilT5_lili
                                        ; -- End function
	.set _ZL38rocblas_trsm_small_left_device_sharedBILi32ELi32ELb0EffPKfPfEv13rocblas_fill_18rocblas_operation_17rocblas_diagonal_iiT3_T4_lilT5_lili.num_vgpr, 77
	.set _ZL38rocblas_trsm_small_left_device_sharedBILi32ELi32ELb0EffPKfPfEv13rocblas_fill_18rocblas_operation_17rocblas_diagonal_iiT3_T4_lilT5_lili.num_agpr, 0
	.set _ZL38rocblas_trsm_small_left_device_sharedBILi32ELi32ELb0EffPKfPfEv13rocblas_fill_18rocblas_operation_17rocblas_diagonal_iiT3_T4_lilT5_lili.numbered_sgpr, 47
	.set _ZL38rocblas_trsm_small_left_device_sharedBILi32ELi32ELb0EffPKfPfEv13rocblas_fill_18rocblas_operation_17rocblas_diagonal_iiT3_T4_lilT5_lili.num_named_barrier, 0
	.set _ZL38rocblas_trsm_small_left_device_sharedBILi32ELi32ELb0EffPKfPfEv13rocblas_fill_18rocblas_operation_17rocblas_diagonal_iiT3_T4_lilT5_lili.private_seg_size, 0
	.set _ZL38rocblas_trsm_small_left_device_sharedBILi32ELi32ELb0EffPKfPfEv13rocblas_fill_18rocblas_operation_17rocblas_diagonal_iiT3_T4_lilT5_lili.uses_vcc, 1
	.set _ZL38rocblas_trsm_small_left_device_sharedBILi32ELi32ELb0EffPKfPfEv13rocblas_fill_18rocblas_operation_17rocblas_diagonal_iiT3_T4_lilT5_lili.uses_flat_scratch, 0
	.set _ZL38rocblas_trsm_small_left_device_sharedBILi32ELi32ELb0EffPKfPfEv13rocblas_fill_18rocblas_operation_17rocblas_diagonal_iiT3_T4_lilT5_lili.has_dyn_sized_stack, 0
	.set _ZL38rocblas_trsm_small_left_device_sharedBILi32ELi32ELb0EffPKfPfEv13rocblas_fill_18rocblas_operation_17rocblas_diagonal_iiT3_T4_lilT5_lili.has_recursion, 0
	.set _ZL38rocblas_trsm_small_left_device_sharedBILi32ELi32ELb0EffPKfPfEv13rocblas_fill_18rocblas_operation_17rocblas_diagonal_iiT3_T4_lilT5_lili.has_indirect_call, 0
	.section	.AMDGPU.csdata,"",@progbits
; Kernel info:
; codeLenInByte = 2788
; TotalNumSgprs: 49
; NumVgprs: 77
; ScratchSize: 0
; MemoryBound: 0
; FloatMode: 240
; IeeeMode: 1
; LDSByteSize: 8192 bytes/workgroup (compile time only)
; SGPRBlocks: 0
; VGPRBlocks: 5
; NumSGPRsForWavesPerEU: 49
; NumVGPRsForWavesPerEU: 81
; NamedBarCnt: 0
; Occupancy: 10
; WaveLimiterHint : 0
; COMPUTE_PGM_RSRC2:SCRATCH_EN: 0
; COMPUTE_PGM_RSRC2:USER_SGPR: 2
; COMPUTE_PGM_RSRC2:TRAP_HANDLER: 0
; COMPUTE_PGM_RSRC2:TGID_X_EN: 1
; COMPUTE_PGM_RSRC2:TGID_Y_EN: 0
; COMPUTE_PGM_RSRC2:TGID_Z_EN: 1
; COMPUTE_PGM_RSRC2:TIDIG_COMP_CNT: 0
	.section	.text._ZL30rocblas_trsm_small_left_deviceILi32ELi32ELb0EffPKfPfEv13rocblas_fill_18rocblas_operation_17rocblas_diagonal_iiT3_T4_lilT5_lili,"axG",@progbits,_ZL30rocblas_trsm_small_left_deviceILi32ELi32ELb0EffPKfPfEv13rocblas_fill_18rocblas_operation_17rocblas_diagonal_iiT3_T4_lilT5_lili,comdat
	.globl	_ZL30rocblas_trsm_small_left_deviceILi32ELi32ELb0EffPKfPfEv13rocblas_fill_18rocblas_operation_17rocblas_diagonal_iiT3_T4_lilT5_lili ; -- Begin function _ZL30rocblas_trsm_small_left_deviceILi32ELi32ELb0EffPKfPfEv13rocblas_fill_18rocblas_operation_17rocblas_diagonal_iiT3_T4_lilT5_lili
	.p2align	8
	.type	_ZL30rocblas_trsm_small_left_deviceILi32ELi32ELb0EffPKfPfEv13rocblas_fill_18rocblas_operation_17rocblas_diagonal_iiT3_T4_lilT5_lili,@function
_ZL30rocblas_trsm_small_left_deviceILi32ELi32ELb0EffPKfPfEv13rocblas_fill_18rocblas_operation_17rocblas_diagonal_iiT3_T4_lilT5_lili: ; @_ZL30rocblas_trsm_small_left_deviceILi32ELi32ELb0EffPKfPfEv13rocblas_fill_18rocblas_operation_17rocblas_diagonal_iiT3_T4_lilT5_lili
; %bb.0:
	s_load_b32 s30, s[0:1], 0x58
	s_bfe_u32 s2, ttmp6, 0x40014
	s_lshr_b32 s4, ttmp7, 16
	s_add_co_i32 s2, s2, 1
	s_bfe_u32 s5, ttmp6, 0x40008
	s_mul_i32 s2, s4, s2
	s_getreg_b32 s3, hwreg(HW_REG_IB_STS2, 6, 4)
	s_add_co_i32 s5, s5, s2
	s_cmp_eq_u32 s3, 0
	s_mov_b32 s19, 0
	s_cselect_b32 s2, s4, s5
	s_wait_kmcnt 0x0
	s_cmp_ge_u32 s2, s30
	s_cbranch_scc1 .LBB37_58
; %bb.1:
	s_clause 0x7
	s_load_b32 s22, s[0:1], 0x28
	s_load_b96 s[16:18], s[0:1], 0x40
	s_load_b128 s[4:7], s[0:1], 0x18
	s_load_b128 s[12:15], s[0:1], 0x4
	;; [unrolled: 1-line block ×3, first 2 shown]
	s_load_b32 s24, s[0:1], 0x60
	s_load_b64 s[20:21], s[0:1], 0x50
	s_load_b32 s31, s[0:1], 0x14
	v_dual_mov_b32 v67, 0 :: v_dual_lshlrev_b32 v66, 2, v0
	v_lshlrev_b32_e32 v34, 7, v0
	s_mov_b32 s41, 0
	s_delay_alu instid0(VALU_DEP_2)
	v_dual_mov_b32 v2, v67 :: v_dual_mov_b32 v3, v67
	v_dual_mov_b32 v4, v67 :: v_dual_mov_b32 v5, v67
	;; [unrolled: 1-line block ×4, first 2 shown]
	v_mov_b32_e32 v10, v67
	s_wait_kmcnt 0x0
	s_ashr_i32 s23, s22, 31
	v_dual_mov_b32 v12, v67 :: v_dual_mov_b32 v13, v67
	s_cmp_eq_u64 s[22:23], 1
	v_dual_mov_b32 v14, v67 :: v_dual_mov_b32 v15, v67
	s_cselect_b32 s25, -1, 0
	s_bfe_u32 s0, ttmp6, 0x4000c
	s_min_i32 s33, s14, 32
	s_add_co_i32 s0, s0, 1
	s_and_b32 s14, ttmp6, 15
	s_mul_i32 s0, ttmp9, s0
	s_ashr_i32 s1, s18, 31
	s_lshl_b64 s[16:17], s[16:17], 2
	s_add_co_i32 s24, s24, -1
	s_add_co_i32 s34, s33, -1
	s_add_co_i32 s14, s14, s0
	s_cmp_eq_u32 s3, 0
	s_mov_b32 s0, s18
	s_cselect_b32 s3, ttmp9, s14
	s_add_nc_u64 s[10:11], s[10:11], s[16:17]
	s_lshl_b32 s14, s3, 5
	s_delay_alu instid0(SALU_CYCLE_1) | instskip(SKIP_2) | instid1(VALU_DEP_3)
	v_dual_mov_b32 v11, v67 :: v_dual_bitop2_b32 v20, s14, v0 bitop3:0x54
	v_dual_mov_b32 v16, v67 :: v_dual_mov_b32 v17, v67
	v_dual_mov_b32 v18, v67 :: v_dual_mov_b32 v19, v67
	v_dual_mov_b32 v22, v67 :: v_dual_ashrrev_i32 v21, 31, v20
	v_dual_mov_b32 v23, v67 :: v_dual_mov_b32 v24, v67
	v_dual_mov_b32 v25, v67 :: v_dual_mov_b32 v26, v67
	s_delay_alu instid0(VALU_DEP_3)
	v_mul_u64_e32 v[28:29], s[0:1], v[20:21]
	s_sub_co_i32 s0, s15, s14
	s_cmp_ge_u32 s3, s24
	v_mov_b32_e32 v20, v67
	s_cselect_b32 s1, s0, 32
	s_cmp_lg_u32 s13, 0x84
	v_cmp_gt_i32_e64 s0, s33, v0
	s_cselect_b32 s35, -1, 0
	s_cmp_lg_u32 s12, 0x6f
	v_cmp_gt_i32_e64 s1, s1, v0
	s_cselect_b32 s36, -1, 0
	s_cmp_gt_u32 s33, 1
	v_mov_b32_e32 v21, v67
	s_cselect_b32 s3, -1, 0
	s_and_b32 s37, s33, -2
	s_and_b32 s38, s3, s25
	s_cmp_lg_u32 s33, s37
	v_mov_b32_e32 v27, v67
	s_cselect_b32 s39, -1, 0
	s_lshl_b64 s[12:13], s[6:7], 2
	v_dual_mov_b32 v31, v67 :: v_dual_mov_b32 v32, v67
	s_add_nc_u64 s[4:5], s[4:5], s[12:13]
	v_mov_b32_e32 v33, v67
	v_add_nc_u64_e32 v[0:1], s[4:5], v[66:67]
	v_mov_b32_e32 v30, v67
	s_lshl_b32 s40, s33, 7
	s_lshl_b64 s[6:7], s[8:9], 2
	s_lshl_b64 s[8:9], s[22:23], 2
	s_addk_co_i32 s40, 0xff80
	s_get_pc_i64 s[4:5]
	s_add_nc_u64 s[4:5], s[4:5], __const._ZL30rocblas_trsm_small_left_deviceILi32ELi32ELb0EffPKfPfEv13rocblas_fill_18rocblas_operation_17rocblas_diagonal_iiT3_T4_lilT5_lili.step_sizes@rel64+4
	v_lshl_add_u64 v[68:69], v[28:29], 2, s[10:11]
	v_dual_mov_b32 v28, v67 :: v_dual_mov_b32 v29, v67
	v_add_nc_u32_e32 v67, v66, v34
	s_lshl_b64 s[10:11], s[20:21], 2
	s_branch .LBB37_5
.LBB37_2:                               ;   in Loop: Header=BB37_5 Depth=1
	s_wait_xcnt 0x0
	v_mov_b64_e32 v[64:65], v[32:33]
	v_mov_b64_e32 v[62:63], v[30:31]
	;; [unrolled: 1-line block ×16, first 2 shown]
.LBB37_3:                               ;   in Loop: Header=BB37_5 Depth=1
	s_add_co_i32 s2, s2, 0x10000
	s_delay_alu instid0(SALU_CYCLE_1) | instskip(SKIP_1) | instid1(SALU_CYCLE_1)
	s_cmp_ge_u32 s2, s30
	s_cselect_b32 s3, -1, 0
	s_or_not1_b32 s12, s3, exec_lo
.LBB37_4:                               ;   in Loop: Header=BB37_5 Depth=1
	s_wait_xcnt 0x0
	s_or_b32 exec_lo, exec_lo, s42
	v_mov_b64_e32 v[2:3], v[34:35]
	v_mov_b64_e32 v[4:5], v[36:37]
	v_mov_b64_e32 v[6:7], v[38:39]
	v_mov_b64_e32 v[8:9], v[40:41]
	v_mov_b64_e32 v[10:11], v[42:43]
	v_mov_b64_e32 v[12:13], v[44:45]
	v_mov_b64_e32 v[14:15], v[46:47]
	v_mov_b64_e32 v[16:17], v[48:49]
	v_mov_b64_e32 v[18:19], v[50:51]
	v_mov_b64_e32 v[20:21], v[52:53]
	v_mov_b64_e32 v[22:23], v[54:55]
	v_mov_b64_e32 v[24:25], v[56:57]
	v_mov_b64_e32 v[26:27], v[58:59]
	v_mov_b64_e32 v[28:29], v[60:61]
	v_mov_b64_e32 v[30:31], v[62:63]
	v_mov_b64_e32 v[32:33], v[64:65]
	s_and_b32 s3, exec_lo, s12
	s_delay_alu instid0(SALU_CYCLE_1) | instskip(NEXT) | instid1(SALU_CYCLE_1)
	s_or_b32 s41, s3, s41
	s_and_not1_b32 exec_lo, exec_lo, s41
	s_cbranch_execz .LBB37_58
.LBB37_5:                               ; =>This Loop Header: Depth=1
                                        ;     Child Loop BB37_8 Depth 2
                                        ;     Child Loop BB37_12 Depth 2
	;; [unrolled: 1-line block ×3, first 2 shown]
                                        ;       Child Loop BB37_22 Depth 3
                                        ;         Child Loop BB37_23 Depth 4
                                        ;         Child Loop BB37_26 Depth 4
                                        ;           Child Loop BB37_27 Depth 5
                                        ;         Child Loop BB37_32 Depth 4
                                        ;           Child Loop BB37_34 Depth 5
                                        ;     Child Loop BB37_43 Depth 2
                                        ;       Child Loop BB37_44 Depth 3
                                        ;       Child Loop BB37_46 Depth 3
                                        ;         Child Loop BB37_47 Depth 4
                                        ;       Child Loop BB37_52 Depth 3
                                        ;         Child Loop BB37_54 Depth 4
                                        ;     Child Loop BB37_56 Depth 2
	s_mov_b32 s3, s19
	s_and_saveexec_b32 s14, s0
	s_cbranch_execz .LBB37_16
; %bb.6:                                ;   in Loop: Header=BB37_5 Depth=1
	s_and_not1_b32 vcc_lo, exec_lo, s38
	s_mul_u64 s[12:13], s[6:7], s[2:3]
	s_cbranch_vccnz .LBB37_10
; %bb.7:                                ;   in Loop: Header=BB37_5 Depth=1
	v_add_nc_u64_e32 v[34:35], s[12:13], v[0:1]
	s_mov_b32 s15, 1
	s_mov_b32 s16, 0
	;; [unrolled: 1-line block ×3, first 2 shown]
.LBB37_8:                               ;   Parent Loop BB37_5 Depth=1
                                        ; =>  This Inner Loop Header: Depth=2
	global_load_b64 v[36:37], v[34:35], off
	s_wait_xcnt 0x0
	v_add_nc_u64_e32 v[34:35], 8, v[34:35]
	v_lshl_or_b32 v38, s16, 7, v66
	v_lshl_or_b32 v39, s15, 7, v66
	s_add_co_i32 s17, s17, -2
	s_add_co_i32 s16, s16, 2
	s_add_co_i32 s15, s15, 2
	s_mov_b32 s18, s37
	s_mov_b32 s22, s39
	s_cmp_lg_u32 s17, 0
	s_wait_loadcnt 0x0
	ds_store_b32 v38, v36
	ds_store_b32 v39, v37
	s_cbranch_scc1 .LBB37_8
; %bb.9:                                ;   in Loop: Header=BB37_5 Depth=1
	s_and_b32 vcc_lo, exec_lo, s22
	s_cbranch_vccnz .LBB37_11
	s_branch .LBB37_13
.LBB37_10:                              ;   in Loop: Header=BB37_5 Depth=1
	s_mov_b32 s18, 0
	s_cbranch_execz .LBB37_13
.LBB37_11:                              ;   in Loop: Header=BB37_5 Depth=1
	s_mul_u64 s[16:17], s[8:9], s[18:19]
	v_lshl_or_b32 v36, s18, 7, v66
	s_add_nc_u64 s[12:13], s[16:17], s[12:13]
	s_delay_alu instid0(SALU_CYCLE_1)
	v_add_nc_u64_e32 v[34:35], s[12:13], v[0:1]
	s_sub_co_i32 s12, s33, s18
.LBB37_12:                              ;   Parent Loop BB37_5 Depth=1
                                        ; =>  This Inner Loop Header: Depth=2
	global_load_b32 v37, v[34:35], off
	s_wait_xcnt 0x0
	v_add_nc_u64_e32 v[34:35], s[8:9], v[34:35]
	s_add_co_i32 s12, s12, -1
	s_delay_alu instid0(SALU_CYCLE_1)
	s_cmp_eq_u32 s12, 0
	s_wait_loadcnt 0x0
	ds_store_b32 v36, v37
	v_add_nc_u32_e32 v36, 0x80, v36
	s_cbranch_scc0 .LBB37_12
.LBB37_13:                              ;   in Loop: Header=BB37_5 Depth=1
	v_mov_b32_e32 v34, 1.0
	s_and_b32 vcc_lo, exec_lo, s35
	s_cbranch_vccz .LBB37_15
; %bb.14:                               ;   in Loop: Header=BB37_5 Depth=1
	ds_load_b32 v34, v67
	s_wait_dscnt 0x0
	v_div_scale_f32 v35, null, v34, v34, 1.0
	s_delay_alu instid0(VALU_DEP_1) | instskip(SKIP_1) | instid1(TRANS32_DEP_1)
	v_rcp_f32_e32 v36, v35
	v_nop
	v_fma_f32 v37, -v35, v36, 1.0
	s_delay_alu instid0(VALU_DEP_1) | instskip(SKIP_1) | instid1(VALU_DEP_1)
	v_fmac_f32_e32 v36, v37, v36
	v_div_scale_f32 v37, vcc_lo, 1.0, v34, 1.0
	v_mul_f32_e32 v38, v37, v36
	s_delay_alu instid0(VALU_DEP_1) | instskip(NEXT) | instid1(VALU_DEP_1)
	v_fma_f32 v39, -v35, v38, v37
	v_fmac_f32_e32 v38, v39, v36
	s_delay_alu instid0(VALU_DEP_1) | instskip(NEXT) | instid1(VALU_DEP_1)
	v_fma_f32 v35, -v35, v38, v37
	v_div_fmas_f32 v35, v35, v36, v38
	s_delay_alu instid0(VALU_DEP_1)
	v_div_fixup_f32 v34, v35, v34, 1.0
.LBB37_15:                              ;   in Loop: Header=BB37_5 Depth=1
	ds_store_b32 v67, v34
.LBB37_16:                              ;   in Loop: Header=BB37_5 Depth=1
	s_or_b32 exec_lo, exec_lo, s14
	s_mov_b32 s12, -1
	s_wait_dscnt 0x0
	; wave barrier
                                        ; implicit-def: $vgpr34_vgpr35_vgpr36_vgpr37_vgpr38_vgpr39_vgpr40_vgpr41_vgpr42_vgpr43_vgpr44_vgpr45_vgpr46_vgpr47_vgpr48_vgpr49_vgpr50_vgpr51_vgpr52_vgpr53_vgpr54_vgpr55_vgpr56_vgpr57_vgpr58_vgpr59_vgpr60_vgpr61_vgpr62_vgpr63_vgpr64_vgpr65
	s_and_saveexec_b32 s42, s1
	s_cbranch_execz .LBB37_4
; %bb.17:                               ;   in Loop: Header=BB37_5 Depth=1
	s_mul_u64 s[12:13], s[20:21], s[2:3]
	s_and_not1_b32 vcc_lo, exec_lo, s36
	v_lshl_add_u64 v[70:71], s[12:13], 2, v[68:69]
	s_mul_u64 s[12:13], s[10:11], s[2:3]
	s_mov_b32 s3, -1
                                        ; implicit-def: $vgpr34_vgpr35_vgpr36_vgpr37_vgpr38_vgpr39_vgpr40_vgpr41_vgpr42_vgpr43_vgpr44_vgpr45_vgpr46_vgpr47_vgpr48_vgpr49_vgpr50_vgpr51_vgpr52_vgpr53_vgpr54_vgpr55_vgpr56_vgpr57_vgpr58_vgpr59_vgpr60_vgpr61_vgpr62_vgpr63_vgpr64_vgpr65
	s_cbranch_vccnz .LBB37_39
; %bb.18:                               ;   in Loop: Header=BB37_5 Depth=1
	v_mov_b64_e32 v[64:65], v[32:33]
	v_add_nc_u64_e32 v[72:73], s[12:13], v[68:69]
	v_mov_b64_e32 v[62:63], v[30:31]
	v_mov_b64_e32 v[60:61], v[28:29]
	;; [unrolled: 1-line block ×15, first 2 shown]
	s_mov_b32 s3, 0
	s_mov_b32 s14, 0
.LBB37_19:                              ;   Parent Loop BB37_5 Depth=1
                                        ; =>  This Loop Header: Depth=2
                                        ;       Child Loop BB37_22 Depth 3
                                        ;         Child Loop BB37_23 Depth 4
                                        ;         Child Loop BB37_26 Depth 4
                                        ;           Child Loop BB37_27 Depth 5
                                        ;         Child Loop BB37_32 Depth 4
                                        ;           Child Loop BB37_34 Depth 5
	s_load_b32 s16, s[4:5], s3 offset:0x0 scale_offset
	s_wait_kmcnt 0x0
	s_add_co_i32 s43, s16, -1
	s_delay_alu instid0(SALU_CYCLE_1) | instskip(NEXT) | instid1(SALU_CYCLE_1)
	s_add_co_i32 s15, s43, s14
	s_cmp_ge_i32 s15, s33
	s_cbranch_scc1 .LBB37_36
; %bb.20:                               ;   in Loop: Header=BB37_19 Depth=2
	s_ashr_i32 s15, s14, 31
	s_ashr_i32 s17, s16, 31
	v_lshl_add_u64 v[74:75], s[14:15], 2, v[72:73]
	s_max_i32 s44, s16, 1
	s_lshl_b64 s[22:23], s[16:17], 2
	s_lshl_b32 s15, s14, 7
	s_lshl_b32 s17, s16, 7
	s_mul_i32 s45, s14, 0x84
	s_mul_i32 s46, s16, 0x84
	s_branch .LBB37_22
.LBB37_21:                              ;   in Loop: Header=BB37_22 Depth=3
	v_add_nc_u64_e32 v[74:75], s[22:23], v[74:75]
	s_add_co_i32 s14, s14, s16
	s_add_co_i32 s15, s15, s17
	;; [unrolled: 1-line block ×4, first 2 shown]
	s_cmp_ge_i32 s18, s33
	s_cbranch_scc1 .LBB37_36
.LBB37_22:                              ;   Parent Loop BB37_5 Depth=1
                                        ;     Parent Loop BB37_19 Depth=2
                                        ; =>    This Loop Header: Depth=3
                                        ;         Child Loop BB37_23 Depth 4
                                        ;         Child Loop BB37_26 Depth 4
                                        ;           Child Loop BB37_27 Depth 5
                                        ;         Child Loop BB37_32 Depth 4
                                        ;           Child Loop BB37_34 Depth 5
	s_wait_xcnt 0x0
	v_mov_b64_e32 v[76:77], v[74:75]
	s_mov_b64 s[24:25], 0
.LBB37_23:                              ;   Parent Loop BB37_5 Depth=1
                                        ;     Parent Loop BB37_19 Depth=2
                                        ;       Parent Loop BB37_22 Depth=3
                                        ; =>      This Inner Loop Header: Depth=4
	global_load_b32 v78, v[76:77], off
	s_wait_xcnt 0x0
	v_add_nc_u64_e32 v[76:77], 4, v[76:77]
	s_mov_b32 m0, s24
	s_add_nc_u64 s[24:25], s[24:25], 1
	s_delay_alu instid0(SALU_CYCLE_1) | instskip(SKIP_2) | instid1(VALU_DEP_1)
	s_cmp_eq_u32 s44, s24
	s_wait_loadcnt 0x0
	v_mul_f32_e32 v78, s31, v78
	v_movreld_b32_e32 v34, v78
	s_cbranch_scc0 .LBB37_23
; %bb.24:                               ;   in Loop: Header=BB37_22 Depth=3
	s_cmp_lt_i32 s14, 1
	s_cbranch_scc1 .LBB37_29
; %bb.25:                               ;   in Loop: Header=BB37_22 Depth=3
	s_mov_b32 s18, 0
	s_mov_b32 s26, s15
.LBB37_26:                              ;   Parent Loop BB37_5 Depth=1
                                        ;     Parent Loop BB37_19 Depth=2
                                        ;       Parent Loop BB37_22 Depth=3
                                        ; =>      This Loop Header: Depth=4
                                        ;           Child Loop BB37_27 Depth 5
	v_lshl_add_u64 v[76:77], s[18:19], 2, v[70:71]
	s_mov_b64 s[24:25], 0
	s_mov_b32 s27, s26
	global_load_b32 v76, v[76:77], off
.LBB37_27:                              ;   Parent Loop BB37_5 Depth=1
                                        ;     Parent Loop BB37_19 Depth=2
                                        ;       Parent Loop BB37_22 Depth=3
                                        ;         Parent Loop BB37_26 Depth=4
                                        ; =>        This Inner Loop Header: Depth=5
	s_wait_xcnt 0x0
	v_mov_b32_e32 v77, s27
	s_mov_b32 m0, s24
	s_add_nc_u64 s[24:25], s[24:25], 1
	v_movrels_b32_e32 v78, v34
	s_addk_co_i32 s27, 0x80
	ds_load_b32 v77, v77
	s_cmp_eq_u32 s44, s24
	s_wait_loadcnt_dscnt 0x0
	v_fma_f32 v77, -v76, v77, v78
	s_delay_alu instid0(VALU_DEP_1)
	v_movreld_b32_e32 v34, v77
	s_cbranch_scc0 .LBB37_27
; %bb.28:                               ;   in Loop: Header=BB37_26 Depth=4
	s_add_co_i32 s18, s18, 1
	s_add_co_i32 s26, s26, 4
	s_cmp_eq_u32 s18, s14
	s_cbranch_scc0 .LBB37_26
.LBB37_29:                              ;   in Loop: Header=BB37_22 Depth=3
	s_mov_b64 s[24:25], 0
	s_mov_b32 s18, s45
	s_branch .LBB37_32
.LBB37_30:                              ;   in Loop: Header=BB37_32 Depth=4
	s_mov_b32 s26, s14
	s_mov_b64 s[28:29], 0
.LBB37_31:                              ;   in Loop: Header=BB37_32 Depth=4
	s_mul_i32 s27, s26, 0x84
	s_mov_b32 m0, s28
	s_wait_xcnt 0x0
	v_mov_b32_e32 v76, s27
	v_movrels_b32_e32 v77, v34
	s_ashr_i32 s27, s26, 31
	s_add_nc_u64 s[24:25], s[24:25], 1
	s_addk_co_i32 s18, 0x80
	ds_load_b32 v76, v76
	s_cmp_eq_u32 s24, s44
	s_wait_dscnt 0x0
	v_mul_f32_e32 v78, v77, v76
	v_lshl_add_u64 v[76:77], s[26:27], 2, v[70:71]
	s_delay_alu instid0(VALU_DEP_2)
	v_movreld_b32_e32 v34, v78
	global_store_b32 v[76:77], v78, off
	s_cbranch_scc1 .LBB37_21
.LBB37_32:                              ;   Parent Loop BB37_5 Depth=1
                                        ;     Parent Loop BB37_19 Depth=2
                                        ;       Parent Loop BB37_22 Depth=3
                                        ; =>      This Loop Header: Depth=4
                                        ;           Child Loop BB37_34 Depth 5
	s_cmp_eq_u32 s24, 0
	s_cbranch_scc1 .LBB37_30
; %bb.33:                               ;   in Loop: Header=BB37_32 Depth=4
	s_add_co_i32 s26, s24, s14
	s_mov_b64 s[28:29], 0
	s_mov_b32 s27, s18
.LBB37_34:                              ;   Parent Loop BB37_5 Depth=1
                                        ;     Parent Loop BB37_19 Depth=2
                                        ;       Parent Loop BB37_22 Depth=3
                                        ;         Parent Loop BB37_32 Depth=4
                                        ; =>        This Inner Loop Header: Depth=5
	s_wait_xcnt 0x0
	v_mov_b32_e32 v76, s27
	s_mov_b32 m0, s28
	s_add_nc_u64 s[28:29], s[28:29], 1
	v_movrels_b32_e32 v77, v34
	s_mov_b32 m0, s24
	ds_load_b32 v76, v76
	v_movrels_b32_e32 v78, v34
	s_add_co_i32 s27, s27, 4
	s_cmp_eq_u32 s24, s28
	s_wait_dscnt 0x0
	s_delay_alu instid0(VALU_DEP_1) | instskip(NEXT) | instid1(VALU_DEP_1)
	v_fma_f32 v76, -v77, v76, v78
	v_movreld_b32_e32 v34, v76
	s_cbranch_scc0 .LBB37_34
; %bb.35:                               ;   in Loop: Header=BB37_32 Depth=4
	s_mov_b64 s[28:29], s[24:25]
	s_branch .LBB37_31
.LBB37_36:                              ;   in Loop: Header=BB37_19 Depth=2
	s_cmp_lt_i32 s14, s33
	s_cselect_b32 s16, -1, 0
	s_add_co_i32 s15, s3, 1
	s_cmp_lt_u32 s3, 2
	s_wait_xcnt 0x0
	s_cselect_b32 s3, -1, 0
	s_delay_alu instid0(SALU_CYCLE_1) | instskip(NEXT) | instid1(SALU_CYCLE_1)
	s_and_b32 s3, s16, s3
	s_and_b32 vcc_lo, exec_lo, s3
	s_cbranch_vccz .LBB37_38
; %bb.37:                               ;   in Loop: Header=BB37_19 Depth=2
	s_mov_b32 s3, s15
	s_branch .LBB37_19
.LBB37_38:                              ;   in Loop: Header=BB37_5 Depth=1
	s_mov_b32 s3, 0
.LBB37_39:                              ;   in Loop: Header=BB37_5 Depth=1
	s_delay_alu instid0(SALU_CYCLE_1)
	s_and_b32 vcc_lo, exec_lo, s3
	s_cbranch_vccz .LBB37_3
; %bb.40:                               ;   in Loop: Header=BB37_5 Depth=1
	v_add_nc_u64_e32 v[34:35], s[12:13], v[68:69]
	s_mov_b32 s3, 0
	s_mov_b32 s12, s34
	s_load_b32 s18, s[4:5], s3 offset:0x0 scale_offset
	s_wait_kmcnt 0x0
	s_add_co_i32 s26, s18, -1
	s_delay_alu instid0(SALU_CYCLE_1)
	s_cmp_lt_i32 s12, s26
	s_cbranch_scc1 .LBB37_56
.LBB37_41:                              ;   in Loop: Header=BB37_5 Depth=1
	s_lshl_b32 s13, s12, 2
	s_lshl_b32 s14, s18, 2
	s_max_i32 s27, s18, 1
	s_add_co_i32 s28, s40, s13
	s_sub_co_i32 s29, 0, s14
	s_mul_i32 s43, s12, 0x84
	s_mul_i32 s44, s18, 0xffffff7c
	s_branch .LBB37_43
.LBB37_42:                              ;   in Loop: Header=BB37_43 Depth=2
	s_sub_co_i32 s12, s12, s18
	s_add_co_i32 s28, s28, s29
	s_add_co_i32 s43, s43, s44
	s_cmp_lt_i32 s12, s26
	s_cbranch_scc1 .LBB37_56
.LBB37_43:                              ;   Parent Loop BB37_5 Depth=1
                                        ; =>  This Loop Header: Depth=2
                                        ;       Child Loop BB37_44 Depth 3
                                        ;       Child Loop BB37_46 Depth 3
                                        ;         Child Loop BB37_47 Depth 4
                                        ;       Child Loop BB37_52 Depth 3
                                        ;         Child Loop BB37_54 Depth 4
	s_ashr_i32 s13, s12, 31
	s_mov_b64 s[14:15], 0
	s_wait_xcnt 0x0
	v_lshl_add_u64 v[36:37], s[12:13], 2, v[34:35]
.LBB37_44:                              ;   Parent Loop BB37_5 Depth=1
                                        ;     Parent Loop BB37_43 Depth=2
                                        ; =>    This Inner Loop Header: Depth=3
	global_load_b32 v38, v[36:37], off
	s_wait_xcnt 0x0
	v_add_nc_u64_e32 v[36:37], -4, v[36:37]
	s_mov_b32 m0, s14
	s_add_nc_u64 s[14:15], s[14:15], 1
	s_delay_alu instid0(SALU_CYCLE_1) | instskip(SKIP_2) | instid1(VALU_DEP_1)
	s_cmp_eq_u32 s27, s14
	s_wait_loadcnt 0x0
	v_mul_f32_e32 v38, s31, v38
	v_movreld_b32_e32 v2, v38
	s_cbranch_scc0 .LBB37_44
; %bb.45:                               ;   in Loop: Header=BB37_43 Depth=2
	s_cmp_le_i32 s34, s12
	s_mov_b32 s22, s28
	s_mov_b32 s14, s34
	s_cbranch_scc1 .LBB37_49
.LBB37_46:                              ;   Parent Loop BB37_5 Depth=1
                                        ;     Parent Loop BB37_43 Depth=2
                                        ; =>    This Loop Header: Depth=3
                                        ;         Child Loop BB37_47 Depth 4
	s_ashr_i32 s15, s14, 31
	s_mov_b64 s[16:17], 0
	v_lshl_add_u64 v[36:37], s[14:15], 2, v[70:71]
	s_mov_b32 s15, s22
	global_load_b32 v36, v[36:37], off
.LBB37_47:                              ;   Parent Loop BB37_5 Depth=1
                                        ;     Parent Loop BB37_43 Depth=2
                                        ;       Parent Loop BB37_46 Depth=3
                                        ; =>      This Inner Loop Header: Depth=4
	s_wait_xcnt 0x0
	v_mov_b32_e32 v37, s15
	s_mov_b32 m0, s16
	s_add_nc_u64 s[16:17], s[16:17], 1
	v_movrels_b32_e32 v38, v2
	s_add_co_i32 s15, s15, -4
	ds_load_b32 v37, v37
	s_cmp_eq_u32 s27, s16
	s_wait_loadcnt_dscnt 0x0
	v_fma_f32 v37, -v36, v37, v38
	s_delay_alu instid0(VALU_DEP_1)
	v_movreld_b32_e32 v2, v37
	s_cbranch_scc0 .LBB37_47
; %bb.48:                               ;   in Loop: Header=BB37_46 Depth=3
	s_add_co_i32 s14, s14, -1
	s_addk_co_i32 s22, 0xff80
	s_cmp_le_i32 s14, s12
	s_cbranch_scc0 .LBB37_46
.LBB37_49:                              ;   in Loop: Header=BB37_43 Depth=2
	s_mov_b64 s[14:15], 0
	s_mov_b32 s45, s43
	s_branch .LBB37_52
.LBB37_50:                              ;   in Loop: Header=BB37_52 Depth=3
	s_mov_b32 s16, s12
	s_mov_b64 s[24:25], 0
	s_mov_b64 s[22:23], s[12:13]
.LBB37_51:                              ;   in Loop: Header=BB37_52 Depth=3
	s_mulk_i32 s16, 0x84
	s_mov_b32 m0, s24
	s_wait_xcnt 0x0
	v_mov_b32_e32 v36, s16
	v_movrels_b32_e32 v37, v2
	s_add_nc_u64 s[14:15], s[14:15], 1
	s_add_co_i32 s45, s45, -4
	s_cmp_eq_u32 s14, s27
	ds_load_b32 v36, v36
	s_wait_dscnt 0x0
	v_mul_f32_e32 v38, v37, v36
	v_lshl_add_u64 v[36:37], s[22:23], 2, v[70:71]
	s_delay_alu instid0(VALU_DEP_2)
	v_movreld_b32_e32 v2, v38
	global_store_b32 v[36:37], v38, off
	s_cbranch_scc1 .LBB37_42
.LBB37_52:                              ;   Parent Loop BB37_5 Depth=1
                                        ;     Parent Loop BB37_43 Depth=2
                                        ; =>    This Loop Header: Depth=3
                                        ;         Child Loop BB37_54 Depth 4
	s_cmp_eq_u32 s14, 0
	s_cbranch_scc1 .LBB37_50
; %bb.53:                               ;   in Loop: Header=BB37_52 Depth=3
	s_mov_b64 s[16:17], 0
	s_mov_b32 s22, s45
.LBB37_54:                              ;   Parent Loop BB37_5 Depth=1
                                        ;     Parent Loop BB37_43 Depth=2
                                        ;       Parent Loop BB37_52 Depth=3
                                        ; =>      This Inner Loop Header: Depth=4
	s_wait_xcnt 0x0
	v_mov_b32_e32 v36, s22
	s_mov_b32 m0, s16
	s_add_nc_u64 s[16:17], s[16:17], 1
	v_movrels_b32_e32 v37, v2
	s_mov_b32 m0, s14
	ds_load_b32 v36, v36
	v_movrels_b32_e32 v38, v2
	s_addk_co_i32 s22, 0xff80
	s_cmp_eq_u32 s14, s16
	s_wait_dscnt 0x0
	s_delay_alu instid0(VALU_DEP_1) | instskip(NEXT) | instid1(VALU_DEP_1)
	v_fma_f32 v36, -v37, v36, v38
	v_movreld_b32_e32 v2, v36
	s_cbranch_scc0 .LBB37_54
; %bb.55:                               ;   in Loop: Header=BB37_52 Depth=3
	s_sub_co_i32 s16, s12, s14
	s_mov_b64 s[24:25], s[14:15]
	s_ashr_i32 s17, s16, 31
	s_delay_alu instid0(SALU_CYCLE_1)
	s_mov_b64 s[22:23], s[16:17]
	s_branch .LBB37_51
.LBB37_56:                              ;   Parent Loop BB37_5 Depth=1
                                        ; =>  This Inner Loop Header: Depth=2
	s_cmp_gt_i32 s12, -1
	s_cselect_b32 s14, -1, 0
	s_add_co_i32 s13, s3, 1
	s_cmp_lt_u32 s3, 2
	s_cselect_b32 s3, -1, 0
	s_delay_alu instid0(SALU_CYCLE_1) | instskip(NEXT) | instid1(SALU_CYCLE_1)
	s_and_b32 s3, s14, s3
	s_and_not1_b32 vcc_lo, exec_lo, s3
	s_cbranch_vccnz .LBB37_2
; %bb.57:                               ;   in Loop: Header=BB37_56 Depth=2
	s_mov_b32 s3, s13
	s_load_b32 s18, s[4:5], s3 offset:0x0 scale_offset
	s_wait_kmcnt 0x0
	s_add_co_i32 s26, s18, -1
	s_delay_alu instid0(SALU_CYCLE_1)
	s_cmp_lt_i32 s12, s26
	s_cbranch_scc0 .LBB37_41
	s_branch .LBB37_56
.LBB37_58:
	s_sendmsg sendmsg(MSG_DEALLOC_VGPRS)
	s_endpgm
	.section	.rodata,"a",@progbits
	.p2align	6, 0x0
	.amdhsa_kernel _ZL30rocblas_trsm_small_left_deviceILi32ELi32ELb0EffPKfPfEv13rocblas_fill_18rocblas_operation_17rocblas_diagonal_iiT3_T4_lilT5_lili
		.amdhsa_group_segment_fixed_size 4096
		.amdhsa_private_segment_fixed_size 0
		.amdhsa_kernarg_size 352
		.amdhsa_user_sgpr_count 2
		.amdhsa_user_sgpr_dispatch_ptr 0
		.amdhsa_user_sgpr_queue_ptr 0
		.amdhsa_user_sgpr_kernarg_segment_ptr 1
		.amdhsa_user_sgpr_dispatch_id 0
		.amdhsa_user_sgpr_kernarg_preload_length 0
		.amdhsa_user_sgpr_kernarg_preload_offset 0
		.amdhsa_user_sgpr_private_segment_size 0
		.amdhsa_wavefront_size32 1
		.amdhsa_uses_dynamic_stack 0
		.amdhsa_enable_private_segment 0
		.amdhsa_system_sgpr_workgroup_id_x 1
		.amdhsa_system_sgpr_workgroup_id_y 0
		.amdhsa_system_sgpr_workgroup_id_z 1
		.amdhsa_system_sgpr_workgroup_info 0
		.amdhsa_system_vgpr_workitem_id 0
		.amdhsa_next_free_vgpr 79
		.amdhsa_next_free_sgpr 47
		.amdhsa_named_barrier_count 0
		.amdhsa_reserve_vcc 1
		.amdhsa_float_round_mode_32 0
		.amdhsa_float_round_mode_16_64 0
		.amdhsa_float_denorm_mode_32 3
		.amdhsa_float_denorm_mode_16_64 3
		.amdhsa_fp16_overflow 0
		.amdhsa_memory_ordered 1
		.amdhsa_forward_progress 1
		.amdhsa_inst_pref_size 19
		.amdhsa_round_robin_scheduling 0
		.amdhsa_exception_fp_ieee_invalid_op 0
		.amdhsa_exception_fp_denorm_src 0
		.amdhsa_exception_fp_ieee_div_zero 0
		.amdhsa_exception_fp_ieee_overflow 0
		.amdhsa_exception_fp_ieee_underflow 0
		.amdhsa_exception_fp_ieee_inexact 0
		.amdhsa_exception_int_div_zero 0
	.end_amdhsa_kernel
	.section	.text._ZL30rocblas_trsm_small_left_deviceILi32ELi32ELb0EffPKfPfEv13rocblas_fill_18rocblas_operation_17rocblas_diagonal_iiT3_T4_lilT5_lili,"axG",@progbits,_ZL30rocblas_trsm_small_left_deviceILi32ELi32ELb0EffPKfPfEv13rocblas_fill_18rocblas_operation_17rocblas_diagonal_iiT3_T4_lilT5_lili,comdat
.Lfunc_end37:
	.size	_ZL30rocblas_trsm_small_left_deviceILi32ELi32ELb0EffPKfPfEv13rocblas_fill_18rocblas_operation_17rocblas_diagonal_iiT3_T4_lilT5_lili, .Lfunc_end37-_ZL30rocblas_trsm_small_left_deviceILi32ELi32ELb0EffPKfPfEv13rocblas_fill_18rocblas_operation_17rocblas_diagonal_iiT3_T4_lilT5_lili
                                        ; -- End function
	.set _ZL30rocblas_trsm_small_left_deviceILi32ELi32ELb0EffPKfPfEv13rocblas_fill_18rocblas_operation_17rocblas_diagonal_iiT3_T4_lilT5_lili.num_vgpr, 79
	.set _ZL30rocblas_trsm_small_left_deviceILi32ELi32ELb0EffPKfPfEv13rocblas_fill_18rocblas_operation_17rocblas_diagonal_iiT3_T4_lilT5_lili.num_agpr, 0
	.set _ZL30rocblas_trsm_small_left_deviceILi32ELi32ELb0EffPKfPfEv13rocblas_fill_18rocblas_operation_17rocblas_diagonal_iiT3_T4_lilT5_lili.numbered_sgpr, 47
	.set _ZL30rocblas_trsm_small_left_deviceILi32ELi32ELb0EffPKfPfEv13rocblas_fill_18rocblas_operation_17rocblas_diagonal_iiT3_T4_lilT5_lili.num_named_barrier, 0
	.set _ZL30rocblas_trsm_small_left_deviceILi32ELi32ELb0EffPKfPfEv13rocblas_fill_18rocblas_operation_17rocblas_diagonal_iiT3_T4_lilT5_lili.private_seg_size, 0
	.set _ZL30rocblas_trsm_small_left_deviceILi32ELi32ELb0EffPKfPfEv13rocblas_fill_18rocblas_operation_17rocblas_diagonal_iiT3_T4_lilT5_lili.uses_vcc, 1
	.set _ZL30rocblas_trsm_small_left_deviceILi32ELi32ELb0EffPKfPfEv13rocblas_fill_18rocblas_operation_17rocblas_diagonal_iiT3_T4_lilT5_lili.uses_flat_scratch, 0
	.set _ZL30rocblas_trsm_small_left_deviceILi32ELi32ELb0EffPKfPfEv13rocblas_fill_18rocblas_operation_17rocblas_diagonal_iiT3_T4_lilT5_lili.has_dyn_sized_stack, 0
	.set _ZL30rocblas_trsm_small_left_deviceILi32ELi32ELb0EffPKfPfEv13rocblas_fill_18rocblas_operation_17rocblas_diagonal_iiT3_T4_lilT5_lili.has_recursion, 0
	.set _ZL30rocblas_trsm_small_left_deviceILi32ELi32ELb0EffPKfPfEv13rocblas_fill_18rocblas_operation_17rocblas_diagonal_iiT3_T4_lilT5_lili.has_indirect_call, 0
	.section	.AMDGPU.csdata,"",@progbits
; Kernel info:
; codeLenInByte = 2344
; TotalNumSgprs: 49
; NumVgprs: 79
; ScratchSize: 0
; MemoryBound: 0
; FloatMode: 240
; IeeeMode: 1
; LDSByteSize: 4096 bytes/workgroup (compile time only)
; SGPRBlocks: 0
; VGPRBlocks: 4
; NumSGPRsForWavesPerEU: 49
; NumVGPRsForWavesPerEU: 79
; NamedBarCnt: 0
; Occupancy: 12
; WaveLimiterHint : 0
; COMPUTE_PGM_RSRC2:SCRATCH_EN: 0
; COMPUTE_PGM_RSRC2:USER_SGPR: 2
; COMPUTE_PGM_RSRC2:TRAP_HANDLER: 0
; COMPUTE_PGM_RSRC2:TGID_X_EN: 1
; COMPUTE_PGM_RSRC2:TGID_Y_EN: 0
; COMPUTE_PGM_RSRC2:TGID_Z_EN: 1
; COMPUTE_PGM_RSRC2:TIDIG_COMP_CNT: 0
	.section	.text._ZL38rocblas_trsm_small_left_device_sharedBILi32ELi32ELb1EffPKfPfEv13rocblas_fill_18rocblas_operation_17rocblas_diagonal_iiT3_T4_lilT5_lili,"axG",@progbits,_ZL38rocblas_trsm_small_left_device_sharedBILi32ELi32ELb1EffPKfPfEv13rocblas_fill_18rocblas_operation_17rocblas_diagonal_iiT3_T4_lilT5_lili,comdat
	.globl	_ZL38rocblas_trsm_small_left_device_sharedBILi32ELi32ELb1EffPKfPfEv13rocblas_fill_18rocblas_operation_17rocblas_diagonal_iiT3_T4_lilT5_lili ; -- Begin function _ZL38rocblas_trsm_small_left_device_sharedBILi32ELi32ELb1EffPKfPfEv13rocblas_fill_18rocblas_operation_17rocblas_diagonal_iiT3_T4_lilT5_lili
	.p2align	8
	.type	_ZL38rocblas_trsm_small_left_device_sharedBILi32ELi32ELb1EffPKfPfEv13rocblas_fill_18rocblas_operation_17rocblas_diagonal_iiT3_T4_lilT5_lili,@function
_ZL38rocblas_trsm_small_left_device_sharedBILi32ELi32ELb1EffPKfPfEv13rocblas_fill_18rocblas_operation_17rocblas_diagonal_iiT3_T4_lilT5_lili: ; @_ZL38rocblas_trsm_small_left_device_sharedBILi32ELi32ELb1EffPKfPfEv13rocblas_fill_18rocblas_operation_17rocblas_diagonal_iiT3_T4_lilT5_lili
; %bb.0:
	s_load_b32 s19, s[0:1], 0x58
	s_bfe_u32 s2, ttmp6, 0x40014
	s_lshr_b32 s3, ttmp7, 16
	s_add_co_i32 s2, s2, 1
	s_bfe_u32 s4, ttmp6, 0x40008
	s_mul_i32 s2, s3, s2
	s_getreg_b32 s21, hwreg(HW_REG_IB_STS2, 6, 4)
	s_add_co_i32 s4, s4, s2
	s_cmp_eq_u32 s21, 0
	s_cselect_b32 s2, s3, s4
	s_mov_b32 s3, 0
	s_wait_kmcnt 0x0
	s_cmp_ge_u32 s2, s19
	s_cbranch_scc1 .LBB38_71
; %bb.1:
	s_clause 0x7
	s_load_b32 s22, s[0:1], 0x28
	s_load_b96 s[16:18], s[0:1], 0x40
	s_load_b128 s[12:15], s[0:1], 0x4
	s_load_b32 s26, s[0:1], 0x60
	s_load_b128 s[4:7], s[0:1], 0x18
	s_load_b128 s[8:11], s[0:1], 0x30
	s_load_b64 s[24:25], s[0:1], 0x50
	s_load_b32 s20, s[0:1], 0x14
	v_dual_lshlrev_b32 v66, 2, v0 :: v_dual_lshlrev_b32 v34, 7, v0
	s_delay_alu instid0(VALU_DEP_1) | instskip(SKIP_2) | instid1(SALU_CYCLE_1)
	v_or_b32_e32 v72, 0x1000, v66
	s_wait_kmcnt 0x0
	s_ashr_i32 s23, s22, 31
	s_cmp_eq_u64 s[22:23], 1
	s_cselect_b32 s0, -1, 0
	s_bfe_u32 s27, ttmp6, 0x4000c
	s_min_i32 s1, s14, 32
	s_add_co_i32 s27, s27, 1
	s_and_b32 s29, ttmp6, 15
	s_mul_i32 s27, ttmp9, s27
	s_ashr_i32 s37, s18, 31
	s_add_co_i32 s28, s26, -1
	s_add_co_i32 s26, s1, -1
	s_add_co_i32 s29, s29, s27
	s_cmp_eq_u32 s21, 0
	s_cselect_b32 s21, ttmp9, s29
	s_delay_alu instid0(SALU_CYCLE_1) | instskip(NEXT) | instid1(SALU_CYCLE_1)
	s_lshl_b32 s38, s21, 5
	s_sub_co_i32 s15, s15, s38
	s_cmp_ge_u32 s21, s28
	s_mov_b32 s21, s20
	s_cselect_b32 s15, s15, 32
	s_ashr_i32 s39, s38, 31
	s_cmp_lg_u32 s13, 0x84
	v_cmp_gt_i32_e32 vcc_lo, s15, v0
	s_cselect_b32 s27, -1, 0
	s_cmp_gt_i32 s14, 0
	s_cselect_b32 s13, -1, 0
	s_cmp_lg_u32 s12, 0x6f
	s_cselect_b32 s28, -1, 0
	s_and_b32 s29, vcc_lo, s13
	s_cmp_gt_u32 s1, 1
	s_cselect_b32 s12, -1, 0
	s_and_b32 s30, s1, -2
	s_and_b32 s31, s12, s0
	s_cmp_lg_u32 s1, s30
	v_cmp_gt_i32_e64 s0, s1, v0
	s_cselect_b32 s33, -1, 0
	s_cmp_gt_i32 s14, 1
	s_cselect_b32 s34, -1, 0
	s_and_b32 s35, s1, 62
	s_delay_alu instid0(SALU_CYCLE_1) | instskip(SKIP_2) | instid1(SALU_CYCLE_1)
	s_cmp_lg_u32 s1, s35
	s_cselect_b32 s36, -1, 0
	s_lshl_b64 s[12:13], s[38:39], 2
	v_dual_mov_b32 v67, 0 :: v_dual_bitop2_b32 v29, s12, v66 bitop3:0x54
	s_lshl_b64 s[14:15], s[16:17], 2
	s_delay_alu instid0(SALU_CYCLE_1) | instskip(NEXT) | instid1(VALU_DEP_1)
	s_add_nc_u64 s[10:11], s[10:11], s[14:15]
	v_dual_mov_b32 v2, v67 :: v_dual_mov_b32 v3, v67
	s_delay_alu instid0(VALU_DEP_2)
	v_mad_nc_u64_u32 v[68:69], v29, s18, s[10:11]
	s_lshl_b64 s[10:11], s[6:7], 2
	s_lshl_b64 s[6:7], s[8:9], 2
	s_add_nc_u64 s[8:9], s[4:5], s[10:11]
	v_dual_mov_b32 v4, v67 :: v_dual_mov_b32 v5, v67
	v_add_nc_u64_e32 v[0:1], s[8:9], v[66:67]
	v_dual_mov_b32 v6, v67 :: v_dual_mov_b32 v7, v67
	v_dual_mov_b32 v8, v67 :: v_dual_mov_b32 v9, v67
	v_mad_u32 v30, s13, s18, v69
	v_dual_mov_b32 v10, v67 :: v_dual_mov_b32 v11, v67
	v_dual_mov_b32 v12, v67 :: v_dual_mov_b32 v13, v67
	v_dual_mov_b32 v14, v67 :: v_dual_mov_b32 v15, v67
	v_dual_mov_b32 v16, v67 :: v_dual_mov_b32 v17, v67
	v_dual_mov_b32 v18, v67 :: v_dual_mov_b32 v19, v67
	v_mad_u32 v69, v29, s37, v30
	v_dual_mov_b32 v20, v67 :: v_dual_mov_b32 v21, v67
	v_dual_mov_b32 v22, v67 :: v_dual_mov_b32 v23, v67
	;; [unrolled: 1-line block ×7, first 2 shown]
	v_add_nc_u32_e32 v67, v66, v34
	s_lshl_b32 s18, s1, 2
	s_lshl_b64 s[4:5], s[22:23], 2
	s_lshl_b64 s[10:11], s[24:25], 2
	s_add_co_i32 s18, s18, -4
	s_get_pc_i64 s[8:9]
	s_add_nc_u64 s[8:9], s[8:9], __const._ZL38rocblas_trsm_small_left_device_sharedBILi32ELi32ELb1EffPKfPfEv13rocblas_fill_18rocblas_operation_17rocblas_diagonal_iiT3_T4_lilT5_lili.step_sizes@rel64+4
	s_branch .LBB38_3
.LBB38_2:                               ;   in Loop: Header=BB38_3 Depth=1
	s_or_b32 exec_lo, exec_lo, s14
	s_add_co_i32 s2, s2, 0x10000
	s_delay_alu instid0(SALU_CYCLE_1)
	s_cmp_lt_u32 s2, s19
	s_cbranch_scc0 .LBB38_71
.LBB38_3:                               ; =>This Loop Header: Depth=1
                                        ;     Child Loop BB38_6 Depth 2
                                        ;     Child Loop BB38_10 Depth 2
	;; [unrolled: 1-line block ×5, first 2 shown]
                                        ;       Child Loop BB38_27 Depth 3
                                        ;       Child Loop BB38_29 Depth 3
                                        ;         Child Loop BB38_30 Depth 4
                                        ;       Child Loop BB38_35 Depth 3
                                        ;         Child Loop BB38_37 Depth 4
                                        ;     Child Loop BB38_39 Depth 2
                                        ;     Child Loop BB38_44 Depth 2
                                        ;       Child Loop BB38_47 Depth 3
                                        ;         Child Loop BB38_48 Depth 4
                                        ;         Child Loop BB38_51 Depth 4
                                        ;           Child Loop BB38_52 Depth 5
                                        ;         Child Loop BB38_57 Depth 4
                                        ;           Child Loop BB38_59 Depth 5
                                        ;     Child Loop BB38_66 Depth 2
                                        ;     Child Loop BB38_70 Depth 2
	s_and_saveexec_b32 s16, s0
	s_cbranch_execz .LBB38_14
; %bb.4:                                ;   in Loop: Header=BB38_3 Depth=1
	s_and_not1_b32 vcc_lo, exec_lo, s31
	s_mul_u64 s[12:13], s[6:7], s[2:3]
	s_cbranch_vccnz .LBB38_8
; %bb.5:                                ;   in Loop: Header=BB38_3 Depth=1
	v_add_nc_u64_e32 v[34:35], s[12:13], v[0:1]
	s_mov_b32 s15, 1
	s_mov_b32 s17, 0
	s_mov_b32 s22, s30
.LBB38_6:                               ;   Parent Loop BB38_3 Depth=1
                                        ; =>  This Inner Loop Header: Depth=2
	global_load_b64 v[36:37], v[34:35], off
	s_wait_xcnt 0x0
	v_add_nc_u64_e32 v[34:35], 8, v[34:35]
	v_lshl_or_b32 v38, s17, 7, v66
	v_lshl_or_b32 v39, s15, 7, v66
	s_add_co_i32 s22, s22, -2
	s_add_co_i32 s17, s17, 2
	s_add_co_i32 s15, s15, 2
	s_mov_b32 s14, s30
	s_mov_b32 s23, s33
	s_cmp_lg_u32 s22, 0
	s_wait_loadcnt 0x0
	ds_store_b32 v38, v36
	ds_store_b32 v39, v37
	s_cbranch_scc1 .LBB38_6
; %bb.7:                                ;   in Loop: Header=BB38_3 Depth=1
	s_and_b32 vcc_lo, exec_lo, s23
	s_cbranch_vccnz .LBB38_9
	s_branch .LBB38_11
.LBB38_8:                               ;   in Loop: Header=BB38_3 Depth=1
	s_wait_xcnt 0x0
	s_mov_b32 s14, 0
	s_cbranch_execz .LBB38_11
.LBB38_9:                               ;   in Loop: Header=BB38_3 Depth=1
	s_mov_b32 s15, s3
	v_lshl_or_b32 v36, s14, 7, v66
	s_mul_u64 s[22:23], s[4:5], s[14:15]
	s_delay_alu instid0(SALU_CYCLE_1) | instskip(NEXT) | instid1(SALU_CYCLE_1)
	s_add_nc_u64 s[12:13], s[22:23], s[12:13]
	v_add_nc_u64_e32 v[34:35], s[12:13], v[0:1]
	s_sub_co_i32 s12, s1, s14
.LBB38_10:                              ;   Parent Loop BB38_3 Depth=1
                                        ; =>  This Inner Loop Header: Depth=2
	global_load_b32 v37, v[34:35], off
	s_wait_xcnt 0x0
	v_add_nc_u64_e32 v[34:35], s[4:5], v[34:35]
	s_add_co_i32 s12, s12, -1
	s_delay_alu instid0(SALU_CYCLE_1)
	s_cmp_eq_u32 s12, 0
	s_wait_loadcnt 0x0
	ds_store_b32 v36, v37
	v_add_nc_u32_e32 v36, 0x80, v36
	s_cbranch_scc0 .LBB38_10
.LBB38_11:                              ;   in Loop: Header=BB38_3 Depth=1
	v_mov_b32_e32 v34, 1.0
	s_and_b32 vcc_lo, exec_lo, s27
	s_cbranch_vccz .LBB38_13
; %bb.12:                               ;   in Loop: Header=BB38_3 Depth=1
	ds_load_b32 v34, v67
	s_wait_dscnt 0x0
	v_div_scale_f32 v35, null, v34, v34, 1.0
	s_delay_alu instid0(VALU_DEP_1) | instskip(SKIP_1) | instid1(TRANS32_DEP_1)
	v_rcp_f32_e32 v36, v35
	v_nop
	v_fma_f32 v37, -v35, v36, 1.0
	s_delay_alu instid0(VALU_DEP_1) | instskip(SKIP_1) | instid1(VALU_DEP_1)
	v_fmac_f32_e32 v36, v37, v36
	v_div_scale_f32 v37, vcc_lo, 1.0, v34, 1.0
	v_mul_f32_e32 v38, v37, v36
	s_delay_alu instid0(VALU_DEP_1) | instskip(NEXT) | instid1(VALU_DEP_1)
	v_fma_f32 v39, -v35, v38, v37
	v_fmac_f32_e32 v38, v39, v36
	s_delay_alu instid0(VALU_DEP_1) | instskip(NEXT) | instid1(VALU_DEP_1)
	v_fma_f32 v35, -v35, v38, v37
	v_div_fmas_f32 v35, v35, v36, v38
	s_delay_alu instid0(VALU_DEP_1)
	v_div_fixup_f32 v34, v35, v34, 1.0
.LBB38_13:                              ;   in Loop: Header=BB38_3 Depth=1
	ds_store_b32 v67, v34
.LBB38_14:                              ;   in Loop: Header=BB38_3 Depth=1
	s_or_b32 exec_lo, exec_lo, s16
	s_mul_u64 s[12:13], s[10:11], s[2:3]
	s_delay_alu instid0(SALU_CYCLE_1)
	v_add_nc_u64_e32 v[70:71], s[12:13], v[68:69]
	s_and_saveexec_b32 s14, s29
	s_cbranch_execz .LBB38_22
; %bb.15:                               ;   in Loop: Header=BB38_3 Depth=1
	s_and_not1_b32 vcc_lo, exec_lo, s34
	s_cbranch_vccnz .LBB38_19
; %bb.16:                               ;   in Loop: Header=BB38_3 Depth=1
	s_delay_alu instid0(VALU_DEP_1)
	v_mov_b64_e32 v[34:35], v[70:71]
	s_mov_b32 s15, 1
	s_mov_b32 s16, 0
	s_mov_b32 s17, s35
.LBB38_17:                              ;   Parent Loop BB38_3 Depth=1
                                        ; =>  This Inner Loop Header: Depth=2
	global_load_b64 v[36:37], v[34:35], off
	v_mov_b64_e32 v[38:39], s[20:21]
	s_wait_xcnt 0x0
	v_add_nc_u64_e32 v[34:35], 8, v[34:35]
	v_lshl_add_u32 v40, s16, 7, v72
	v_lshl_add_u32 v41, s15, 7, v72
	s_add_co_i32 s17, s17, -2
	s_add_co_i32 s16, s16, 2
	s_add_co_i32 s15, s15, 2
	s_mov_b32 s22, s35
	s_mov_b32 s23, s36
	s_cmp_lg_u32 s17, 0
	s_wait_loadcnt 0x0
	v_pk_mul_f32 v[36:37], v[38:39], v[36:37]
	ds_store_b32 v40, v36
	ds_store_b32 v41, v37
	s_cbranch_scc1 .LBB38_17
; %bb.18:                               ;   in Loop: Header=BB38_3 Depth=1
	s_and_b32 vcc_lo, exec_lo, s23
	s_cbranch_vccnz .LBB38_20
	s_branch .LBB38_22
.LBB38_19:                              ;   in Loop: Header=BB38_3 Depth=1
	s_wait_xcnt 0x0
	s_mov_b32 s22, 0
	s_cbranch_execz .LBB38_22
.LBB38_20:                              ;   in Loop: Header=BB38_3 Depth=1
	s_lshl_b32 s16, s22, 2
	s_mov_b32 s17, s3
	v_lshl_add_u32 v36, s22, 7, v72
	s_add_nc_u64 s[16:17], s[12:13], s[16:17]
	s_sub_co_i32 s15, s1, s22
	v_add_nc_u64_e32 v[34:35], s[16:17], v[68:69]
.LBB38_21:                              ;   Parent Loop BB38_3 Depth=1
                                        ; =>  This Inner Loop Header: Depth=2
	global_load_b32 v37, v[34:35], off
	s_wait_xcnt 0x0
	v_add_nc_u64_e32 v[34:35], 4, v[34:35]
	s_add_co_i32 s15, s15, -1
	s_delay_alu instid0(SALU_CYCLE_1)
	s_cmp_lg_u32 s15, 0
	s_wait_loadcnt 0x0
	v_mul_f32_e32 v37, s20, v37
	ds_store_b32 v36, v37
	v_add_nc_u32_e32 v36, 0x80, v36
	s_cbranch_scc1 .LBB38_21
.LBB38_22:                              ;   in Loop: Header=BB38_3 Depth=1
	s_or_b32 exec_lo, exec_lo, s14
	s_delay_alu instid0(SALU_CYCLE_1)
	s_and_not1_b32 vcc_lo, exec_lo, s28
	s_mov_b32 s14, -1
	s_wait_dscnt 0x0
	; wave barrier
                                        ; implicit-def: $vgpr34_vgpr35_vgpr36_vgpr37_vgpr38_vgpr39_vgpr40_vgpr41_vgpr42_vgpr43_vgpr44_vgpr45_vgpr46_vgpr47_vgpr48_vgpr49_vgpr50_vgpr51_vgpr52_vgpr53_vgpr54_vgpr55_vgpr56_vgpr57_vgpr58_vgpr59_vgpr60_vgpr61_vgpr62_vgpr63_vgpr64_vgpr65
	s_cbranch_vccnz .LBB38_42
; %bb.23:                               ;   in Loop: Header=BB38_3 Depth=1
	v_mov_b64_e32 v[64:65], v[32:33]
	v_mov_b64_e32 v[62:63], v[30:31]
	;; [unrolled: 1-line block ×16, first 2 shown]
	s_wait_xcnt 0x0
	s_mov_b32 s23, 0
	s_mov_b32 s22, s26
	s_load_b32 s24, s[8:9], s23 offset:0x0 scale_offset
	s_wait_kmcnt 0x0
	s_add_co_i32 s25, s24, -1
	s_delay_alu instid0(SALU_CYCLE_1)
	s_cmp_lt_i32 s22, s25
	s_cbranch_scc1 .LBB38_39
.LBB38_24:                              ;   in Loop: Header=BB38_3 Depth=1
	s_lshl_b32 s14, s22, 7
	s_lshl_b32 s15, s24, 7
	v_add_nc_u32_e32 v73, s14, v72
	s_max_i32 s37, s24, 1
	s_sub_co_i32 s38, 0, s15
	s_add_co_i32 s39, s18, s14
	s_mul_i32 s40, s22, 0x84
	s_mul_i32 s41, s24, 0xffffff7c
	s_branch .LBB38_26
.LBB38_25:                              ;   in Loop: Header=BB38_26 Depth=2
	v_add_nc_u32_e32 v73, s38, v73
	s_sub_co_i32 s22, s22, s24
	s_add_co_i32 s39, s39, s38
	s_add_co_i32 s40, s40, s41
	s_cmp_lt_i32 s22, s25
	s_cbranch_scc1 .LBB38_39
.LBB38_26:                              ;   Parent Loop BB38_3 Depth=1
                                        ; =>  This Loop Header: Depth=2
                                        ;       Child Loop BB38_27 Depth 3
                                        ;       Child Loop BB38_29 Depth 3
                                        ;         Child Loop BB38_30 Depth 4
                                        ;       Child Loop BB38_35 Depth 3
                                        ;         Child Loop BB38_37 Depth 4
	v_mov_b32_e32 v74, v73
	s_mov_b64 s[14:15], 0
.LBB38_27:                              ;   Parent Loop BB38_3 Depth=1
                                        ;     Parent Loop BB38_26 Depth=2
                                        ; =>    This Inner Loop Header: Depth=3
	ds_load_b32 v75, v74
	v_add_nc_u32_e32 v74, 0xffffff80, v74
	s_mov_b32 m0, s14
	s_add_nc_u64 s[14:15], s[14:15], 1
	s_delay_alu instid0(SALU_CYCLE_1)
	s_cmp_eq_u32 s37, s14
	s_wait_dscnt 0x0
	v_movreld_b32_e32 v34, v75
	s_cbranch_scc0 .LBB38_27
; %bb.28:                               ;   in Loop: Header=BB38_26 Depth=2
	s_cmp_le_i32 s26, s22
	s_mov_b32 s16, s39
	s_mov_b32 s17, s26
	s_cbranch_scc1 .LBB38_32
.LBB38_29:                              ;   Parent Loop BB38_3 Depth=1
                                        ;     Parent Loop BB38_26 Depth=2
                                        ; =>    This Loop Header: Depth=3
                                        ;         Child Loop BB38_30 Depth 4
	v_lshl_add_u32 v74, s17, 7, v72
	s_mov_b64 s[14:15], 0
	s_mov_b32 s42, s16
	ds_load_b32 v74, v74
.LBB38_30:                              ;   Parent Loop BB38_3 Depth=1
                                        ;     Parent Loop BB38_26 Depth=2
                                        ;       Parent Loop BB38_29 Depth=3
                                        ; =>      This Inner Loop Header: Depth=4
	v_mov_b32_e32 v75, s42
	s_mov_b32 m0, s14
	s_add_nc_u64 s[14:15], s[14:15], 1
	v_movrels_b32_e32 v76, v34
	s_addk_co_i32 s42, 0xff80
	ds_load_b32 v75, v75
	s_cmp_eq_u32 s37, s14
	s_wait_dscnt 0x0
	v_fma_f32 v75, -v74, v75, v76
	s_delay_alu instid0(VALU_DEP_1)
	v_movreld_b32_e32 v34, v75
	s_cbranch_scc0 .LBB38_30
; %bb.31:                               ;   in Loop: Header=BB38_29 Depth=3
	s_add_co_i32 s17, s17, -1
	s_add_co_i32 s16, s16, -4
	s_cmp_le_i32 s17, s22
	s_cbranch_scc0 .LBB38_29
.LBB38_32:                              ;   in Loop: Header=BB38_26 Depth=2
	s_lshl_b32 s42, s22, 7
	s_mov_b64 s[14:15], 0
	s_mov_b32 s43, s40
	s_branch .LBB38_35
.LBB38_33:                              ;   in Loop: Header=BB38_35 Depth=3
	s_mov_b32 s45, s22
	s_mov_b64 s[16:17], 0
	s_mov_b32 s44, s42
.LBB38_34:                              ;   in Loop: Header=BB38_35 Depth=3
	s_mov_b32 m0, s16
	s_mul_i32 s16, s45, 0x84
	v_movrels_b32_e32 v75, v34
	v_mov_b32_e32 v74, s16
	s_add_nc_u64 s[14:15], s[14:15], 1
	s_addk_co_i32 s43, 0xff80
	s_cmp_eq_u32 s14, s37
	ds_load_b32 v74, v74
	s_wait_dscnt 0x0
	v_dual_mul_f32 v74, v75, v74 :: v_dual_add_nc_u32 v75, s44, v72
	s_delay_alu instid0(VALU_DEP_1)
	v_movreld_b32_e32 v34, v74
	ds_store_b32 v75, v74
	s_cbranch_scc1 .LBB38_25
.LBB38_35:                              ;   Parent Loop BB38_3 Depth=1
                                        ;     Parent Loop BB38_26 Depth=2
                                        ; =>    This Loop Header: Depth=3
                                        ;         Child Loop BB38_37 Depth 4
	s_cmp_eq_u32 s14, 0
	s_cbranch_scc1 .LBB38_33
; %bb.36:                               ;   in Loop: Header=BB38_35 Depth=3
	s_sub_co_i32 s45, s22, s14
	s_mov_b64 s[16:17], 0
	s_lshl_b32 s44, s45, 7
	s_mov_b32 s46, s43
.LBB38_37:                              ;   Parent Loop BB38_3 Depth=1
                                        ;     Parent Loop BB38_26 Depth=2
                                        ;       Parent Loop BB38_35 Depth=3
                                        ; =>      This Inner Loop Header: Depth=4
	s_delay_alu instid0(SALU_CYCLE_1)
	v_mov_b32_e32 v74, s46
	s_mov_b32 m0, s16
	s_add_nc_u64 s[16:17], s[16:17], 1
	v_movrels_b32_e32 v75, v34
	s_mov_b32 m0, s14
	ds_load_b32 v74, v74
	v_movrels_b32_e32 v76, v34
	s_add_co_i32 s46, s46, -4
	s_cmp_eq_u32 s14, s16
	s_wait_dscnt 0x0
	s_delay_alu instid0(VALU_DEP_1) | instskip(NEXT) | instid1(VALU_DEP_1)
	v_fma_f32 v74, -v75, v74, v76
	v_movreld_b32_e32 v34, v74
	s_cbranch_scc0 .LBB38_37
; %bb.38:                               ;   in Loop: Header=BB38_35 Depth=3
	s_mov_b64 s[16:17], s[14:15]
	s_branch .LBB38_34
.LBB38_39:                              ;   Parent Loop BB38_3 Depth=1
                                        ; =>  This Inner Loop Header: Depth=2
	s_cmp_gt_i32 s22, -1
	s_cselect_b32 s15, -1, 0
	s_add_co_i32 s14, s23, 1
	s_cmp_lt_u32 s23, 2
	s_cselect_b32 s16, -1, 0
	s_delay_alu instid0(SALU_CYCLE_1) | instskip(NEXT) | instid1(SALU_CYCLE_1)
	s_and_b32 s15, s15, s16
	s_and_b32 vcc_lo, exec_lo, s15
	s_cbranch_vccz .LBB38_41
; %bb.40:                               ;   in Loop: Header=BB38_39 Depth=2
	s_wait_xcnt 0x0
	s_mov_b32 s23, s14
	s_load_b32 s24, s[8:9], s23 offset:0x0 scale_offset
	s_wait_kmcnt 0x0
	s_add_co_i32 s25, s24, -1
	s_delay_alu instid0(SALU_CYCLE_1)
	s_cmp_lt_i32 s22, s25
	s_cbranch_scc0 .LBB38_24
	s_branch .LBB38_39
.LBB38_41:                              ;   in Loop: Header=BB38_3 Depth=1
	s_mov_b32 s14, 0
.LBB38_42:                              ;   in Loop: Header=BB38_3 Depth=1
	s_delay_alu instid0(SALU_CYCLE_1)
	s_and_b32 vcc_lo, exec_lo, s14
	s_cbranch_vccz .LBB38_63
; %bb.43:                               ;   in Loop: Header=BB38_3 Depth=1
	s_mov_b32 s22, 0
	s_wait_xcnt 0x0
	s_mov_b32 s23, 0
.LBB38_44:                              ;   Parent Loop BB38_3 Depth=1
                                        ; =>  This Loop Header: Depth=2
                                        ;       Child Loop BB38_47 Depth 3
                                        ;         Child Loop BB38_48 Depth 4
                                        ;         Child Loop BB38_51 Depth 4
                                        ;           Child Loop BB38_52 Depth 5
                                        ;         Child Loop BB38_57 Depth 4
                                        ;           Child Loop BB38_59 Depth 5
	s_load_b32 s24, s[8:9], s23 offset:0x0 scale_offset
	s_wait_kmcnt 0x0
	s_add_co_i32 s25, s24, -1
	s_delay_alu instid0(SALU_CYCLE_1) | instskip(NEXT) | instid1(SALU_CYCLE_1)
	s_add_co_i32 s14, s25, s22
	s_cmp_ge_i32 s14, s1
	s_cbranch_scc1 .LBB38_60
; %bb.45:                               ;   in Loop: Header=BB38_44 Depth=2
	v_lshl_add_u32 v34, s22, 7, v72
	s_max_i32 s37, s24, 1
	s_lshl_b32 s38, s24, 7
	s_lshl_b32 s39, s22, 2
	;; [unrolled: 1-line block ×3, first 2 shown]
	s_mul_i32 s41, s22, 0x84
	s_mul_i32 s42, s24, 0x84
	s_branch .LBB38_47
.LBB38_46:                              ;   in Loop: Header=BB38_47 Depth=3
	s_add_co_i32 s22, s22, s24
	v_add_nc_u32_e32 v34, s38, v34
	s_add_co_i32 s14, s25, s22
	s_add_co_i32 s39, s39, s40
	s_add_co_i32 s41, s41, s42
	s_cmp_ge_i32 s14, s1
	s_cbranch_scc1 .LBB38_60
.LBB38_47:                              ;   Parent Loop BB38_3 Depth=1
                                        ;     Parent Loop BB38_44 Depth=2
                                        ; =>    This Loop Header: Depth=3
                                        ;         Child Loop BB38_48 Depth 4
                                        ;         Child Loop BB38_51 Depth 4
                                        ;           Child Loop BB38_52 Depth 5
                                        ;         Child Loop BB38_57 Depth 4
                                        ;           Child Loop BB38_59 Depth 5
	v_mov_b32_e32 v35, v34
	s_mov_b64 s[14:15], 0
.LBB38_48:                              ;   Parent Loop BB38_3 Depth=1
                                        ;     Parent Loop BB38_44 Depth=2
                                        ;       Parent Loop BB38_47 Depth=3
                                        ; =>      This Inner Loop Header: Depth=4
	ds_load_b32 v36, v35
	v_add_nc_u32_e32 v35, 0x80, v35
	s_mov_b32 m0, s14
	s_add_nc_u64 s[14:15], s[14:15], 1
	s_delay_alu instid0(SALU_CYCLE_1)
	s_cmp_eq_u32 s37, s14
	s_wait_dscnt 0x0
	v_movreld_b32_e32 v2, v36
	s_cbranch_scc0 .LBB38_48
; %bb.49:                               ;   in Loop: Header=BB38_47 Depth=3
	s_cmp_lt_i32 s22, 1
	s_cbranch_scc1 .LBB38_54
; %bb.50:                               ;   in Loop: Header=BB38_47 Depth=3
	s_mov_b32 s16, 0
	s_mov_b32 s17, s39
.LBB38_51:                              ;   Parent Loop BB38_3 Depth=1
                                        ;     Parent Loop BB38_44 Depth=2
                                        ;       Parent Loop BB38_47 Depth=3
                                        ; =>      This Loop Header: Depth=4
                                        ;           Child Loop BB38_52 Depth 5
	v_lshl_add_u32 v35, s16, 7, v72
	s_mov_b64 s[14:15], 0
	s_mov_b32 s43, s17
	ds_load_b32 v35, v35
.LBB38_52:                              ;   Parent Loop BB38_3 Depth=1
                                        ;     Parent Loop BB38_44 Depth=2
                                        ;       Parent Loop BB38_47 Depth=3
                                        ;         Parent Loop BB38_51 Depth=4
                                        ; =>        This Inner Loop Header: Depth=5
	v_mov_b32_e32 v36, s43
	s_mov_b32 m0, s14
	s_add_nc_u64 s[14:15], s[14:15], 1
	v_movrels_b32_e32 v37, v2
	s_add_co_i32 s43, s43, 4
	ds_load_b32 v36, v36
	s_cmp_eq_u32 s37, s14
	s_wait_dscnt 0x0
	v_fma_f32 v36, -v35, v36, v37
	s_delay_alu instid0(VALU_DEP_1)
	v_movreld_b32_e32 v2, v36
	s_cbranch_scc0 .LBB38_52
; %bb.53:                               ;   in Loop: Header=BB38_51 Depth=4
	s_add_co_i32 s16, s16, 1
	s_addk_co_i32 s17, 0x80
	s_cmp_eq_u32 s16, s22
	s_cbranch_scc0 .LBB38_51
.LBB38_54:                              ;   in Loop: Header=BB38_47 Depth=3
	s_mov_b64 s[14:15], 0
	s_mov_b32 s43, s41
	s_branch .LBB38_57
.LBB38_55:                              ;   in Loop: Header=BB38_57 Depth=4
	s_mov_b64 s[16:17], s[14:15]
.LBB38_56:                              ;   in Loop: Header=BB38_57 Depth=4
	s_delay_alu instid0(SALU_CYCLE_1)
	s_mov_b32 m0, s16
	s_add_co_i32 s16, s14, s22
	v_movrels_b32_e32 v36, v2
	s_mul_i32 s17, s16, 0x84
	s_add_nc_u64 s[14:15], s[14:15], 1
	v_mov_b32_e32 v35, s17
	s_add_co_i32 s43, s43, 4
	s_cmp_eq_u32 s14, s37
	ds_load_b32 v35, v35
	s_wait_dscnt 0x0
	v_mul_f32_e32 v35, v36, v35
	v_lshl_add_u32 v36, s16, 7, v72
	s_delay_alu instid0(VALU_DEP_2)
	v_movreld_b32_e32 v2, v35
	ds_store_b32 v36, v35
	s_cbranch_scc1 .LBB38_46
.LBB38_57:                              ;   Parent Loop BB38_3 Depth=1
                                        ;     Parent Loop BB38_44 Depth=2
                                        ;       Parent Loop BB38_47 Depth=3
                                        ; =>      This Loop Header: Depth=4
                                        ;           Child Loop BB38_59 Depth 5
	s_mov_b64 s[16:17], 0
	s_cmp_eq_u32 s14, 0
	s_cbranch_scc1 .LBB38_56
; %bb.58:                               ;   in Loop: Header=BB38_57 Depth=4
	s_mov_b32 s44, s43
.LBB38_59:                              ;   Parent Loop BB38_3 Depth=1
                                        ;     Parent Loop BB38_44 Depth=2
                                        ;       Parent Loop BB38_47 Depth=3
                                        ;         Parent Loop BB38_57 Depth=4
                                        ; =>        This Inner Loop Header: Depth=5
	s_delay_alu instid0(SALU_CYCLE_1)
	v_mov_b32_e32 v35, s44
	s_mov_b32 m0, s16
	s_add_nc_u64 s[16:17], s[16:17], 1
	v_movrels_b32_e32 v36, v2
	s_mov_b32 m0, s14
	ds_load_b32 v35, v35
	v_movrels_b32_e32 v37, v2
	s_addk_co_i32 s44, 0x80
	s_cmp_eq_u32 s14, s16
	s_wait_dscnt 0x0
	s_delay_alu instid0(VALU_DEP_1) | instskip(NEXT) | instid1(VALU_DEP_1)
	v_fma_f32 v35, -v36, v35, v37
	v_movreld_b32_e32 v2, v35
	s_cbranch_scc0 .LBB38_59
	s_branch .LBB38_55
.LBB38_60:                              ;   in Loop: Header=BB38_44 Depth=2
	s_cmp_lt_i32 s22, s1
	s_cselect_b32 s15, -1, 0
	s_add_co_i32 s14, s23, 1
	s_cmp_lt_u32 s23, 2
	s_cselect_b32 s16, -1, 0
	s_delay_alu instid0(SALU_CYCLE_1) | instskip(NEXT) | instid1(SALU_CYCLE_1)
	s_and_b32 s15, s15, s16
	s_and_not1_b32 vcc_lo, exec_lo, s15
	s_cbranch_vccnz .LBB38_62
; %bb.61:                               ;   in Loop: Header=BB38_44 Depth=2
	s_wait_xcnt 0x0
	s_mov_b32 s23, s14
	s_branch .LBB38_44
.LBB38_62:                              ;   in Loop: Header=BB38_3 Depth=1
	v_mov_b64_e32 v[64:65], v[32:33]
	v_mov_b64_e32 v[62:63], v[30:31]
	;; [unrolled: 1-line block ×16, first 2 shown]
.LBB38_63:                              ;   in Loop: Header=BB38_3 Depth=1
	s_delay_alu instid0(VALU_DEP_1) | instskip(NEXT) | instid1(VALU_DEP_3)
	v_mov_b64_e32 v[2:3], v[34:35]
	v_mov_b64_e32 v[4:5], v[36:37]
	;; [unrolled: 1-line block ×16, first 2 shown]
	s_wait_dscnt 0x0
	; wave barrier
	s_and_saveexec_b32 s14, s29
	s_cbranch_execz .LBB38_2
; %bb.64:                               ;   in Loop: Header=BB38_3 Depth=1
	s_and_not1_b32 vcc_lo, exec_lo, s34
	s_cbranch_vccnz .LBB38_68
; %bb.65:                               ;   in Loop: Header=BB38_3 Depth=1
	s_mov_b32 s15, 1
	s_mov_b32 s16, 0
	;; [unrolled: 1-line block ×3, first 2 shown]
.LBB38_66:                              ;   Parent Loop BB38_3 Depth=1
                                        ; =>  This Inner Loop Header: Depth=2
	v_lshl_add_u32 v34, s16, 7, v72
	v_lshl_add_u32 v35, s15, 7, v72
	s_add_co_i32 s17, s17, -2
	s_add_co_i32 s16, s16, 2
	s_add_co_i32 s15, s15, 2
	ds_load_b32 v34, v34
	ds_load_b32 v35, v35
	s_mov_b32 s22, s35
	s_cmp_lg_u32 s17, 0
	s_wait_xcnt 0x0
	s_mov_b32 s23, s36
	s_wait_dscnt 0x0
	global_store_b64 v[70:71], v[34:35], off
	s_wait_xcnt 0x0
	v_add_nc_u64_e32 v[70:71], 8, v[70:71]
	s_cbranch_scc1 .LBB38_66
; %bb.67:                               ;   in Loop: Header=BB38_3 Depth=1
	s_and_b32 vcc_lo, exec_lo, s23
	s_cbranch_vccz .LBB38_2
	s_branch .LBB38_69
.LBB38_68:                              ;   in Loop: Header=BB38_3 Depth=1
	s_wait_xcnt 0x0
	s_mov_b32 s22, 0
	s_cbranch_execz .LBB38_2
.LBB38_69:                              ;   in Loop: Header=BB38_3 Depth=1
	s_lshl_b32 s16, s22, 2
	s_mov_b32 s17, s3
	v_lshl_add_u32 v36, s22, 7, v72
	s_add_nc_u64 s[12:13], s[12:13], s[16:17]
	s_delay_alu instid0(SALU_CYCLE_1)
	v_add_nc_u64_e32 v[34:35], s[12:13], v[68:69]
	s_sub_co_i32 s12, s1, s22
.LBB38_70:                              ;   Parent Loop BB38_3 Depth=1
                                        ; =>  This Inner Loop Header: Depth=2
	ds_load_b32 v37, v36
	v_add_nc_u32_e32 v36, 0x80, v36
	s_add_co_i32 s12, s12, -1
	s_delay_alu instid0(SALU_CYCLE_1)
	s_cmp_lg_u32 s12, 0
	s_wait_dscnt 0x0
	global_store_b32 v[34:35], v37, off
	s_wait_xcnt 0x0
	v_add_nc_u64_e32 v[34:35], 4, v[34:35]
	s_cbranch_scc1 .LBB38_70
	s_branch .LBB38_2
.LBB38_71:
	s_sendmsg sendmsg(MSG_DEALLOC_VGPRS)
	s_endpgm
	.section	.rodata,"a",@progbits
	.p2align	6, 0x0
	.amdhsa_kernel _ZL38rocblas_trsm_small_left_device_sharedBILi32ELi32ELb1EffPKfPfEv13rocblas_fill_18rocblas_operation_17rocblas_diagonal_iiT3_T4_lilT5_lili
		.amdhsa_group_segment_fixed_size 8192
		.amdhsa_private_segment_fixed_size 0
		.amdhsa_kernarg_size 352
		.amdhsa_user_sgpr_count 2
		.amdhsa_user_sgpr_dispatch_ptr 0
		.amdhsa_user_sgpr_queue_ptr 0
		.amdhsa_user_sgpr_kernarg_segment_ptr 1
		.amdhsa_user_sgpr_dispatch_id 0
		.amdhsa_user_sgpr_kernarg_preload_length 0
		.amdhsa_user_sgpr_kernarg_preload_offset 0
		.amdhsa_user_sgpr_private_segment_size 0
		.amdhsa_wavefront_size32 1
		.amdhsa_uses_dynamic_stack 0
		.amdhsa_enable_private_segment 0
		.amdhsa_system_sgpr_workgroup_id_x 1
		.amdhsa_system_sgpr_workgroup_id_y 0
		.amdhsa_system_sgpr_workgroup_id_z 1
		.amdhsa_system_sgpr_workgroup_info 0
		.amdhsa_system_vgpr_workitem_id 0
		.amdhsa_next_free_vgpr 81
		.amdhsa_next_free_sgpr 47
		.amdhsa_named_barrier_count 0
		.amdhsa_reserve_vcc 1
		.amdhsa_float_round_mode_32 0
		.amdhsa_float_round_mode_16_64 0
		.amdhsa_float_denorm_mode_32 3
		.amdhsa_float_denorm_mode_16_64 3
		.amdhsa_fp16_overflow 0
		.amdhsa_memory_ordered 1
		.amdhsa_forward_progress 1
		.amdhsa_inst_pref_size 22
		.amdhsa_round_robin_scheduling 0
		.amdhsa_exception_fp_ieee_invalid_op 0
		.amdhsa_exception_fp_denorm_src 0
		.amdhsa_exception_fp_ieee_div_zero 0
		.amdhsa_exception_fp_ieee_overflow 0
		.amdhsa_exception_fp_ieee_underflow 0
		.amdhsa_exception_fp_ieee_inexact 0
		.amdhsa_exception_int_div_zero 0
	.end_amdhsa_kernel
	.section	.text._ZL38rocblas_trsm_small_left_device_sharedBILi32ELi32ELb1EffPKfPfEv13rocblas_fill_18rocblas_operation_17rocblas_diagonal_iiT3_T4_lilT5_lili,"axG",@progbits,_ZL38rocblas_trsm_small_left_device_sharedBILi32ELi32ELb1EffPKfPfEv13rocblas_fill_18rocblas_operation_17rocblas_diagonal_iiT3_T4_lilT5_lili,comdat
.Lfunc_end38:
	.size	_ZL38rocblas_trsm_small_left_device_sharedBILi32ELi32ELb1EffPKfPfEv13rocblas_fill_18rocblas_operation_17rocblas_diagonal_iiT3_T4_lilT5_lili, .Lfunc_end38-_ZL38rocblas_trsm_small_left_device_sharedBILi32ELi32ELb1EffPKfPfEv13rocblas_fill_18rocblas_operation_17rocblas_diagonal_iiT3_T4_lilT5_lili
                                        ; -- End function
	.set _ZL38rocblas_trsm_small_left_device_sharedBILi32ELi32ELb1EffPKfPfEv13rocblas_fill_18rocblas_operation_17rocblas_diagonal_iiT3_T4_lilT5_lili.num_vgpr, 77
	.set _ZL38rocblas_trsm_small_left_device_sharedBILi32ELi32ELb1EffPKfPfEv13rocblas_fill_18rocblas_operation_17rocblas_diagonal_iiT3_T4_lilT5_lili.num_agpr, 0
	.set _ZL38rocblas_trsm_small_left_device_sharedBILi32ELi32ELb1EffPKfPfEv13rocblas_fill_18rocblas_operation_17rocblas_diagonal_iiT3_T4_lilT5_lili.numbered_sgpr, 47
	.set _ZL38rocblas_trsm_small_left_device_sharedBILi32ELi32ELb1EffPKfPfEv13rocblas_fill_18rocblas_operation_17rocblas_diagonal_iiT3_T4_lilT5_lili.num_named_barrier, 0
	.set _ZL38rocblas_trsm_small_left_device_sharedBILi32ELi32ELb1EffPKfPfEv13rocblas_fill_18rocblas_operation_17rocblas_diagonal_iiT3_T4_lilT5_lili.private_seg_size, 0
	.set _ZL38rocblas_trsm_small_left_device_sharedBILi32ELi32ELb1EffPKfPfEv13rocblas_fill_18rocblas_operation_17rocblas_diagonal_iiT3_T4_lilT5_lili.uses_vcc, 1
	.set _ZL38rocblas_trsm_small_left_device_sharedBILi32ELi32ELb1EffPKfPfEv13rocblas_fill_18rocblas_operation_17rocblas_diagonal_iiT3_T4_lilT5_lili.uses_flat_scratch, 0
	.set _ZL38rocblas_trsm_small_left_device_sharedBILi32ELi32ELb1EffPKfPfEv13rocblas_fill_18rocblas_operation_17rocblas_diagonal_iiT3_T4_lilT5_lili.has_dyn_sized_stack, 0
	.set _ZL38rocblas_trsm_small_left_device_sharedBILi32ELi32ELb1EffPKfPfEv13rocblas_fill_18rocblas_operation_17rocblas_diagonal_iiT3_T4_lilT5_lili.has_recursion, 0
	.set _ZL38rocblas_trsm_small_left_device_sharedBILi32ELi32ELb1EffPKfPfEv13rocblas_fill_18rocblas_operation_17rocblas_diagonal_iiT3_T4_lilT5_lili.has_indirect_call, 0
	.section	.AMDGPU.csdata,"",@progbits
; Kernel info:
; codeLenInByte = 2776
; TotalNumSgprs: 49
; NumVgprs: 77
; ScratchSize: 0
; MemoryBound: 0
; FloatMode: 240
; IeeeMode: 1
; LDSByteSize: 8192 bytes/workgroup (compile time only)
; SGPRBlocks: 0
; VGPRBlocks: 5
; NumSGPRsForWavesPerEU: 49
; NumVGPRsForWavesPerEU: 81
; NamedBarCnt: 0
; Occupancy: 10
; WaveLimiterHint : 0
; COMPUTE_PGM_RSRC2:SCRATCH_EN: 0
; COMPUTE_PGM_RSRC2:USER_SGPR: 2
; COMPUTE_PGM_RSRC2:TRAP_HANDLER: 0
; COMPUTE_PGM_RSRC2:TGID_X_EN: 1
; COMPUTE_PGM_RSRC2:TGID_Y_EN: 0
; COMPUTE_PGM_RSRC2:TGID_Z_EN: 1
; COMPUTE_PGM_RSRC2:TIDIG_COMP_CNT: 0
	.section	.text._ZL30rocblas_trsm_small_left_deviceILi32ELi32ELb1EffPKfPfEv13rocblas_fill_18rocblas_operation_17rocblas_diagonal_iiT3_T4_lilT5_lili,"axG",@progbits,_ZL30rocblas_trsm_small_left_deviceILi32ELi32ELb1EffPKfPfEv13rocblas_fill_18rocblas_operation_17rocblas_diagonal_iiT3_T4_lilT5_lili,comdat
	.globl	_ZL30rocblas_trsm_small_left_deviceILi32ELi32ELb1EffPKfPfEv13rocblas_fill_18rocblas_operation_17rocblas_diagonal_iiT3_T4_lilT5_lili ; -- Begin function _ZL30rocblas_trsm_small_left_deviceILi32ELi32ELb1EffPKfPfEv13rocblas_fill_18rocblas_operation_17rocblas_diagonal_iiT3_T4_lilT5_lili
	.p2align	8
	.type	_ZL30rocblas_trsm_small_left_deviceILi32ELi32ELb1EffPKfPfEv13rocblas_fill_18rocblas_operation_17rocblas_diagonal_iiT3_T4_lilT5_lili,@function
_ZL30rocblas_trsm_small_left_deviceILi32ELi32ELb1EffPKfPfEv13rocblas_fill_18rocblas_operation_17rocblas_diagonal_iiT3_T4_lilT5_lili: ; @_ZL30rocblas_trsm_small_left_deviceILi32ELi32ELb1EffPKfPfEv13rocblas_fill_18rocblas_operation_17rocblas_diagonal_iiT3_T4_lilT5_lili
; %bb.0:
	s_load_b32 s28, s[0:1], 0x58
	s_bfe_u32 s2, ttmp6, 0x40014
	s_lshr_b32 s4, ttmp7, 16
	s_add_co_i32 s2, s2, 1
	s_bfe_u32 s5, ttmp6, 0x40008
	s_mul_i32 s2, s4, s2
	s_getreg_b32 s3, hwreg(HW_REG_IB_STS2, 6, 4)
	s_add_co_i32 s5, s5, s2
	s_cmp_eq_u32 s3, 0
	s_mov_b32 s19, 0
	s_cselect_b32 s2, s4, s5
	s_wait_kmcnt 0x0
	s_cmp_ge_u32 s2, s28
	s_cbranch_scc1 .LBB39_57
; %bb.1:
	s_clause 0x7
	s_load_b32 s22, s[0:1], 0x28
	s_load_b96 s[16:18], s[0:1], 0x40
	s_load_b128 s[4:7], s[0:1], 0x18
	s_load_b128 s[12:15], s[0:1], 0x4
	;; [unrolled: 1-line block ×3, first 2 shown]
	s_load_b32 s24, s[0:1], 0x60
	s_load_b64 s[20:21], s[0:1], 0x50
	s_load_b32 s29, s[0:1], 0x14
	v_dual_mov_b32 v67, 0 :: v_dual_lshlrev_b32 v66, 2, v0
	v_lshlrev_b32_e32 v34, 7, v0
	s_mov_b32 s39, 0
	s_delay_alu instid0(VALU_DEP_2)
	v_dual_mov_b32 v2, v67 :: v_dual_mov_b32 v3, v67
	v_dual_mov_b32 v4, v67 :: v_dual_mov_b32 v5, v67
	;; [unrolled: 1-line block ×4, first 2 shown]
	v_mov_b32_e32 v10, v67
	s_wait_kmcnt 0x0
	s_ashr_i32 s23, s22, 31
	v_dual_mov_b32 v12, v67 :: v_dual_mov_b32 v13, v67
	s_cmp_eq_u64 s[22:23], 1
	v_dual_mov_b32 v14, v67 :: v_dual_mov_b32 v15, v67
	s_cselect_b32 s25, -1, 0
	s_bfe_u32 s0, ttmp6, 0x4000c
	s_min_i32 s30, s14, 32
	s_add_co_i32 s0, s0, 1
	s_and_b32 s14, ttmp6, 15
	s_mul_i32 s0, ttmp9, s0
	s_ashr_i32 s1, s18, 31
	s_lshl_b64 s[16:17], s[16:17], 2
	s_add_co_i32 s24, s24, -1
	s_add_co_i32 s31, s30, -1
	s_add_co_i32 s14, s14, s0
	s_cmp_eq_u32 s3, 0
	s_mov_b32 s0, s18
	s_cselect_b32 s3, ttmp9, s14
	s_add_nc_u64 s[10:11], s[10:11], s[16:17]
	s_lshl_b32 s14, s3, 5
	s_delay_alu instid0(SALU_CYCLE_1) | instskip(SKIP_2) | instid1(VALU_DEP_3)
	v_dual_mov_b32 v11, v67 :: v_dual_bitop2_b32 v20, s14, v0 bitop3:0x54
	v_dual_mov_b32 v16, v67 :: v_dual_mov_b32 v17, v67
	v_dual_mov_b32 v18, v67 :: v_dual_mov_b32 v19, v67
	v_dual_mov_b32 v22, v67 :: v_dual_ashrrev_i32 v21, 31, v20
	v_dual_mov_b32 v23, v67 :: v_dual_mov_b32 v24, v67
	v_dual_mov_b32 v25, v67 :: v_dual_mov_b32 v26, v67
	s_delay_alu instid0(VALU_DEP_3)
	v_mul_u64_e32 v[28:29], s[0:1], v[20:21]
	s_sub_co_i32 s0, s15, s14
	s_cmp_ge_u32 s3, s24
	v_mov_b32_e32 v20, v67
	s_cselect_b32 s1, s0, 32
	s_cmp_lg_u32 s13, 0x84
	v_cmp_gt_i32_e64 s0, s30, v0
	s_cselect_b32 s33, -1, 0
	s_cmp_lg_u32 s12, 0x6f
	v_cmp_gt_i32_e64 s1, s1, v0
	s_cselect_b32 s34, -1, 0
	s_cmp_gt_u32 s30, 1
	v_mov_b32_e32 v21, v67
	s_cselect_b32 s3, -1, 0
	s_and_b32 s35, s30, -2
	s_and_b32 s36, s3, s25
	s_cmp_lg_u32 s30, s35
	v_mov_b32_e32 v27, v67
	s_cselect_b32 s37, -1, 0
	s_lshl_b64 s[12:13], s[6:7], 2
	v_dual_mov_b32 v31, v67 :: v_dual_mov_b32 v32, v67
	s_add_nc_u64 s[4:5], s[4:5], s[12:13]
	v_mov_b32_e32 v33, v67
	v_add_nc_u64_e32 v[0:1], s[4:5], v[66:67]
	v_mov_b32_e32 v30, v67
	s_lshl_b32 s38, s30, 2
	s_lshl_b64 s[6:7], s[8:9], 2
	s_lshl_b64 s[8:9], s[22:23], 2
	s_add_co_i32 s38, s38, -4
	s_get_pc_i64 s[4:5]
	s_add_nc_u64 s[4:5], s[4:5], __const._ZL30rocblas_trsm_small_left_deviceILi32ELi32ELb1EffPKfPfEv13rocblas_fill_18rocblas_operation_17rocblas_diagonal_iiT3_T4_lilT5_lili.step_sizes@rel64+4
	v_lshl_add_u64 v[68:69], v[28:29], 2, s[10:11]
	v_dual_mov_b32 v28, v67 :: v_dual_mov_b32 v29, v67
	v_add_nc_u32_e32 v67, v66, v34
	s_lshl_b64 s[10:11], s[20:21], 2
	s_branch .LBB39_5
.LBB39_2:                               ;   in Loop: Header=BB39_5 Depth=1
	s_wait_xcnt 0x0
	v_mov_b64_e32 v[64:65], v[32:33]
	v_mov_b64_e32 v[62:63], v[30:31]
	;; [unrolled: 1-line block ×16, first 2 shown]
.LBB39_3:                               ;   in Loop: Header=BB39_5 Depth=1
	s_add_co_i32 s2, s2, 0x10000
	s_delay_alu instid0(SALU_CYCLE_1) | instskip(SKIP_1) | instid1(SALU_CYCLE_1)
	s_cmp_ge_u32 s2, s28
	s_cselect_b32 s3, -1, 0
	s_or_not1_b32 s12, s3, exec_lo
.LBB39_4:                               ;   in Loop: Header=BB39_5 Depth=1
	s_wait_xcnt 0x0
	s_or_b32 exec_lo, exec_lo, s40
	v_mov_b64_e32 v[2:3], v[34:35]
	v_mov_b64_e32 v[4:5], v[36:37]
	;; [unrolled: 1-line block ×16, first 2 shown]
	s_and_b32 s3, exec_lo, s12
	s_delay_alu instid0(SALU_CYCLE_1) | instskip(NEXT) | instid1(SALU_CYCLE_1)
	s_or_b32 s39, s3, s39
	s_and_not1_b32 exec_lo, exec_lo, s39
	s_cbranch_execz .LBB39_57
.LBB39_5:                               ; =>This Loop Header: Depth=1
                                        ;     Child Loop BB39_8 Depth 2
                                        ;     Child Loop BB39_12 Depth 2
	;; [unrolled: 1-line block ×3, first 2 shown]
                                        ;       Child Loop BB39_22 Depth 3
                                        ;       Child Loop BB39_24 Depth 3
                                        ;         Child Loop BB39_25 Depth 4
                                        ;       Child Loop BB39_30 Depth 3
                                        ;         Child Loop BB39_32 Depth 4
                                        ;     Child Loop BB39_34 Depth 2
                                        ;     Child Loop BB39_39 Depth 2
                                        ;       Child Loop BB39_42 Depth 3
                                        ;         Child Loop BB39_43 Depth 4
                                        ;         Child Loop BB39_46 Depth 4
                                        ;           Child Loop BB39_47 Depth 5
                                        ;         Child Loop BB39_52 Depth 4
                                        ;           Child Loop BB39_54 Depth 5
	s_mov_b32 s3, s19
	s_and_saveexec_b32 s14, s0
	s_cbranch_execz .LBB39_16
; %bb.6:                                ;   in Loop: Header=BB39_5 Depth=1
	s_and_not1_b32 vcc_lo, exec_lo, s36
	s_mul_u64 s[12:13], s[6:7], s[2:3]
	s_cbranch_vccnz .LBB39_10
; %bb.7:                                ;   in Loop: Header=BB39_5 Depth=1
	v_add_nc_u64_e32 v[34:35], s[12:13], v[0:1]
	s_mov_b32 s15, 1
	s_mov_b32 s16, 0
	;; [unrolled: 1-line block ×3, first 2 shown]
.LBB39_8:                               ;   Parent Loop BB39_5 Depth=1
                                        ; =>  This Inner Loop Header: Depth=2
	global_load_b64 v[36:37], v[34:35], off
	s_wait_xcnt 0x0
	v_add_nc_u64_e32 v[34:35], 8, v[34:35]
	v_lshl_or_b32 v38, s16, 7, v66
	v_lshl_or_b32 v39, s15, 7, v66
	s_add_co_i32 s17, s17, -2
	s_add_co_i32 s16, s16, 2
	s_add_co_i32 s15, s15, 2
	s_mov_b32 s18, s35
	s_mov_b32 s22, s37
	s_cmp_lg_u32 s17, 0
	s_wait_loadcnt 0x0
	ds_store_b32 v38, v36
	ds_store_b32 v39, v37
	s_cbranch_scc1 .LBB39_8
; %bb.9:                                ;   in Loop: Header=BB39_5 Depth=1
	s_and_b32 vcc_lo, exec_lo, s22
	s_cbranch_vccnz .LBB39_11
	s_branch .LBB39_13
.LBB39_10:                              ;   in Loop: Header=BB39_5 Depth=1
	s_mov_b32 s18, 0
	s_cbranch_execz .LBB39_13
.LBB39_11:                              ;   in Loop: Header=BB39_5 Depth=1
	s_mul_u64 s[16:17], s[8:9], s[18:19]
	v_lshl_or_b32 v36, s18, 7, v66
	s_add_nc_u64 s[12:13], s[16:17], s[12:13]
	s_delay_alu instid0(SALU_CYCLE_1)
	v_add_nc_u64_e32 v[34:35], s[12:13], v[0:1]
	s_sub_co_i32 s12, s30, s18
.LBB39_12:                              ;   Parent Loop BB39_5 Depth=1
                                        ; =>  This Inner Loop Header: Depth=2
	global_load_b32 v37, v[34:35], off
	s_wait_xcnt 0x0
	v_add_nc_u64_e32 v[34:35], s[8:9], v[34:35]
	s_add_co_i32 s12, s12, -1
	s_delay_alu instid0(SALU_CYCLE_1)
	s_cmp_eq_u32 s12, 0
	s_wait_loadcnt 0x0
	ds_store_b32 v36, v37
	v_add_nc_u32_e32 v36, 0x80, v36
	s_cbranch_scc0 .LBB39_12
.LBB39_13:                              ;   in Loop: Header=BB39_5 Depth=1
	v_mov_b32_e32 v34, 1.0
	s_and_b32 vcc_lo, exec_lo, s33
	s_cbranch_vccz .LBB39_15
; %bb.14:                               ;   in Loop: Header=BB39_5 Depth=1
	ds_load_b32 v34, v67
	s_wait_dscnt 0x0
	v_div_scale_f32 v35, null, v34, v34, 1.0
	s_delay_alu instid0(VALU_DEP_1) | instskip(SKIP_1) | instid1(TRANS32_DEP_1)
	v_rcp_f32_e32 v36, v35
	v_nop
	v_fma_f32 v37, -v35, v36, 1.0
	s_delay_alu instid0(VALU_DEP_1) | instskip(SKIP_1) | instid1(VALU_DEP_1)
	v_fmac_f32_e32 v36, v37, v36
	v_div_scale_f32 v37, vcc_lo, 1.0, v34, 1.0
	v_mul_f32_e32 v38, v37, v36
	s_delay_alu instid0(VALU_DEP_1) | instskip(NEXT) | instid1(VALU_DEP_1)
	v_fma_f32 v39, -v35, v38, v37
	v_fmac_f32_e32 v38, v39, v36
	s_delay_alu instid0(VALU_DEP_1) | instskip(NEXT) | instid1(VALU_DEP_1)
	v_fma_f32 v35, -v35, v38, v37
	v_div_fmas_f32 v35, v35, v36, v38
	s_delay_alu instid0(VALU_DEP_1)
	v_div_fixup_f32 v34, v35, v34, 1.0
.LBB39_15:                              ;   in Loop: Header=BB39_5 Depth=1
	ds_store_b32 v67, v34
.LBB39_16:                              ;   in Loop: Header=BB39_5 Depth=1
	s_or_b32 exec_lo, exec_lo, s14
	s_mov_b32 s12, -1
	s_wait_dscnt 0x0
	; wave barrier
                                        ; implicit-def: $vgpr34_vgpr35_vgpr36_vgpr37_vgpr38_vgpr39_vgpr40_vgpr41_vgpr42_vgpr43_vgpr44_vgpr45_vgpr46_vgpr47_vgpr48_vgpr49_vgpr50_vgpr51_vgpr52_vgpr53_vgpr54_vgpr55_vgpr56_vgpr57_vgpr58_vgpr59_vgpr60_vgpr61_vgpr62_vgpr63_vgpr64_vgpr65
	s_and_saveexec_b32 s40, s1
	s_cbranch_execz .LBB39_4
; %bb.17:                               ;   in Loop: Header=BB39_5 Depth=1
	s_mul_u64 s[12:13], s[20:21], s[2:3]
	s_and_not1_b32 vcc_lo, exec_lo, s34
	v_lshl_add_u64 v[70:71], s[12:13], 2, v[68:69]
	s_mul_u64 s[12:13], s[10:11], s[2:3]
	s_mov_b32 s3, -1
                                        ; implicit-def: $vgpr34_vgpr35_vgpr36_vgpr37_vgpr38_vgpr39_vgpr40_vgpr41_vgpr42_vgpr43_vgpr44_vgpr45_vgpr46_vgpr47_vgpr48_vgpr49_vgpr50_vgpr51_vgpr52_vgpr53_vgpr54_vgpr55_vgpr56_vgpr57_vgpr58_vgpr59_vgpr60_vgpr61_vgpr62_vgpr63_vgpr64_vgpr65
	s_cbranch_vccnz .LBB39_37
; %bb.18:                               ;   in Loop: Header=BB39_5 Depth=1
	v_mov_b64_e32 v[64:65], v[32:33]
	v_add_nc_u64_e32 v[72:73], s[12:13], v[68:69]
	v_mov_b64_e32 v[62:63], v[30:31]
	v_mov_b64_e32 v[60:61], v[28:29]
	;; [unrolled: 1-line block ×15, first 2 shown]
	s_mov_b32 s3, 0
	s_mov_b32 s14, s31
	s_load_b32 s18, s[4:5], s3 offset:0x0 scale_offset
	s_wait_kmcnt 0x0
	s_add_co_i32 s41, s18, -1
	s_delay_alu instid0(SALU_CYCLE_1)
	s_cmp_lt_i32 s14, s41
	s_cbranch_scc1 .LBB39_34
.LBB39_19:                              ;   in Loop: Header=BB39_5 Depth=1
	s_lshl_b32 s15, s14, 7
	s_lshl_b32 s16, s18, 7
	s_max_i32 s42, s18, 1
	s_add_co_i32 s43, s38, s15
	s_sub_co_i32 s44, 0, s16
	s_mul_i32 s45, s14, 0x84
	s_mul_i32 s46, s18, 0xffffff7c
	s_branch .LBB39_21
.LBB39_20:                              ;   in Loop: Header=BB39_21 Depth=2
	s_sub_co_i32 s14, s14, s18
	s_add_co_i32 s43, s43, s44
	s_add_co_i32 s45, s45, s46
	s_cmp_lt_i32 s14, s41
	s_cbranch_scc1 .LBB39_34
.LBB39_21:                              ;   Parent Loop BB39_5 Depth=1
                                        ; =>  This Loop Header: Depth=2
                                        ;       Child Loop BB39_22 Depth 3
                                        ;       Child Loop BB39_24 Depth 3
                                        ;         Child Loop BB39_25 Depth 4
                                        ;       Child Loop BB39_30 Depth 3
                                        ;         Child Loop BB39_32 Depth 4
	s_ashr_i32 s15, s14, 31
	s_mov_b64 s[16:17], 0
	s_wait_xcnt 0x0
	v_lshl_add_u64 v[74:75], s[14:15], 2, v[72:73]
.LBB39_22:                              ;   Parent Loop BB39_5 Depth=1
                                        ;     Parent Loop BB39_21 Depth=2
                                        ; =>    This Inner Loop Header: Depth=3
	global_load_b32 v76, v[74:75], off
	s_wait_xcnt 0x0
	v_add_nc_u64_e32 v[74:75], -4, v[74:75]
	s_mov_b32 m0, s16
	s_add_nc_u64 s[16:17], s[16:17], 1
	s_delay_alu instid0(SALU_CYCLE_1) | instskip(SKIP_2) | instid1(VALU_DEP_1)
	s_cmp_eq_u32 s42, s16
	s_wait_loadcnt 0x0
	v_mul_f32_e32 v76, s29, v76
	v_movreld_b32_e32 v34, v76
	s_cbranch_scc0 .LBB39_22
; %bb.23:                               ;   in Loop: Header=BB39_21 Depth=2
	s_cmp_le_i32 s31, s14
	s_mov_b32 s24, s43
	s_mov_b32 s16, s31
	s_cbranch_scc1 .LBB39_27
.LBB39_24:                              ;   Parent Loop BB39_5 Depth=1
                                        ;     Parent Loop BB39_21 Depth=2
                                        ; =>    This Loop Header: Depth=3
                                        ;         Child Loop BB39_25 Depth 4
	s_ashr_i32 s17, s16, 31
	s_mov_b64 s[22:23], 0
	v_lshl_add_u64 v[74:75], s[16:17], 2, v[70:71]
	s_mov_b32 s17, s24
	global_load_b32 v74, v[74:75], off
.LBB39_25:                              ;   Parent Loop BB39_5 Depth=1
                                        ;     Parent Loop BB39_21 Depth=2
                                        ;       Parent Loop BB39_24 Depth=3
                                        ; =>      This Inner Loop Header: Depth=4
	s_wait_xcnt 0x0
	v_mov_b32_e32 v75, s17
	s_mov_b32 m0, s22
	s_add_nc_u64 s[22:23], s[22:23], 1
	v_movrels_b32_e32 v76, v34
	s_addk_co_i32 s17, 0xff80
	ds_load_b32 v75, v75
	s_cmp_eq_u32 s42, s22
	s_wait_loadcnt_dscnt 0x0
	v_fma_f32 v75, -v74, v75, v76
	s_delay_alu instid0(VALU_DEP_1)
	v_movreld_b32_e32 v34, v75
	s_cbranch_scc0 .LBB39_25
; %bb.26:                               ;   in Loop: Header=BB39_24 Depth=3
	s_add_co_i32 s16, s16, -1
	s_add_co_i32 s24, s24, -4
	s_cmp_le_i32 s16, s14
	s_cbranch_scc0 .LBB39_24
.LBB39_27:                              ;   in Loop: Header=BB39_21 Depth=2
	s_mov_b64 s[16:17], 0
	s_mov_b32 s47, s45
	s_branch .LBB39_30
.LBB39_28:                              ;   in Loop: Header=BB39_30 Depth=3
	s_mov_b32 s22, s14
	s_mov_b64 s[26:27], 0
	s_mov_b64 s[24:25], s[14:15]
.LBB39_29:                              ;   in Loop: Header=BB39_30 Depth=3
	s_mulk_i32 s22, 0x84
	s_mov_b32 m0, s26
	s_wait_xcnt 0x0
	v_mov_b32_e32 v74, s22
	v_movrels_b32_e32 v75, v34
	s_add_nc_u64 s[16:17], s[16:17], 1
	s_addk_co_i32 s47, 0xff80
	s_cmp_eq_u32 s16, s42
	ds_load_b32 v74, v74
	s_wait_dscnt 0x0
	v_mul_f32_e32 v76, v75, v74
	v_lshl_add_u64 v[74:75], s[24:25], 2, v[70:71]
	s_delay_alu instid0(VALU_DEP_2)
	v_movreld_b32_e32 v34, v76
	global_store_b32 v[74:75], v76, off
	s_cbranch_scc1 .LBB39_20
.LBB39_30:                              ;   Parent Loop BB39_5 Depth=1
                                        ;     Parent Loop BB39_21 Depth=2
                                        ; =>    This Loop Header: Depth=3
                                        ;         Child Loop BB39_32 Depth 4
	s_cmp_eq_u32 s16, 0
	s_cbranch_scc1 .LBB39_28
; %bb.31:                               ;   in Loop: Header=BB39_30 Depth=3
	s_mov_b64 s[22:23], 0
	s_mov_b32 s24, s47
.LBB39_32:                              ;   Parent Loop BB39_5 Depth=1
                                        ;     Parent Loop BB39_21 Depth=2
                                        ;       Parent Loop BB39_30 Depth=3
                                        ; =>      This Inner Loop Header: Depth=4
	s_wait_xcnt 0x0
	v_mov_b32_e32 v74, s24
	s_mov_b32 m0, s22
	s_add_nc_u64 s[22:23], s[22:23], 1
	v_movrels_b32_e32 v75, v34
	s_mov_b32 m0, s16
	ds_load_b32 v74, v74
	v_movrels_b32_e32 v76, v34
	s_add_co_i32 s24, s24, -4
	s_cmp_eq_u32 s16, s22
	s_wait_dscnt 0x0
	s_delay_alu instid0(VALU_DEP_1) | instskip(NEXT) | instid1(VALU_DEP_1)
	v_fma_f32 v74, -v75, v74, v76
	v_movreld_b32_e32 v34, v74
	s_cbranch_scc0 .LBB39_32
; %bb.33:                               ;   in Loop: Header=BB39_30 Depth=3
	s_sub_co_i32 s22, s14, s16
	s_mov_b64 s[26:27], s[16:17]
	s_ashr_i32 s23, s22, 31
	s_delay_alu instid0(SALU_CYCLE_1)
	s_mov_b64 s[24:25], s[22:23]
	s_branch .LBB39_29
.LBB39_34:                              ;   Parent Loop BB39_5 Depth=1
                                        ; =>  This Inner Loop Header: Depth=2
	s_cmp_gt_i32 s14, -1
	s_cselect_b32 s16, -1, 0
	s_add_co_i32 s15, s3, 1
	s_cmp_lt_u32 s3, 2
	s_wait_xcnt 0x0
	s_cselect_b32 s3, -1, 0
	s_delay_alu instid0(SALU_CYCLE_1) | instskip(NEXT) | instid1(SALU_CYCLE_1)
	s_and_b32 s3, s16, s3
	s_and_b32 vcc_lo, exec_lo, s3
	s_cbranch_vccz .LBB39_36
; %bb.35:                               ;   in Loop: Header=BB39_34 Depth=2
	s_mov_b32 s3, s15
	s_load_b32 s18, s[4:5], s3 offset:0x0 scale_offset
	s_wait_kmcnt 0x0
	s_add_co_i32 s41, s18, -1
	s_delay_alu instid0(SALU_CYCLE_1)
	s_cmp_lt_i32 s14, s41
	s_cbranch_scc0 .LBB39_19
	s_branch .LBB39_34
.LBB39_36:                              ;   in Loop: Header=BB39_5 Depth=1
	s_mov_b32 s3, 0
.LBB39_37:                              ;   in Loop: Header=BB39_5 Depth=1
	s_delay_alu instid0(SALU_CYCLE_1)
	s_and_b32 vcc_lo, exec_lo, s3
	s_cbranch_vccz .LBB39_3
; %bb.38:                               ;   in Loop: Header=BB39_5 Depth=1
	v_add_nc_u64_e32 v[34:35], s[12:13], v[68:69]
	s_mov_b32 s12, 0
	s_mov_b32 s3, 0
.LBB39_39:                              ;   Parent Loop BB39_5 Depth=1
                                        ; =>  This Loop Header: Depth=2
                                        ;       Child Loop BB39_42 Depth 3
                                        ;         Child Loop BB39_43 Depth 4
                                        ;         Child Loop BB39_46 Depth 4
                                        ;           Child Loop BB39_47 Depth 5
                                        ;         Child Loop BB39_52 Depth 4
                                        ;           Child Loop BB39_54 Depth 5
	s_load_b32 s14, s[4:5], s3 offset:0x0 scale_offset
	s_wait_kmcnt 0x0
	s_add_co_i32 s26, s14, -1
	s_delay_alu instid0(SALU_CYCLE_1) | instskip(NEXT) | instid1(SALU_CYCLE_1)
	s_add_co_i32 s13, s26, s12
	s_cmp_ge_i32 s13, s30
	s_cbranch_scc1 .LBB39_55
; %bb.40:                               ;   in Loop: Header=BB39_39 Depth=2
	s_ashr_i32 s13, s12, 31
	s_ashr_i32 s15, s14, 31
	v_lshl_add_u64 v[36:37], s[12:13], 2, v[34:35]
	s_max_i32 s27, s14, 1
	s_lshl_b64 s[16:17], s[14:15], 2
	s_lshl_b32 s13, s12, 2
	s_lshl_b32 s15, s14, 2
	s_mul_i32 s41, s12, 0x84
	s_mul_i32 s42, s14, 0x84
	s_branch .LBB39_42
.LBB39_41:                              ;   in Loop: Header=BB39_42 Depth=3
	v_add_nc_u64_e32 v[36:37], s[16:17], v[36:37]
	s_add_co_i32 s12, s12, s14
	s_add_co_i32 s13, s13, s15
	;; [unrolled: 1-line block ×4, first 2 shown]
	s_cmp_ge_i32 s18, s30
	s_cbranch_scc1 .LBB39_55
.LBB39_42:                              ;   Parent Loop BB39_5 Depth=1
                                        ;     Parent Loop BB39_39 Depth=2
                                        ; =>    This Loop Header: Depth=3
                                        ;         Child Loop BB39_43 Depth 4
                                        ;         Child Loop BB39_46 Depth 4
                                        ;           Child Loop BB39_47 Depth 5
                                        ;         Child Loop BB39_52 Depth 4
                                        ;           Child Loop BB39_54 Depth 5
	s_wait_xcnt 0x0
	v_mov_b64_e32 v[38:39], v[36:37]
	s_mov_b64 s[22:23], 0
.LBB39_43:                              ;   Parent Loop BB39_5 Depth=1
                                        ;     Parent Loop BB39_39 Depth=2
                                        ;       Parent Loop BB39_42 Depth=3
                                        ; =>      This Inner Loop Header: Depth=4
	global_load_b32 v40, v[38:39], off
	s_wait_xcnt 0x0
	v_add_nc_u64_e32 v[38:39], 4, v[38:39]
	s_mov_b32 m0, s22
	s_add_nc_u64 s[22:23], s[22:23], 1
	s_delay_alu instid0(SALU_CYCLE_1) | instskip(SKIP_2) | instid1(VALU_DEP_1)
	s_cmp_eq_u32 s27, s22
	s_wait_loadcnt 0x0
	v_mul_f32_e32 v40, s29, v40
	v_movreld_b32_e32 v2, v40
	s_cbranch_scc0 .LBB39_43
; %bb.44:                               ;   in Loop: Header=BB39_42 Depth=3
	s_cmp_lt_i32 s12, 1
	s_cbranch_scc1 .LBB39_49
; %bb.45:                               ;   in Loop: Header=BB39_42 Depth=3
	s_mov_b32 s18, 0
	s_mov_b32 s24, s13
.LBB39_46:                              ;   Parent Loop BB39_5 Depth=1
                                        ;     Parent Loop BB39_39 Depth=2
                                        ;       Parent Loop BB39_42 Depth=3
                                        ; =>      This Loop Header: Depth=4
                                        ;           Child Loop BB39_47 Depth 5
	v_lshl_add_u64 v[38:39], s[18:19], 2, v[70:71]
	s_mov_b64 s[22:23], 0
	s_mov_b32 s25, s24
	global_load_b32 v38, v[38:39], off
.LBB39_47:                              ;   Parent Loop BB39_5 Depth=1
                                        ;     Parent Loop BB39_39 Depth=2
                                        ;       Parent Loop BB39_42 Depth=3
                                        ;         Parent Loop BB39_46 Depth=4
                                        ; =>        This Inner Loop Header: Depth=5
	s_wait_xcnt 0x0
	v_mov_b32_e32 v39, s25
	s_mov_b32 m0, s22
	s_add_nc_u64 s[22:23], s[22:23], 1
	v_movrels_b32_e32 v40, v2
	s_add_co_i32 s25, s25, 4
	ds_load_b32 v39, v39
	s_cmp_eq_u32 s27, s22
	s_wait_loadcnt_dscnt 0x0
	v_fma_f32 v39, -v38, v39, v40
	s_delay_alu instid0(VALU_DEP_1)
	v_movreld_b32_e32 v2, v39
	s_cbranch_scc0 .LBB39_47
; %bb.48:                               ;   in Loop: Header=BB39_46 Depth=4
	s_add_co_i32 s18, s18, 1
	s_addk_co_i32 s24, 0x80
	s_cmp_eq_u32 s18, s12
	s_cbranch_scc0 .LBB39_46
.LBB39_49:                              ;   in Loop: Header=BB39_42 Depth=3
	s_mov_b64 s[22:23], 0
	s_mov_b32 s18, s41
	s_branch .LBB39_52
.LBB39_50:                              ;   in Loop: Header=BB39_52 Depth=4
	s_mov_b64 s[24:25], s[22:23]
.LBB39_51:                              ;   in Loop: Header=BB39_52 Depth=4
	s_delay_alu instid0(SALU_CYCLE_1)
	s_mov_b32 m0, s24
	s_add_co_i32 s24, s22, s12
	s_wait_xcnt 0x0
	v_movrels_b32_e32 v39, v2
	s_mul_i32 s25, s24, 0x84
	s_add_nc_u64 s[22:23], s[22:23], 1
	v_mov_b32_e32 v38, s25
	s_ashr_i32 s25, s24, 31
	s_add_co_i32 s18, s18, 4
	s_cmp_eq_u32 s22, s27
	ds_load_b32 v38, v38
	s_wait_dscnt 0x0
	v_mul_f32_e32 v40, v39, v38
	v_lshl_add_u64 v[38:39], s[24:25], 2, v[70:71]
	s_delay_alu instid0(VALU_DEP_2)
	v_movreld_b32_e32 v2, v40
	global_store_b32 v[38:39], v40, off
	s_cbranch_scc1 .LBB39_41
.LBB39_52:                              ;   Parent Loop BB39_5 Depth=1
                                        ;     Parent Loop BB39_39 Depth=2
                                        ;       Parent Loop BB39_42 Depth=3
                                        ; =>      This Loop Header: Depth=4
                                        ;           Child Loop BB39_54 Depth 5
	s_mov_b64 s[24:25], 0
	s_cmp_eq_u32 s22, 0
	s_cbranch_scc1 .LBB39_51
; %bb.53:                               ;   in Loop: Header=BB39_52 Depth=4
	s_mov_b32 s43, s18
.LBB39_54:                              ;   Parent Loop BB39_5 Depth=1
                                        ;     Parent Loop BB39_39 Depth=2
                                        ;       Parent Loop BB39_42 Depth=3
                                        ;         Parent Loop BB39_52 Depth=4
                                        ; =>        This Inner Loop Header: Depth=5
	s_wait_xcnt 0x0
	v_mov_b32_e32 v38, s43
	s_mov_b32 m0, s24
	s_add_nc_u64 s[24:25], s[24:25], 1
	v_movrels_b32_e32 v39, v2
	s_mov_b32 m0, s22
	ds_load_b32 v38, v38
	v_movrels_b32_e32 v40, v2
	s_addk_co_i32 s43, 0x80
	s_cmp_eq_u32 s22, s24
	s_wait_dscnt 0x0
	s_delay_alu instid0(VALU_DEP_1) | instskip(NEXT) | instid1(VALU_DEP_1)
	v_fma_f32 v38, -v39, v38, v40
	v_movreld_b32_e32 v2, v38
	s_cbranch_scc0 .LBB39_54
	s_branch .LBB39_50
.LBB39_55:                              ;   in Loop: Header=BB39_39 Depth=2
	s_cmp_lt_i32 s12, s30
	s_cselect_b32 s14, -1, 0
	s_add_co_i32 s13, s3, 1
	s_cmp_lt_u32 s3, 2
	s_wait_xcnt 0x0
	s_cselect_b32 s3, -1, 0
	s_delay_alu instid0(SALU_CYCLE_1) | instskip(NEXT) | instid1(SALU_CYCLE_1)
	s_and_b32 s3, s14, s3
	s_and_not1_b32 vcc_lo, exec_lo, s3
	s_cbranch_vccnz .LBB39_2
; %bb.56:                               ;   in Loop: Header=BB39_39 Depth=2
	s_mov_b32 s3, s13
	s_branch .LBB39_39
.LBB39_57:
	s_sendmsg sendmsg(MSG_DEALLOC_VGPRS)
	s_endpgm
	.section	.rodata,"a",@progbits
	.p2align	6, 0x0
	.amdhsa_kernel _ZL30rocblas_trsm_small_left_deviceILi32ELi32ELb1EffPKfPfEv13rocblas_fill_18rocblas_operation_17rocblas_diagonal_iiT3_T4_lilT5_lili
		.amdhsa_group_segment_fixed_size 4096
		.amdhsa_private_segment_fixed_size 0
		.amdhsa_kernarg_size 352
		.amdhsa_user_sgpr_count 2
		.amdhsa_user_sgpr_dispatch_ptr 0
		.amdhsa_user_sgpr_queue_ptr 0
		.amdhsa_user_sgpr_kernarg_segment_ptr 1
		.amdhsa_user_sgpr_dispatch_id 0
		.amdhsa_user_sgpr_kernarg_preload_length 0
		.amdhsa_user_sgpr_kernarg_preload_offset 0
		.amdhsa_user_sgpr_private_segment_size 0
		.amdhsa_wavefront_size32 1
		.amdhsa_uses_dynamic_stack 0
		.amdhsa_enable_private_segment 0
		.amdhsa_system_sgpr_workgroup_id_x 1
		.amdhsa_system_sgpr_workgroup_id_y 0
		.amdhsa_system_sgpr_workgroup_id_z 1
		.amdhsa_system_sgpr_workgroup_info 0
		.amdhsa_system_vgpr_workitem_id 0
		.amdhsa_next_free_vgpr 77
		.amdhsa_next_free_sgpr 48
		.amdhsa_named_barrier_count 0
		.amdhsa_reserve_vcc 1
		.amdhsa_float_round_mode_32 0
		.amdhsa_float_round_mode_16_64 0
		.amdhsa_float_denorm_mode_32 3
		.amdhsa_float_denorm_mode_16_64 3
		.amdhsa_fp16_overflow 0
		.amdhsa_memory_ordered 1
		.amdhsa_forward_progress 1
		.amdhsa_inst_pref_size 19
		.amdhsa_round_robin_scheduling 0
		.amdhsa_exception_fp_ieee_invalid_op 0
		.amdhsa_exception_fp_denorm_src 0
		.amdhsa_exception_fp_ieee_div_zero 0
		.amdhsa_exception_fp_ieee_overflow 0
		.amdhsa_exception_fp_ieee_underflow 0
		.amdhsa_exception_fp_ieee_inexact 0
		.amdhsa_exception_int_div_zero 0
	.end_amdhsa_kernel
	.section	.text._ZL30rocblas_trsm_small_left_deviceILi32ELi32ELb1EffPKfPfEv13rocblas_fill_18rocblas_operation_17rocblas_diagonal_iiT3_T4_lilT5_lili,"axG",@progbits,_ZL30rocblas_trsm_small_left_deviceILi32ELi32ELb1EffPKfPfEv13rocblas_fill_18rocblas_operation_17rocblas_diagonal_iiT3_T4_lilT5_lili,comdat
.Lfunc_end39:
	.size	_ZL30rocblas_trsm_small_left_deviceILi32ELi32ELb1EffPKfPfEv13rocblas_fill_18rocblas_operation_17rocblas_diagonal_iiT3_T4_lilT5_lili, .Lfunc_end39-_ZL30rocblas_trsm_small_left_deviceILi32ELi32ELb1EffPKfPfEv13rocblas_fill_18rocblas_operation_17rocblas_diagonal_iiT3_T4_lilT5_lili
                                        ; -- End function
	.set _ZL30rocblas_trsm_small_left_deviceILi32ELi32ELb1EffPKfPfEv13rocblas_fill_18rocblas_operation_17rocblas_diagonal_iiT3_T4_lilT5_lili.num_vgpr, 77
	.set _ZL30rocblas_trsm_small_left_deviceILi32ELi32ELb1EffPKfPfEv13rocblas_fill_18rocblas_operation_17rocblas_diagonal_iiT3_T4_lilT5_lili.num_agpr, 0
	.set _ZL30rocblas_trsm_small_left_deviceILi32ELi32ELb1EffPKfPfEv13rocblas_fill_18rocblas_operation_17rocblas_diagonal_iiT3_T4_lilT5_lili.numbered_sgpr, 48
	.set _ZL30rocblas_trsm_small_left_deviceILi32ELi32ELb1EffPKfPfEv13rocblas_fill_18rocblas_operation_17rocblas_diagonal_iiT3_T4_lilT5_lili.num_named_barrier, 0
	.set _ZL30rocblas_trsm_small_left_deviceILi32ELi32ELb1EffPKfPfEv13rocblas_fill_18rocblas_operation_17rocblas_diagonal_iiT3_T4_lilT5_lili.private_seg_size, 0
	.set _ZL30rocblas_trsm_small_left_deviceILi32ELi32ELb1EffPKfPfEv13rocblas_fill_18rocblas_operation_17rocblas_diagonal_iiT3_T4_lilT5_lili.uses_vcc, 1
	.set _ZL30rocblas_trsm_small_left_deviceILi32ELi32ELb1EffPKfPfEv13rocblas_fill_18rocblas_operation_17rocblas_diagonal_iiT3_T4_lilT5_lili.uses_flat_scratch, 0
	.set _ZL30rocblas_trsm_small_left_deviceILi32ELi32ELb1EffPKfPfEv13rocblas_fill_18rocblas_operation_17rocblas_diagonal_iiT3_T4_lilT5_lili.has_dyn_sized_stack, 0
	.set _ZL30rocblas_trsm_small_left_deviceILi32ELi32ELb1EffPKfPfEv13rocblas_fill_18rocblas_operation_17rocblas_diagonal_iiT3_T4_lilT5_lili.has_recursion, 0
	.set _ZL30rocblas_trsm_small_left_deviceILi32ELi32ELb1EffPKfPfEv13rocblas_fill_18rocblas_operation_17rocblas_diagonal_iiT3_T4_lilT5_lili.has_indirect_call, 0
	.section	.AMDGPU.csdata,"",@progbits
; Kernel info:
; codeLenInByte = 2344
; TotalNumSgprs: 50
; NumVgprs: 77
; ScratchSize: 0
; MemoryBound: 0
; FloatMode: 240
; IeeeMode: 1
; LDSByteSize: 4096 bytes/workgroup (compile time only)
; SGPRBlocks: 0
; VGPRBlocks: 4
; NumSGPRsForWavesPerEU: 50
; NumVGPRsForWavesPerEU: 77
; NamedBarCnt: 0
; Occupancy: 12
; WaveLimiterHint : 0
; COMPUTE_PGM_RSRC2:SCRATCH_EN: 0
; COMPUTE_PGM_RSRC2:USER_SGPR: 2
; COMPUTE_PGM_RSRC2:TRAP_HANDLER: 0
; COMPUTE_PGM_RSRC2:TGID_X_EN: 1
; COMPUTE_PGM_RSRC2:TGID_Y_EN: 0
; COMPUTE_PGM_RSRC2:TGID_Z_EN: 1
; COMPUTE_PGM_RSRC2:TIDIG_COMP_CNT: 0
	.section	.text._ZL31rocblas_trsm_small_right_deviceIffPKfPfLi32EEv13rocblas_fill_18rocblas_operation_17rocblas_diagonal_iiT0_T1_lilT2_lili,"axG",@progbits,_ZL31rocblas_trsm_small_right_deviceIffPKfPfLi32EEv13rocblas_fill_18rocblas_operation_17rocblas_diagonal_iiT0_T1_lilT2_lili,comdat
	.globl	_ZL31rocblas_trsm_small_right_deviceIffPKfPfLi32EEv13rocblas_fill_18rocblas_operation_17rocblas_diagonal_iiT0_T1_lilT2_lili ; -- Begin function _ZL31rocblas_trsm_small_right_deviceIffPKfPfLi32EEv13rocblas_fill_18rocblas_operation_17rocblas_diagonal_iiT0_T1_lilT2_lili
	.p2align	8
	.type	_ZL31rocblas_trsm_small_right_deviceIffPKfPfLi32EEv13rocblas_fill_18rocblas_operation_17rocblas_diagonal_iiT0_T1_lilT2_lili,@function
_ZL31rocblas_trsm_small_right_deviceIffPKfPfLi32EEv13rocblas_fill_18rocblas_operation_17rocblas_diagonal_iiT0_T1_lilT2_lili: ; @_ZL31rocblas_trsm_small_right_deviceIffPKfPfLi32EEv13rocblas_fill_18rocblas_operation_17rocblas_diagonal_iiT0_T1_lilT2_lili
; %bb.0:
	s_load_b32 s19, s[0:1], 0x58
	s_bfe_u32 s2, ttmp6, 0x40014
	s_lshr_b32 s3, ttmp7, 16
	s_add_co_i32 s2, s2, 1
	s_bfe_u32 s5, ttmp6, 0x40008
	s_mul_i32 s2, s3, s2
	s_getreg_b32 s4, hwreg(HW_REG_IB_STS2, 6, 4)
	s_add_co_i32 s5, s5, s2
	s_cmp_eq_u32 s4, 0
	s_cselect_b32 s2, s3, s5
	s_mov_b32 s3, 0
	s_wait_kmcnt 0x0
	s_cmp_ge_u32 s2, s19
	s_cbranch_scc1 .LBB40_98
; %bb.1:
	s_clause 0x6
	s_load_b32 s22, s[0:1], 0x28
	s_load_b96 s[16:18], s[0:1], 0x40
	s_load_b128 s[12:15], s[0:1], 0x0
	s_load_b64 s[20:21], s[0:1], 0x10
	s_load_b32 s5, s[0:1], 0x60
	s_load_b128 s[8:11], s[0:1], 0x18
	s_load_b64 s[38:39], s[0:1], 0x50
	v_dual_lshlrev_b32 v2, 2, v0 :: v_dual_lshlrev_b32 v6, 7, v0
	v_mov_b32_e32 v17, 1.0
	s_delay_alu instid0(VALU_DEP_2) | instskip(NEXT) | instid1(VALU_DEP_3)
	v_or_b32_e32 v15, 0x1000, v2
	v_add_nc_u32_e32 v16, v2, v6
	s_wait_kmcnt 0x0
	s_ashr_i32 s23, s22, 31
	s_mov_b32 s24, s18
	s_cmp_eq_u64 s[22:23], 1
	s_cselect_b32 s33, -1, 0
	s_ashr_i32 s25, s18, 31
	s_delay_alu instid0(SALU_CYCLE_1)
	s_cmp_eq_u64 s[24:25], 1
	s_cselect_b32 s36, -1, 0
	s_cmp_lg_u32 s12, 0x7a
	s_cselect_b32 s27, -1, 0
	s_bfe_u32 s6, ttmp6, 0x4000c
	s_min_i32 s18, s20, 32
	s_add_co_i32 s6, s6, 1
	s_and_b32 s7, ttmp6, 15
	s_mul_i32 s6, ttmp9, s6
	s_add_co_i32 s5, s5, -1
	s_add_co_i32 s26, s18, -1
	s_add_co_i32 s7, s7, s6
	s_cmp_eq_u32 s4, 0
	s_mul_i32 s46, s18, 0x84
	s_cselect_b32 s28, ttmp9, s7
	s_delay_alu instid0(SALU_CYCLE_1) | instskip(NEXT) | instid1(SALU_CYCLE_1)
	s_lshl_b32 s4, s28, 5
	s_sub_co_i32 s15, s15, s4
	s_cmp_ge_u32 s28, s5
	s_load_b128 s[4:7], s[0:1], 0x30
	s_cselect_b32 s15, s15, 32
	s_ashr_i32 s29, s28, 31
	v_cmp_gt_i32_e32 vcc_lo, s15, v0
	s_lshl_b64 s[40:41], s[28:29], 7
	s_cmp_eq_u32 s14, 0x84
	s_wait_xcnt 0x0
	s_cselect_b32 s1, -1, 0
	s_cmp_gt_i32 s20, 0
	s_cselect_b32 s0, -1, 0
	s_cmp_lg_u32 s13, 0x6f
	s_cselect_b32 s13, -1, 0
	s_cmp_lg_u32 s12, 0x79
	s_cselect_b32 s12, -1, 0
	s_or_b32 s27, s27, s13
	s_or_b32 s28, s12, s13
	s_cmp_gt_i32 s20, 3
	v_cndmask_b32_e64 v14, 0, 1, s12
	s_cselect_b32 s29, -1, 0
	s_and_b32 s30, vcc_lo, s0
	s_cmp_gt_u32 s18, 1
	s_mov_b32 s12, s21
	s_cselect_b32 s0, -1, 0
	s_and_b32 s31, s18, -2
	s_and_b32 s33, s0, s33
	s_cmp_lg_u32 s18, s31
	v_cmp_gt_i32_e64 s0, s18, v0
	s_cselect_b32 s34, -1, 0
	s_cmp_gt_u32 s20, 1
	s_mov_b32 s13, s21
	s_cselect_b32 s14, -1, 0
	s_and_b32 s35, s20, 0x7ffffffe
	s_and_b32 s36, s14, s36
	s_cmp_lg_u32 s20, s35
	s_cselect_b32 s37, -1, 0
	s_lshl_b64 s[44:45], s[16:17], 2
	s_lshl_b64 s[16:17], s[24:25], 2
	s_lshl_b32 s24, s18, 7
	s_delay_alu instid0(SALU_CYCLE_1)
	v_dual_mov_b32 v3, 0 :: v_dual_bitop2_b32 v7, s24, v2 bitop3:0x54
	s_lshl_b64 s[42:43], s[10:11], 2
	s_lshl_b64 s[14:15], s[38:39], 2
	s_add_nc_u64 s[38:39], s[40:41], s[44:45]
	s_add_nc_u64 s[8:9], s[8:9], s[42:43]
	s_wait_kmcnt 0x0
	s_add_nc_u64 s[6:7], s[6:7], s[38:39]
	v_add_nc_u64_e32 v[0:1], s[8:9], v[2:3]
	v_add_nc_u64_e32 v[4:5], s[6:7], v[2:3]
	v_add_nc_u32_e32 v3, 0xf80, v7
	s_lshl_b32 s39, s18, 2
	s_lshl_b64 s[4:5], s[4:5], 2
	s_lshl_b64 s[10:11], s[22:23], 2
	s_add_co_i32 s22, s46, 0xffffff70
	s_add_co_i32 s23, s24, 0xffffff80
	s_addk_co_i32 s24, 0xff7c
	s_add_co_i32 s25, s46, 0xfffffdfc
	s_add_co_i32 s38, s39, -4
	s_addk_co_i32 s39, 0xff7c
	s_branch .LBB40_3
.LBB40_2:                               ;   in Loop: Header=BB40_3 Depth=1
	s_or_b32 exec_lo, exec_lo, s40
	s_add_co_i32 s2, s2, 0x10000
	s_delay_alu instid0(SALU_CYCLE_1)
	s_cmp_lt_u32 s2, s19
	s_cbranch_scc0 .LBB40_98
.LBB40_3:                               ; =>This Loop Header: Depth=1
                                        ;     Child Loop BB40_6 Depth 2
                                        ;     Child Loop BB40_10 Depth 2
	;; [unrolled: 1-line block ×5, first 2 shown]
                                        ;       Child Loop BB40_27 Depth 3
                                        ;     Child Loop BB40_34 Depth 2
                                        ;       Child Loop BB40_35 Depth 3
                                        ;     Child Loop BB40_39 Depth 2
	;; [unrolled: 2-line block ×3, first 2 shown]
                                        ;     Child Loop BB40_52 Depth 2
                                        ;       Child Loop BB40_53 Depth 3
                                        ;       Child Loop BB40_55 Depth 3
                                        ;     Child Loop BB40_59 Depth 2
                                        ;       Child Loop BB40_60 Depth 3
                                        ;     Child Loop BB40_68 Depth 2
                                        ;     Child Loop BB40_73 Depth 2
                                        ;       Child Loop BB40_74 Depth 3
                                        ;       Child Loop BB40_76 Depth 3
                                        ;     Child Loop BB40_81 Depth 2
                                        ;       Child Loop BB40_82 Depth 3
                                        ;     Child Loop BB40_88 Depth 2
	;; [unrolled: 2-line block ×3, first 2 shown]
                                        ;     Child Loop BB40_97 Depth 2
	s_and_saveexec_b32 s40, s0
	s_cbranch_execz .LBB40_13
; %bb.4:                                ;   in Loop: Header=BB40_3 Depth=1
	s_and_not1_b32 vcc_lo, exec_lo, s33
	s_mul_u64 s[6:7], s[4:5], s[2:3]
	s_cbranch_vccnz .LBB40_8
; %bb.5:                                ;   in Loop: Header=BB40_3 Depth=1
	v_add_nc_u64_e32 v[6:7], s[6:7], v[0:1]
	s_mov_b32 s9, 1
	s_mov_b32 s41, 0
	;; [unrolled: 1-line block ×3, first 2 shown]
.LBB40_6:                               ;   Parent Loop BB40_3 Depth=1
                                        ; =>  This Inner Loop Header: Depth=2
	global_load_b64 v[8:9], v[6:7], off
	s_wait_xcnt 0x0
	v_add_nc_u64_e32 v[6:7], 8, v[6:7]
	v_lshl_or_b32 v10, s41, 7, v2
	v_lshl_or_b32 v11, s9, 7, v2
	s_add_co_i32 s42, s42, -2
	s_add_co_i32 s41, s41, 2
	s_add_co_i32 s9, s9, 2
	s_mov_b32 s8, s31
	s_mov_b32 s43, s34
	s_cmp_lg_u32 s42, 0
	s_wait_loadcnt 0x0
	ds_store_b32 v10, v8
	ds_store_b32 v11, v9
	s_cbranch_scc1 .LBB40_6
; %bb.7:                                ;   in Loop: Header=BB40_3 Depth=1
	s_and_b32 vcc_lo, exec_lo, s43
	s_cbranch_vccnz .LBB40_9
	s_branch .LBB40_11
.LBB40_8:                               ;   in Loop: Header=BB40_3 Depth=1
	s_mov_b32 s8, 0
	s_cbranch_execz .LBB40_11
.LBB40_9:                               ;   in Loop: Header=BB40_3 Depth=1
	s_mov_b32 s9, s3
	v_lshl_or_b32 v8, s8, 7, v2
	s_mul_u64 s[42:43], s[10:11], s[8:9]
	s_delay_alu instid0(SALU_CYCLE_1) | instskip(NEXT) | instid1(SALU_CYCLE_1)
	s_add_nc_u64 s[6:7], s[42:43], s[6:7]
	v_add_nc_u64_e32 v[6:7], s[6:7], v[0:1]
	s_sub_co_i32 s6, s18, s8
.LBB40_10:                              ;   Parent Loop BB40_3 Depth=1
                                        ; =>  This Inner Loop Header: Depth=2
	global_load_b32 v9, v[6:7], off
	s_wait_xcnt 0x0
	v_add_nc_u64_e32 v[6:7], s[10:11], v[6:7]
	s_add_co_i32 s6, s6, -1
	s_delay_alu instid0(SALU_CYCLE_1)
	s_cmp_eq_u32 s6, 0
	s_wait_loadcnt 0x0
	ds_store_b32 v8, v9
	v_add_nc_u32_e32 v8, 0x80, v8
	s_cbranch_scc0 .LBB40_10
.LBB40_11:                              ;   in Loop: Header=BB40_3 Depth=1
	s_and_b32 vcc_lo, exec_lo, s1
	s_cbranch_vccz .LBB40_13
; %bb.12:                               ;   in Loop: Header=BB40_3 Depth=1
	ds_store_b32 v16, v17
.LBB40_13:                              ;   in Loop: Header=BB40_3 Depth=1
	s_or_b32 exec_lo, exec_lo, s40
	s_mul_u64 s[6:7], s[14:15], s[2:3]
	s_delay_alu instid0(SALU_CYCLE_1)
	v_add_nc_u64_e32 v[6:7], s[6:7], v[4:5]
	s_and_saveexec_b32 s40, s30
	s_cbranch_execz .LBB40_21
; %bb.14:                               ;   in Loop: Header=BB40_3 Depth=1
	s_and_not1_b32 vcc_lo, exec_lo, s36
	s_cbranch_vccnz .LBB40_18
; %bb.15:                               ;   in Loop: Header=BB40_3 Depth=1
	s_delay_alu instid0(VALU_DEP_1)
	v_mov_b64_e32 v[8:9], v[6:7]
	s_mov_b32 s9, 1
	s_mov_b32 s41, 0
	;; [unrolled: 1-line block ×3, first 2 shown]
.LBB40_16:                              ;   Parent Loop BB40_3 Depth=1
                                        ; =>  This Inner Loop Header: Depth=2
	global_load_b64 v[10:11], v[8:9], off
	v_mov_b64_e32 v[12:13], s[12:13]
	s_wait_xcnt 0x0
	v_add_nc_u64_e32 v[8:9], 8, v[8:9]
	v_lshl_add_u32 v18, s41, 7, v15
	v_lshl_add_u32 v19, s9, 7, v15
	s_add_co_i32 s42, s42, -2
	s_add_co_i32 s41, s41, 2
	s_add_co_i32 s9, s9, 2
	s_mov_b32 s8, s35
	s_mov_b32 s43, s37
	s_cmp_lg_u32 s42, 0
	s_wait_loadcnt 0x0
	v_pk_mul_f32 v[10:11], v[12:13], v[10:11]
	ds_store_b32 v18, v10
	ds_store_b32 v19, v11
	s_cbranch_scc1 .LBB40_16
; %bb.17:                               ;   in Loop: Header=BB40_3 Depth=1
	s_and_b32 vcc_lo, exec_lo, s43
	s_cbranch_vccnz .LBB40_19
	s_branch .LBB40_21
.LBB40_18:                              ;   in Loop: Header=BB40_3 Depth=1
	s_mov_b32 s8, 0
	s_cbranch_execz .LBB40_21
.LBB40_19:                              ;   in Loop: Header=BB40_3 Depth=1
	s_mov_b32 s9, s3
	v_lshl_add_u32 v10, s8, 7, v15
	s_mul_u64 s[42:43], s[16:17], s[8:9]
	s_sub_co_i32 s8, s20, s8
	s_add_nc_u64 s[42:43], s[42:43], s[6:7]
	s_delay_alu instid0(SALU_CYCLE_1)
	v_add_nc_u64_e32 v[8:9], s[42:43], v[4:5]
.LBB40_20:                              ;   Parent Loop BB40_3 Depth=1
                                        ; =>  This Inner Loop Header: Depth=2
	global_load_b32 v11, v[8:9], off
	s_wait_xcnt 0x0
	v_add_nc_u64_e32 v[8:9], s[16:17], v[8:9]
	s_add_co_i32 s8, s8, -1
	s_delay_alu instid0(SALU_CYCLE_1)
	s_cmp_lg_u32 s8, 0
	s_wait_loadcnt 0x0
	v_mul_f32_e32 v11, s21, v11
	ds_store_b32 v10, v11
	v_add_nc_u32_e32 v10, 0x80, v10
	s_cbranch_scc1 .LBB40_20
.LBB40_21:                              ;   in Loop: Header=BB40_3 Depth=1
	s_or_b32 exec_lo, exec_lo, s40
	s_delay_alu instid0(SALU_CYCLE_1)
	s_and_b32 vcc_lo, exec_lo, s28
	s_mov_b32 s8, -1
	s_wait_dscnt 0x0
	; wave barrier
	s_cbranch_vccz .LBB40_78
; %bb.22:                               ;   in Loop: Header=BB40_3 Depth=1
	s_and_b32 vcc_lo, exec_lo, s27
	s_cbranch_vccz .LBB40_57
; %bb.23:                               ;   in Loop: Header=BB40_3 Depth=1
	v_cmp_ne_u32_e32 vcc_lo, 1, v14
	s_cbranch_vccnz .LBB40_37
; %bb.24:                               ;   in Loop: Header=BB40_3 Depth=1
	s_and_not1_b32 vcc_lo, exec_lo, s29
	s_mov_b32 s40, 0
	s_cbranch_vccnz .LBB40_31
; %bb.25:                               ;   in Loop: Header=BB40_3 Depth=1
	s_mov_b32 s8, 0
	s_mov_b32 s9, 0
.LBB40_26:                              ;   Parent Loop BB40_3 Depth=1
                                        ; =>  This Loop Header: Depth=2
                                        ;       Child Loop BB40_27 Depth 3
	s_delay_alu instid0(SALU_CYCLE_1) | instskip(SKIP_2) | instid1(SALU_CYCLE_1)
	s_lshl_b32 s41, s9, 7
	s_or_b32 s40, s9, 1
	s_or_b32 s42, s41, 0x180
	v_dual_add_nc_u32 v18, s41, v15 :: v_dual_add_nc_u32 v20, s42, v15
	v_lshl_add_u32 v19, s40, 7, v15
	s_cmp_eq_u32 s9, 0
	s_mov_b32 s42, s8
	ds_load_2addr_stride64_b32 v[12:13], v18 offset1:1
	ds_load_b32 v11, v19
	ds_load_b32 v9, v20
	v_mov_b32_e32 v21, v15
	s_mov_b32 s43, s9
	s_wait_dscnt 0x2
	v_dual_mov_b32 v10, v12 :: v_dual_mov_b32 v8, v13
	s_cbranch_scc1 .LBB40_29
.LBB40_27:                              ;   Parent Loop BB40_3 Depth=1
                                        ;     Parent Loop BB40_26 Depth=2
                                        ; =>    This Inner Loop Header: Depth=3
	v_mov_b32_e32 v13, s42
	s_add_co_i32 s43, s43, -1
	s_addk_co_i32 s42, 0x80
	s_cmp_eq_u32 s43, 0
	ds_load_b32 v12, v21
	ds_load_b128 v[22:25], v13
	v_add_nc_u32_e32 v21, 0x80, v21
	s_wait_dscnt 0x0
	v_pk_fma_f32 v[10:11], v[12:13], v[22:23], v[10:11] op_sel_hi:[0,1,1] neg_lo:[1,0,0] neg_hi:[1,0,0]
	v_pk_fma_f32 v[8:9], v[12:13], v[24:25], v[8:9] op_sel_hi:[0,1,1] neg_lo:[1,0,0] neg_hi:[1,0,0]
	s_cbranch_scc0 .LBB40_27
; %bb.28:                               ;   in Loop: Header=BB40_26 Depth=2
	s_delay_alu instid0(VALU_DEP_1)
	v_dual_mov_b32 v13, v8 :: v_dual_mov_b32 v12, v10
.LBB40_29:                              ;   in Loop: Header=BB40_26 Depth=2
	s_lshl_b32 s42, s9, 2
	s_lshl_b32 s40, s40, 2
	s_add_co_i32 s41, s42, s41
	s_delay_alu instid0(SALU_CYCLE_1)
	v_dual_mov_b32 v21, s41 :: v_dual_add_nc_u32 v8, 0x100, v18
	s_addk_co_i32 s41, 0x84
	s_add_co_i32 s8, s8, 16
	s_sub_co_i32 s40, s41, s40
	ds_load_b128 v[22:25], v21
	ds_load_2addr_b32 v[26:27], v21 offset0:33 offset1:34
	s_add_co_i32 s40, s40, s42
	s_wait_dscnt 0x1
	v_div_scale_f32 v10, null, v22, v22, v12
	v_div_scale_f32 v30, vcc_lo, v12, v22, v12
	s_delay_alu instid0(VALU_DEP_2) | instskip(SKIP_1) | instid1(TRANS32_DEP_1)
	v_rcp_f32_e32 v28, v10
	v_nop
	v_fma_f32 v29, -v10, v28, 1.0
	s_delay_alu instid0(VALU_DEP_1) | instskip(NEXT) | instid1(VALU_DEP_1)
	v_fmac_f32_e32 v28, v29, v28
	v_mul_f32_e32 v29, v30, v28
	s_delay_alu instid0(VALU_DEP_1) | instskip(NEXT) | instid1(VALU_DEP_1)
	v_fma_f32 v31, -v10, v29, v30
	v_fmac_f32_e32 v29, v31, v28
	s_delay_alu instid0(VALU_DEP_1) | instskip(NEXT) | instid1(VALU_DEP_1)
	v_fma_f32 v10, -v10, v29, v30
	v_div_fmas_f32 v10, v10, v28, v29
	s_delay_alu instid0(VALU_DEP_1) | instskip(NEXT) | instid1(VALU_DEP_1)
	v_div_fixup_f32 v12, v10, v22, v12
	v_dual_fma_f32 v22, -v12, v23, v11 :: v_dual_fma_f32 v13, -v12, v24, v13
	v_fma_f32 v9, -v12, v25, v9
	s_wait_dscnt 0x0
	s_delay_alu instid0(VALU_DEP_2) | instskip(SKIP_1) | instid1(VALU_DEP_2)
	v_div_scale_f32 v23, null, v26, v26, v22
	v_div_scale_f32 v29, vcc_lo, v22, v26, v22
	v_rcp_f32_e32 v28, v23
	v_nop
	s_delay_alu instid0(TRANS32_DEP_1) | instskip(NEXT) | instid1(VALU_DEP_1)
	v_fma_f32 v10, -v23, v28, 1.0
	v_fmac_f32_e32 v28, v10, v28
	s_delay_alu instid0(VALU_DEP_1) | instskip(NEXT) | instid1(VALU_DEP_1)
	v_mul_f32_e32 v30, v29, v28
	v_fma_f32 v10, -v23, v30, v29
	s_delay_alu instid0(VALU_DEP_1) | instskip(SKIP_3) | instid1(VALU_DEP_1)
	v_fmac_f32_e32 v30, v10, v28
	ds_load_b64 v[10:11], v21 offset:264
	ds_load_b32 v21, v21 offset:396
	v_fma_f32 v23, -v23, v30, v29
	v_div_fmas_f32 v23, v23, v28, v30
	s_delay_alu instid0(VALU_DEP_1) | instskip(NEXT) | instid1(VALU_DEP_1)
	v_div_fixup_f32 v22, v23, v26, v22
	v_fma_f32 v13, -v22, v27, v13
	s_wait_dscnt 0x1
	s_delay_alu instid0(VALU_DEP_1) | instskip(SKIP_1) | instid1(VALU_DEP_2)
	v_div_scale_f32 v23, null, v10, v10, v13
	v_div_scale_f32 v27, vcc_lo, v13, v10, v13
	v_rcp_f32_e32 v24, v23
	v_nop
	s_delay_alu instid0(TRANS32_DEP_1) | instskip(NEXT) | instid1(VALU_DEP_1)
	v_fma_f32 v26, -v23, v24, 1.0
	v_dual_fmac_f32 v24, v26, v24 :: v_dual_mov_b32 v26, s40
	s_add_co_i32 s40, s9, 4
	s_add_co_i32 s9, s9, 7
	s_delay_alu instid0(VALU_DEP_1) | instskip(SKIP_3) | instid1(VALU_DEP_1)
	v_mul_f32_e32 v28, v27, v24
	ds_load_b32 v26, v26 offset:12
	s_cmp_ge_i32 s9, s18
	v_fma_f32 v29, -v23, v28, v27
	v_fmac_f32_e32 v28, v29, v24
	s_delay_alu instid0(VALU_DEP_1) | instskip(NEXT) | instid1(VALU_DEP_1)
	v_fma_f32 v23, -v23, v28, v27
	v_div_fmas_f32 v23, v23, v24, v28
	s_wait_dscnt 0x0
	v_fma_f32 v9, -v22, v26, v9
	s_delay_alu instid0(VALU_DEP_2) | instskip(NEXT) | instid1(VALU_DEP_1)
	v_div_fixup_f32 v10, v23, v10, v13
	v_fma_f32 v9, -v10, v11, v9
	s_delay_alu instid0(VALU_DEP_1) | instskip(SKIP_1) | instid1(VALU_DEP_2)
	v_div_scale_f32 v11, null, v21, v21, v9
	v_div_scale_f32 v24, vcc_lo, v9, v21, v9
	v_rcp_f32_e32 v13, v11
	v_nop
	s_delay_alu instid0(TRANS32_DEP_1) | instskip(NEXT) | instid1(VALU_DEP_1)
	v_fma_f32 v23, -v11, v13, 1.0
	v_fmac_f32_e32 v13, v23, v13
	s_delay_alu instid0(VALU_DEP_1) | instskip(NEXT) | instid1(VALU_DEP_1)
	v_mul_f32_e32 v23, v24, v13
	v_fma_f32 v25, -v11, v23, v24
	s_delay_alu instid0(VALU_DEP_1) | instskip(NEXT) | instid1(VALU_DEP_1)
	v_fmac_f32_e32 v23, v25, v13
	v_fma_f32 v11, -v11, v23, v24
	s_delay_alu instid0(VALU_DEP_1) | instskip(NEXT) | instid1(VALU_DEP_1)
	v_div_fmas_f32 v11, v11, v13, v23
	v_div_fixup_f32 v9, v11, v21, v9
	ds_store_b32 v18, v12
	ds_store_b32 v19, v22
	;; [unrolled: 1-line block ×4, first 2 shown]
	s_cbranch_scc1 .LBB40_31
; %bb.30:                               ;   in Loop: Header=BB40_26 Depth=2
	s_mov_b32 s9, s40
	s_branch .LBB40_26
.LBB40_31:                              ;   in Loop: Header=BB40_3 Depth=1
	s_cmp_ge_i32 s40, s18
	s_cbranch_scc1 .LBB40_36
; %bb.32:                               ;   in Loop: Header=BB40_3 Depth=1
	s_lshl_b32 s8, s40, 2
	s_branch .LBB40_34
.LBB40_33:                              ;   in Loop: Header=BB40_34 Depth=2
	s_lshl_b32 s41, s40, 2
	s_add_co_i32 s40, s40, 1
	s_add_co_i32 s9, s41, s9
	;; [unrolled: 1-line block ×3, first 2 shown]
	v_mov_b32_e32 v10, s9
	s_cmp_ge_i32 s40, s18
	ds_load_b32 v10, v10
	s_wait_dscnt 0x0
	v_div_scale_f32 v11, null, v10, v10, v9
	s_delay_alu instid0(VALU_DEP_1) | instskip(SKIP_1) | instid1(TRANS32_DEP_1)
	v_rcp_f32_e32 v12, v11
	v_nop
	v_fma_f32 v13, -v11, v12, 1.0
	s_delay_alu instid0(VALU_DEP_1) | instskip(SKIP_1) | instid1(VALU_DEP_1)
	v_fmac_f32_e32 v12, v13, v12
	v_div_scale_f32 v13, vcc_lo, v9, v10, v9
	v_mul_f32_e32 v18, v13, v12
	s_delay_alu instid0(VALU_DEP_1) | instskip(NEXT) | instid1(VALU_DEP_1)
	v_fma_f32 v19, -v11, v18, v13
	v_fmac_f32_e32 v18, v19, v12
	s_delay_alu instid0(VALU_DEP_1) | instskip(NEXT) | instid1(VALU_DEP_1)
	v_fma_f32 v11, -v11, v18, v13
	v_div_fmas_f32 v11, v11, v12, v18
	s_delay_alu instid0(VALU_DEP_1)
	v_div_fixup_f32 v9, v11, v10, v9
	ds_store_b32 v8, v9
	s_cbranch_scc1 .LBB40_36
.LBB40_34:                              ;   Parent Loop BB40_3 Depth=1
                                        ; =>  This Loop Header: Depth=2
                                        ;       Child Loop BB40_35 Depth 3
	s_lshl_b32 s9, s40, 7
	s_cmp_eq_u32 s40, 0
	v_dual_add_nc_u32 v8, s9, v15 :: v_dual_mov_b32 v10, v15
	s_mov_b32 s41, s8
	s_mov_b32 s42, s40
	ds_load_b32 v9, v8
	s_cbranch_scc1 .LBB40_33
.LBB40_35:                              ;   Parent Loop BB40_3 Depth=1
                                        ;     Parent Loop BB40_34 Depth=2
                                        ; =>    This Inner Loop Header: Depth=3
	v_mov_b32_e32 v11, s41
	s_add_co_i32 s42, s42, -1
	s_addk_co_i32 s41, 0x80
	s_cmp_eq_u32 s42, 0
	ds_load_b32 v12, v10
	ds_load_b32 v11, v11
	v_add_nc_u32_e32 v10, 0x80, v10
	s_wait_dscnt 0x0
	v_fma_f32 v9, -v12, v11, v9
	s_cbranch_scc0 .LBB40_35
	s_branch .LBB40_33
.LBB40_36:                              ;   in Loop: Header=BB40_3 Depth=1
	s_mov_b32 s8, 0
.LBB40_37:                              ;   in Loop: Header=BB40_3 Depth=1
	s_delay_alu instid0(SALU_CYCLE_1)
	s_and_b32 vcc_lo, exec_lo, s8
	s_cbranch_vccz .LBB40_56
; %bb.38:                               ;   in Loop: Header=BB40_3 Depth=1
	s_mov_b32 s40, s26
	s_and_not1_b32 vcc_lo, exec_lo, s29
	s_mov_b32 s8, s22
	s_mov_b32 s9, s26
	s_cbranch_vccnz .LBB40_43
.LBB40_39:                              ;   Parent Loop BB40_3 Depth=1
                                        ; =>  This Loop Header: Depth=2
                                        ;       Child Loop BB40_40 Depth 3
	s_add_co_i32 s42, s9, -1
	s_add_co_i32 s43, s9, -3
	v_lshl_add_u32 v12, s9, 7, v15
	s_add_co_i32 s41, s9, -2
	v_lshl_add_u32 v13, s42, 7, v15
	s_lshl_b32 s40, s43, 7
	v_lshl_add_u32 v18, s41, 7, v15
	v_dual_mov_b32 v20, v3 :: v_dual_add_nc_u32 v19, s40, v15
	ds_load_b32 v11, v12
	ds_load_b32 v10, v13
	;; [unrolled: 1-line block ×4, first 2 shown]
	s_cmp_le_i32 s26, s9
	s_mov_b32 s44, s8
	s_mov_b32 s45, s26
	s_cbranch_scc1 .LBB40_41
.LBB40_40:                              ;   Parent Loop BB40_3 Depth=1
                                        ;     Parent Loop BB40_39 Depth=2
                                        ; =>    This Inner Loop Header: Depth=3
	v_mov_b32_e32 v21, s44
	s_add_co_i32 s45, s45, -1
	s_addk_co_i32 s44, 0xff80
	s_cmp_le_i32 s45, s9
	ds_load_b32 v22, v20
	ds_load_2addr_b32 v[24:25], v21 offset0:2 offset1:3
	ds_load_2addr_b32 v[26:27], v21 offset1:1
	v_add_nc_u32_e32 v20, 0xffffff80, v20
	s_wait_dscnt 0x1
	v_pk_fma_f32 v[10:11], v[22:23], v[24:25], v[10:11] op_sel_hi:[0,1,1] neg_lo:[1,0,0] neg_hi:[1,0,0]
	s_wait_dscnt 0x0
	v_pk_fma_f32 v[8:9], v[22:23], v[26:27], v[8:9] op_sel_hi:[0,1,1] neg_lo:[1,0,0] neg_hi:[1,0,0]
	s_cbranch_scc0 .LBB40_40
.LBB40_41:                              ;   in Loop: Header=BB40_39 Depth=2
	s_mul_i32 s44, s9, 0x84
	s_lshl_b32 s41, s41, 2
	s_add_co_i32 s45, s44, -4
	s_lshl_b32 s43, s43, 2
	v_mov_b32_e32 v20, s45
	s_lshl_b32 s45, s42, 2
	s_lshl_b32 s42, s42, 7
	s_add_co_i32 s44, s44, -12
	s_add_co_i32 s45, s45, s42
	s_add_co_i32 s42, s43, s42
	v_mov_b32_e32 v22, s45
	ds_load_2addr_b32 v[20:21], v20 offset1:1
	s_sub_co_i32 s41, s45, s41
	v_dual_mov_b32 v23, s44 :: v_dual_mov_b32 v24, s42
	s_add_co_i32 s41, s41, s43
	ds_load_b32 v26, v22
	ds_load_2addr_b32 v[22:23], v23 offset1:1
	ds_load_2addr_b32 v[24:25], v24 offset1:1
	s_addk_co_i32 s41, 0xff7c
	s_add_co_i32 s40, s43, s40
	s_add_co_i32 s8, s8, -16
	s_wait_dscnt 0x3
	v_div_scale_f32 v27, null, v21, v21, v11
	v_div_scale_f32 v30, vcc_lo, v11, v21, v11
	s_delay_alu instid0(VALU_DEP_2) | instskip(SKIP_1) | instid1(TRANS32_DEP_1)
	v_rcp_f32_e32 v28, v27
	v_nop
	v_fma_f32 v29, -v27, v28, 1.0
	s_delay_alu instid0(VALU_DEP_1) | instskip(NEXT) | instid1(VALU_DEP_1)
	v_fmac_f32_e32 v28, v29, v28
	v_mul_f32_e32 v29, v30, v28
	s_delay_alu instid0(VALU_DEP_1) | instskip(NEXT) | instid1(VALU_DEP_1)
	v_fma_f32 v31, -v27, v29, v30
	v_fmac_f32_e32 v29, v31, v28
	s_delay_alu instid0(VALU_DEP_1) | instskip(NEXT) | instid1(VALU_DEP_1)
	v_fma_f32 v27, -v27, v29, v30
	v_div_fmas_f32 v27, v27, v28, v29
	s_delay_alu instid0(VALU_DEP_1) | instskip(NEXT) | instid1(VALU_DEP_1)
	v_div_fixup_f32 v21, v27, v21, v11
	v_dual_mov_b32 v11, s41 :: v_dual_fma_f32 v20, -v21, v20, v10
	s_wait_dscnt 0x1
	v_dual_fma_f32 v8, -v21, v22, v8 :: v_dual_fma_f32 v9, -v21, v23, v9
	v_mov_b32_e32 v23, s40
	s_add_co_i32 s40, s9, -4
	v_div_scale_f32 v27, null, v26, v26, v20
	v_div_scale_f32 v29, vcc_lo, v20, v26, v20
	s_cmp_lt_i32 s9, 7
	v_rcp_f32_e32 v28, v27
	ds_load_b32 v23, v23
	v_nop
	v_fma_f32 v10, -v27, v28, 1.0
	s_delay_alu instid0(VALU_DEP_1) | instskip(NEXT) | instid1(VALU_DEP_1)
	v_fmac_f32_e32 v28, v10, v28
	v_mul_f32_e32 v30, v29, v28
	s_delay_alu instid0(VALU_DEP_1) | instskip(NEXT) | instid1(VALU_DEP_1)
	v_fma_f32 v10, -v27, v30, v29
	v_fmac_f32_e32 v30, v10, v28
	ds_load_2addr_b32 v[10:11], v11 offset1:1
	v_fma_f32 v27, -v27, v30, v29
	s_delay_alu instid0(VALU_DEP_1) | instskip(NEXT) | instid1(VALU_DEP_1)
	v_div_fmas_f32 v27, v27, v28, v30
	v_div_fixup_f32 v20, v27, v26, v20
	s_wait_dscnt 0x2
	s_delay_alu instid0(VALU_DEP_1) | instskip(SKIP_1) | instid1(VALU_DEP_1)
	v_dual_fma_f32 v9, -v20, v25, v9 :: v_dual_fma_f32 v8, -v20, v24, v8
	s_wait_dscnt 0x0
	v_div_scale_f32 v25, null, v11, v11, v9
	s_delay_alu instid0(VALU_DEP_1) | instskip(SKIP_1) | instid1(TRANS32_DEP_1)
	v_rcp_f32_e32 v26, v25
	v_nop
	v_fma_f32 v27, -v25, v26, 1.0
	s_delay_alu instid0(VALU_DEP_1) | instskip(SKIP_1) | instid1(VALU_DEP_1)
	v_fmac_f32_e32 v26, v27, v26
	v_div_scale_f32 v28, vcc_lo, v9, v11, v9
	v_mul_f32_e32 v27, v28, v26
	s_delay_alu instid0(VALU_DEP_1) | instskip(NEXT) | instid1(VALU_DEP_1)
	v_fma_f32 v29, -v25, v27, v28
	v_fmac_f32_e32 v27, v29, v26
	s_delay_alu instid0(VALU_DEP_1) | instskip(NEXT) | instid1(VALU_DEP_1)
	v_fma_f32 v25, -v25, v27, v28
	v_div_fmas_f32 v22, v25, v26, v27
	s_delay_alu instid0(VALU_DEP_1) | instskip(NEXT) | instid1(VALU_DEP_1)
	v_div_fixup_f32 v9, v22, v11, v9
	v_fma_f32 v8, -v9, v10, v8
	s_delay_alu instid0(VALU_DEP_1) | instskip(SKIP_1) | instid1(VALU_DEP_2)
	v_div_scale_f32 v10, null, v23, v23, v8
	v_div_scale_f32 v24, vcc_lo, v8, v23, v8
	v_rcp_f32_e32 v11, v10
	v_nop
	s_delay_alu instid0(TRANS32_DEP_1) | instskip(NEXT) | instid1(VALU_DEP_1)
	v_fma_f32 v22, -v10, v11, 1.0
	v_fmac_f32_e32 v11, v22, v11
	s_delay_alu instid0(VALU_DEP_1) | instskip(NEXT) | instid1(VALU_DEP_1)
	v_mul_f32_e32 v22, v24, v11
	v_fma_f32 v25, -v10, v22, v24
	s_delay_alu instid0(VALU_DEP_1) | instskip(NEXT) | instid1(VALU_DEP_1)
	v_fmac_f32_e32 v22, v25, v11
	v_fma_f32 v10, -v10, v22, v24
	s_delay_alu instid0(VALU_DEP_1) | instskip(NEXT) | instid1(VALU_DEP_1)
	v_div_fmas_f32 v10, v10, v11, v22
	v_div_fixup_f32 v8, v10, v23, v8
	ds_store_b32 v12, v21
	ds_store_b32 v13, v20
	;; [unrolled: 1-line block ×4, first 2 shown]
	s_cbranch_scc1 .LBB40_43
; %bb.42:                               ;   in Loop: Header=BB40_39 Depth=2
	s_mov_b32 s9, s40
	s_branch .LBB40_39
.LBB40_43:                              ;   in Loop: Header=BB40_3 Depth=1
	s_cmp_lt_i32 s40, 0
	s_cbranch_scc1 .LBB40_56
; %bb.44:                               ;   in Loop: Header=BB40_3 Depth=1
	s_bitcmp1_b32 s40, 0
	s_cselect_b32 s8, -1, 0
	s_delay_alu instid0(SALU_CYCLE_1)
	s_and_b32 vcc_lo, exec_lo, s8
	s_mov_b32 s8, s40
	s_cbranch_vccnz .LBB40_49
; %bb.45:                               ;   in Loop: Header=BB40_3 Depth=1
	s_lshl_b32 s8, s40, 7
	s_cmp_le_i32 s26, s40
	v_add_nc_u32_e32 v8, s8, v15
	ds_load_b32 v9, v8
	s_cbranch_scc1 .LBB40_48
; %bb.46:                               ;   in Loop: Header=BB40_3 Depth=1
	v_mov_b32_e32 v10, v3
	s_lshl_b32 s9, s40, 2
	s_mov_b32 s41, s26
	s_add_co_i32 s9, s23, s9
.LBB40_47:                              ;   Parent Loop BB40_3 Depth=1
                                        ; =>  This Inner Loop Header: Depth=2
	s_delay_alu instid0(SALU_CYCLE_1)
	v_mov_b32_e32 v11, s9
	s_add_co_i32 s41, s41, -1
	s_addk_co_i32 s9, 0xff80
	s_cmp_gt_i32 s41, s40
	ds_load_b32 v12, v10
	ds_load_b32 v11, v11
	v_add_nc_u32_e32 v10, 0xffffff80, v10
	s_wait_dscnt 0x0
	v_fma_f32 v9, -v12, v11, v9
	s_cbranch_scc1 .LBB40_47
.LBB40_48:                              ;   in Loop: Header=BB40_3 Depth=1
	s_lshl_b32 s9, s40, 2
	s_delay_alu instid0(SALU_CYCLE_1) | instskip(NEXT) | instid1(SALU_CYCLE_1)
	s_add_co_i32 s8, s9, s8
	v_mov_b32_e32 v10, s8
	s_add_co_i32 s8, s40, -1
	ds_load_b32 v10, v10
	s_wait_dscnt 0x0
	v_div_scale_f32 v11, null, v10, v10, v9
	s_delay_alu instid0(VALU_DEP_1) | instskip(SKIP_1) | instid1(TRANS32_DEP_1)
	v_rcp_f32_e32 v12, v11
	v_nop
	v_fma_f32 v13, -v11, v12, 1.0
	s_delay_alu instid0(VALU_DEP_1) | instskip(SKIP_1) | instid1(VALU_DEP_1)
	v_fmac_f32_e32 v12, v13, v12
	v_div_scale_f32 v13, vcc_lo, v9, v10, v9
	v_mul_f32_e32 v18, v13, v12
	s_delay_alu instid0(VALU_DEP_1) | instskip(NEXT) | instid1(VALU_DEP_1)
	v_fma_f32 v19, -v11, v18, v13
	v_fmac_f32_e32 v18, v19, v12
	s_delay_alu instid0(VALU_DEP_1) | instskip(NEXT) | instid1(VALU_DEP_1)
	v_fma_f32 v11, -v11, v18, v13
	v_div_fmas_f32 v11, v11, v12, v18
	s_delay_alu instid0(VALU_DEP_1)
	v_div_fixup_f32 v9, v11, v10, v9
	ds_store_b32 v8, v9
.LBB40_49:                              ;   in Loop: Header=BB40_3 Depth=1
	s_cmp_eq_u32 s40, 0
	s_cbranch_scc1 .LBB40_56
; %bb.50:                               ;   in Loop: Header=BB40_3 Depth=1
	s_lshl_b32 s40, s8, 2
	s_delay_alu instid0(SALU_CYCLE_1)
	s_add_co_i32 s9, s23, s40
	s_add_co_i32 s40, s24, s40
	s_branch .LBB40_52
.LBB40_51:                              ;   in Loop: Header=BB40_52 Depth=2
	s_add_co_i32 s41, s41, s42
	s_add_co_i32 s9, s9, -8
	s_add_co_i32 s41, s41, -4
	s_add_co_i32 s40, s40, -8
	v_mov_b32_e32 v8, s41
	s_add_co_i32 s41, s8, -2
	s_cmp_lt_i32 s8, 2
	s_mov_b32 s8, s41
	ds_load_b32 v8, v8
	s_wait_dscnt 0x0
	v_div_scale_f32 v10, null, v8, v8, v11
	v_div_scale_f32 v18, vcc_lo, v11, v8, v11
	s_delay_alu instid0(VALU_DEP_2) | instskip(SKIP_1) | instid1(TRANS32_DEP_1)
	v_rcp_f32_e32 v12, v10
	v_nop
	v_fma_f32 v13, -v10, v12, 1.0
	s_delay_alu instid0(VALU_DEP_1) | instskip(NEXT) | instid1(VALU_DEP_1)
	v_fmac_f32_e32 v12, v13, v12
	v_mul_f32_e32 v13, v18, v12
	s_delay_alu instid0(VALU_DEP_1) | instskip(NEXT) | instid1(VALU_DEP_1)
	v_fma_f32 v19, -v10, v13, v18
	v_fmac_f32_e32 v13, v19, v12
	s_delay_alu instid0(VALU_DEP_1) | instskip(NEXT) | instid1(VALU_DEP_1)
	v_fma_f32 v10, -v10, v13, v18
	v_div_fmas_f32 v10, v10, v12, v13
	s_delay_alu instid0(VALU_DEP_1)
	v_div_fixup_f32 v8, v10, v8, v11
	ds_store_b32 v9, v8
	s_cbranch_scc1 .LBB40_56
.LBB40_52:                              ;   Parent Loop BB40_3 Depth=1
                                        ; =>  This Loop Header: Depth=2
                                        ;       Child Loop BB40_53 Depth 3
                                        ;       Child Loop BB40_55 Depth 3
	s_lshl_b32 s42, s8, 7
	s_cmp_le_i32 s26, s8
	v_dual_mov_b32 v9, v3 :: v_dual_add_nc_u32 v8, s42, v15
	s_mov_b32 s41, s9
	s_mov_b32 s43, s26
	ds_load_b32 v10, v8
	s_cbranch_scc1 .LBB40_54
.LBB40_53:                              ;   Parent Loop BB40_3 Depth=1
                                        ;     Parent Loop BB40_52 Depth=2
                                        ; =>    This Inner Loop Header: Depth=3
	v_mov_b32_e32 v11, s41
	s_add_co_i32 s43, s43, -1
	s_addk_co_i32 s41, 0xff80
	s_cmp_le_i32 s43, s8
	ds_load_b32 v12, v9
	ds_load_b32 v11, v11
	v_add_nc_u32_e32 v9, 0xffffff80, v9
	s_wait_dscnt 0x0
	v_fma_f32 v10, -v12, v11, v10
	s_cbranch_scc0 .LBB40_53
.LBB40_54:                              ;   in Loop: Header=BB40_52 Depth=2
	s_lshl_b32 s41, s8, 2
	s_mov_b32 s44, s18
	s_add_co_i32 s43, s41, s42
	s_addk_co_i32 s42, 0xff80
	v_mov_b32_e32 v9, s43
	s_cmp_le_i32 s18, s8
	s_mov_b32 s43, s40
	ds_load_b32 v12, v9
	s_wait_dscnt 0x0
	v_div_scale_f32 v13, null, v12, v12, v10
	s_delay_alu instid0(VALU_DEP_1) | instskip(SKIP_1) | instid1(TRANS32_DEP_1)
	v_rcp_f32_e32 v18, v13
	v_nop
	v_fma_f32 v19, -v13, v18, 1.0
	s_delay_alu instid0(VALU_DEP_1) | instskip(SKIP_1) | instid1(VALU_DEP_1)
	v_fmac_f32_e32 v18, v19, v18
	v_div_scale_f32 v19, vcc_lo, v10, v12, v10
	v_dual_mul_f32 v20, v19, v18 :: v_dual_add_nc_u32 v9, s42, v15
	ds_load_b32 v11, v9
	v_fma_f32 v21, -v13, v20, v19
	s_delay_alu instid0(VALU_DEP_1) | instskip(NEXT) | instid1(VALU_DEP_1)
	v_fmac_f32_e32 v20, v21, v18
	v_fma_f32 v13, -v13, v20, v19
	s_delay_alu instid0(VALU_DEP_1) | instskip(NEXT) | instid1(VALU_DEP_1)
	v_div_fmas_f32 v13, v13, v18, v20
	v_div_fixup_f32 v12, v13, v12, v10
	v_mov_b32_e32 v10, v3
	ds_store_b32 v8, v12
	s_cbranch_scc1 .LBB40_51
.LBB40_55:                              ;   Parent Loop BB40_3 Depth=1
                                        ;     Parent Loop BB40_52 Depth=2
                                        ; =>    This Inner Loop Header: Depth=3
	v_mov_b32_e32 v8, s43
	s_add_co_i32 s44, s44, -1
	s_addk_co_i32 s43, 0xff80
	s_cmp_gt_i32 s44, s8
	ds_load_b32 v12, v10
	ds_load_b32 v8, v8
	v_add_nc_u32_e32 v10, 0xffffff80, v10
	s_wait_dscnt 0x0
	v_fma_f32 v11, -v12, v8, v11
	s_cbranch_scc1 .LBB40_55
	s_branch .LBB40_51
.LBB40_56:                              ;   in Loop: Header=BB40_3 Depth=1
	s_mov_b32 s8, 0
.LBB40_57:                              ;   in Loop: Header=BB40_3 Depth=1
	s_delay_alu instid0(SALU_CYCLE_1)
	s_and_not1_b32 vcc_lo, exec_lo, s8
	s_cbranch_vccnz .LBB40_77
; %bb.58:                               ;   in Loop: Header=BB40_3 Depth=1
	s_mov_b32 s40, s26
	s_and_not1_b32 vcc_lo, exec_lo, s29
	s_mov_b32 s8, s25
	s_mov_b32 s9, s26
	s_cbranch_vccnz .LBB40_64
.LBB40_59:                              ;   Parent Loop BB40_3 Depth=1
                                        ; =>  This Loop Header: Depth=2
                                        ;       Child Loop BB40_60 Depth 3
	s_add_co_i32 s42, s9, -1
	v_lshl_add_u32 v12, s9, 7, v15
	s_add_co_i32 s41, s9, -2
	v_lshl_add_u32 v13, s42, 7, v15
	;; [unrolled: 2-line block ×3, first 2 shown]
	v_lshl_add_u32 v19, s40, 7, v15
	ds_load_b32 v10, v12
	ds_load_b32 v11, v13
	;; [unrolled: 1-line block ×4, first 2 shown]
	v_mov_b32_e32 v20, v3
	s_cmp_le_i32 s26, s9
	s_mov_b32 s43, s8
	s_mov_b32 s44, s26
	s_cbranch_scc1 .LBB40_61
.LBB40_60:                              ;   Parent Loop BB40_3 Depth=1
                                        ;     Parent Loop BB40_59 Depth=2
                                        ; =>    This Inner Loop Header: Depth=3
	v_mov_b32_e32 v21, s43
	s_add_co_i32 s44, s44, -1
	s_add_co_i32 s43, s43, -4
	s_cmp_le_i32 s44, s9
	ds_load_2addr_b32 v[22:23], v21 offset0:64 offset1:96
	ds_load_2addr_b32 v[24:25], v21 offset1:32
	ds_load_b32 v26, v20
	v_add_nc_u32_e32 v20, 0xffffff80, v20
	s_wait_dscnt 0x2
	v_dual_mov_b32 v28, v23 :: v_dual_mov_b32 v29, v22
	s_wait_dscnt 0x1
	v_dual_mov_b32 v22, v25 :: v_dual_mov_b32 v23, v24
	s_wait_dscnt 0x0
	s_delay_alu instid0(VALU_DEP_2) | instskip(NEXT) | instid1(VALU_DEP_2)
	v_pk_fma_f32 v[10:11], v[26:27], v[28:29], v[10:11] op_sel_hi:[0,1,1] neg_lo:[1,0,0] neg_hi:[1,0,0]
	v_pk_fma_f32 v[8:9], v[26:27], v[22:23], v[8:9] op_sel_hi:[0,1,1] neg_lo:[1,0,0] neg_hi:[1,0,0]
	s_cbranch_scc0 .LBB40_60
.LBB40_61:                              ;   in Loop: Header=BB40_59 Depth=2
	s_lshl_b32 s45, s42, 5
	s_lshl_b32 s44, s41, 5
	;; [unrolled: 1-line block ×3, first 2 shown]
; %bb.62:                               ;   in Loop: Header=BB40_59 Depth=2
	s_mul_i32 s46, s9, 0x84
	s_lshl_b32 s45, s45, 2
	v_mov_b32_e32 v20, s46
	s_lshl_b32 s42, s42, 2
	s_lshl_b32 s44, s44, 2
	;; [unrolled: 1-line block ×3, first 2 shown]
	s_add_co_i32 s42, s45, s42
	s_add_co_i32 s45, s44, s46
	s_lshl_b32 s41, s41, 2
	v_mov_b32_e32 v22, s45
	ds_load_b32 v24, v20
	s_add_co_i32 s41, s44, s41
	s_delay_alu instid0(SALU_CYCLE_1)
	v_dual_mov_b32 v20, s42 :: v_dual_mov_b32 v23, s41
	ds_load_2addr_b32 v[20:21], v20 offset1:1
	ds_load_b32 v25, v22
	ds_load_2addr_b32 v[22:23], v23 offset1:1
	s_lshl_b32 s41, s43, 2
	s_lshl_b32 s40, s40, 2
	s_add_co_i32 s42, s41, s46
	s_add_co_i32 s40, s41, s40
	s_add_co_i32 s42, s42, -4
	s_addk_co_i32 s8, 0xfe00
	s_wait_dscnt 0x3
	v_div_scale_f32 v26, null, v24, v24, v10
	v_div_scale_f32 v29, vcc_lo, v10, v24, v10
	s_delay_alu instid0(VALU_DEP_2) | instskip(SKIP_1) | instid1(TRANS32_DEP_1)
	v_rcp_f32_e32 v27, v26
	v_nop
	v_fma_f32 v28, -v26, v27, 1.0
	s_delay_alu instid0(VALU_DEP_1) | instskip(NEXT) | instid1(VALU_DEP_1)
	v_fmac_f32_e32 v27, v28, v27
	v_mul_f32_e32 v28, v29, v27
	s_delay_alu instid0(VALU_DEP_1) | instskip(NEXT) | instid1(VALU_DEP_1)
	v_fma_f32 v30, -v26, v28, v29
	v_fmac_f32_e32 v28, v30, v27
	s_delay_alu instid0(VALU_DEP_1) | instskip(NEXT) | instid1(VALU_DEP_1)
	v_fma_f32 v26, -v26, v28, v29
	v_div_fmas_f32 v26, v26, v27, v28
	s_delay_alu instid0(VALU_DEP_1) | instskip(SKIP_1) | instid1(VALU_DEP_1)
	v_div_fixup_f32 v24, v26, v24, v10
	s_wait_dscnt 0x2
	v_fma_f32 v10, -v24, v21, v11
	s_wait_dscnt 0x1
	v_fma_f32 v8, -v24, v25, v8
	s_delay_alu instid0(VALU_DEP_2) | instskip(SKIP_1) | instid1(VALU_DEP_2)
	v_div_scale_f32 v11, null, v20, v20, v10
	v_div_scale_f32 v27, vcc_lo, v10, v20, v10
	v_rcp_f32_e32 v21, v11
	v_nop
	s_delay_alu instid0(TRANS32_DEP_1) | instskip(NEXT) | instid1(VALU_DEP_1)
	v_fma_f32 v26, -v11, v21, 1.0
	v_fmac_f32_e32 v21, v26, v21
	s_delay_alu instid0(VALU_DEP_1) | instskip(NEXT) | instid1(VALU_DEP_1)
	v_mul_f32_e32 v26, v27, v21
	v_fma_f32 v28, -v11, v26, v27
	s_delay_alu instid0(VALU_DEP_1) | instskip(NEXT) | instid1(VALU_DEP_1)
	v_fmac_f32_e32 v26, v28, v21
	v_fma_f32 v11, -v11, v26, v27
	s_delay_alu instid0(VALU_DEP_1) | instskip(NEXT) | instid1(VALU_DEP_1)
	v_div_fmas_f32 v11, v11, v21, v26
	v_div_fixup_f32 v25, v11, v20, v10
	s_wait_dscnt 0x0
	s_delay_alu instid0(VALU_DEP_1) | instskip(NEXT) | instid1(VALU_DEP_1)
	v_fma_f32 v8, -v25, v23, v8
	v_div_scale_f32 v23, null, v22, v22, v8
	v_div_scale_f32 v27, vcc_lo, v8, v22, v8
	s_delay_alu instid0(VALU_DEP_2) | instskip(SKIP_1) | instid1(TRANS32_DEP_1)
	v_rcp_f32_e32 v26, v23
	v_nop
	v_fma_f32 v10, -v23, v26, 1.0
	s_delay_alu instid0(VALU_DEP_1) | instskip(NEXT) | instid1(VALU_DEP_1)
	v_dual_fmac_f32 v26, v10, v26 :: v_dual_mov_b32 v11, s42
	v_mul_f32_e32 v28, v27, v26
	ds_load_2addr_b32 v[10:11], v11 offset1:1
	v_mov_b32_e32 v20, s40
	s_add_co_i32 s40, s9, -4
	s_cmp_lt_i32 s9, 7
	v_fma_f32 v29, -v23, v28, v27
	ds_load_2addr_b32 v[20:21], v20 offset1:1
	s_wait_dscnt 0x1
	v_dual_fmac_f32 v28, v29, v26 :: v_dual_fma_f32 v9, -v24, v11, v9
	s_delay_alu instid0(VALU_DEP_1) | instskip(NEXT) | instid1(VALU_DEP_1)
	v_dual_fma_f32 v23, -v23, v28, v27 :: v_dual_fma_f32 v9, -v25, v10, v9
	v_div_fmas_f32 v11, v23, v26, v28
	s_delay_alu instid0(VALU_DEP_1) | instskip(SKIP_1) | instid1(VALU_DEP_1)
	v_div_fixup_f32 v8, v11, v22, v8
	s_wait_dscnt 0x0
	v_fma_f32 v9, -v8, v21, v9
	s_delay_alu instid0(VALU_DEP_1) | instskip(NEXT) | instid1(VALU_DEP_1)
	v_div_scale_f32 v10, null, v20, v20, v9
	v_rcp_f32_e32 v11, v10
	v_nop
	s_delay_alu instid0(TRANS32_DEP_1) | instskip(NEXT) | instid1(VALU_DEP_1)
	v_fma_f32 v21, -v10, v11, 1.0
	v_fmac_f32_e32 v11, v21, v11
	v_div_scale_f32 v22, vcc_lo, v9, v20, v9
	s_delay_alu instid0(VALU_DEP_1) | instskip(NEXT) | instid1(VALU_DEP_1)
	v_mul_f32_e32 v21, v22, v11
	v_fma_f32 v23, -v10, v21, v22
	s_delay_alu instid0(VALU_DEP_1) | instskip(NEXT) | instid1(VALU_DEP_1)
	v_fmac_f32_e32 v21, v23, v11
	v_fma_f32 v10, -v10, v21, v22
	s_delay_alu instid0(VALU_DEP_1) | instskip(NEXT) | instid1(VALU_DEP_1)
	v_div_fmas_f32 v10, v10, v11, v21
	v_div_fixup_f32 v9, v10, v20, v9
	ds_store_b32 v12, v24
	ds_store_b32 v13, v25
	ds_store_b32 v18, v8
	ds_store_b32 v19, v9
	s_cbranch_scc1 .LBB40_64
; %bb.63:                               ;   in Loop: Header=BB40_59 Depth=2
	s_mov_b32 s9, s40
	s_branch .LBB40_59
.LBB40_64:                              ;   in Loop: Header=BB40_3 Depth=1
	s_cmp_lt_i32 s40, 0
	s_cbranch_scc1 .LBB40_77
; %bb.65:                               ;   in Loop: Header=BB40_3 Depth=1
	s_bitcmp1_b32 s40, 0
	s_cselect_b32 s8, -1, 0
	s_delay_alu instid0(SALU_CYCLE_1)
	s_and_b32 vcc_lo, exec_lo, s8
	s_mov_b32 s8, s40
	s_cbranch_vccnz .LBB40_70
; %bb.66:                               ;   in Loop: Header=BB40_3 Depth=1
	v_lshl_add_u32 v8, s40, 7, v15
	s_cmp_le_i32 s26, s40
	ds_load_b32 v9, v8
	s_cbranch_scc1 .LBB40_69
; %bb.67:                               ;   in Loop: Header=BB40_3 Depth=1
	v_mov_b32_e32 v10, v3
	s_lshl_b32 s8, s40, 7
	s_mov_b32 s9, s26
	s_add_co_i32 s8, s38, s8
.LBB40_68:                              ;   Parent Loop BB40_3 Depth=1
                                        ; =>  This Inner Loop Header: Depth=2
	s_delay_alu instid0(SALU_CYCLE_1)
	v_mov_b32_e32 v11, s8
	s_add_co_i32 s9, s9, -1
	s_add_co_i32 s8, s8, -4
	s_cmp_gt_u32 s9, s40
	ds_load_b32 v12, v10
	ds_load_b32 v11, v11
	v_add_nc_u32_e32 v10, 0xffffff80, v10
	s_wait_dscnt 0x0
	v_fma_f32 v9, -v12, v11, v9
	s_cbranch_scc1 .LBB40_68
.LBB40_69:                              ;   in Loop: Header=BB40_3 Depth=1
	s_mul_i32 s8, s40, 0x84
	s_delay_alu instid0(SALU_CYCLE_1) | instskip(SKIP_4) | instid1(VALU_DEP_1)
	v_mov_b32_e32 v10, s8
	s_add_co_i32 s8, s40, -1
	ds_load_b32 v10, v10
	s_wait_dscnt 0x0
	v_div_scale_f32 v11, null, v10, v10, v9
	v_rcp_f32_e32 v12, v11
	v_nop
	s_delay_alu instid0(TRANS32_DEP_1) | instskip(NEXT) | instid1(VALU_DEP_1)
	v_fma_f32 v13, -v11, v12, 1.0
	v_fmac_f32_e32 v12, v13, v12
	v_div_scale_f32 v13, vcc_lo, v9, v10, v9
	s_delay_alu instid0(VALU_DEP_1) | instskip(NEXT) | instid1(VALU_DEP_1)
	v_mul_f32_e32 v18, v13, v12
	v_fma_f32 v19, -v11, v18, v13
	s_delay_alu instid0(VALU_DEP_1) | instskip(NEXT) | instid1(VALU_DEP_1)
	v_fmac_f32_e32 v18, v19, v12
	v_fma_f32 v11, -v11, v18, v13
	s_delay_alu instid0(VALU_DEP_1) | instskip(NEXT) | instid1(VALU_DEP_1)
	v_div_fmas_f32 v11, v11, v12, v18
	v_div_fixup_f32 v9, v11, v10, v9
	ds_store_b32 v8, v9
.LBB40_70:                              ;   in Loop: Header=BB40_3 Depth=1
	s_cmp_eq_u32 s40, 0
	s_cbranch_scc1 .LBB40_77
; %bb.71:                               ;   in Loop: Header=BB40_3 Depth=1
	s_lshl_b32 s40, s8, 7
	s_delay_alu instid0(SALU_CYCLE_1)
	s_add_co_i32 s9, s38, s40
	s_add_co_i32 s40, s39, s40
	s_branch .LBB40_73
.LBB40_72:                              ;   in Loop: Header=BB40_73 Depth=2
	s_addk_co_i32 s42, 0xff7c
	s_add_co_i32 s8, s8, -2
	v_mov_b32_e32 v8, s42
	s_addk_co_i32 s9, 0xff00
	s_addk_co_i32 s40, 0xff00
	s_cmp_eq_u32 s41, 0
	ds_load_b32 v8, v8
	s_wait_dscnt 0x0
	v_div_scale_f32 v10, null, v8, v8, v11
	v_div_scale_f32 v18, vcc_lo, v11, v8, v11
	s_delay_alu instid0(VALU_DEP_2) | instskip(SKIP_1) | instid1(TRANS32_DEP_1)
	v_rcp_f32_e32 v12, v10
	v_nop
	v_fma_f32 v13, -v10, v12, 1.0
	s_delay_alu instid0(VALU_DEP_1) | instskip(NEXT) | instid1(VALU_DEP_1)
	v_fmac_f32_e32 v12, v13, v12
	v_mul_f32_e32 v13, v18, v12
	s_delay_alu instid0(VALU_DEP_1) | instskip(NEXT) | instid1(VALU_DEP_1)
	v_fma_f32 v19, -v10, v13, v18
	v_fmac_f32_e32 v13, v19, v12
	s_delay_alu instid0(VALU_DEP_1) | instskip(NEXT) | instid1(VALU_DEP_1)
	v_fma_f32 v10, -v10, v13, v18
	v_div_fmas_f32 v10, v10, v12, v13
	s_delay_alu instid0(VALU_DEP_1)
	v_div_fixup_f32 v8, v10, v8, v11
	ds_store_b32 v9, v8
	s_cbranch_scc1 .LBB40_77
.LBB40_73:                              ;   Parent Loop BB40_3 Depth=1
                                        ; =>  This Loop Header: Depth=2
                                        ;       Child Loop BB40_74 Depth 3
                                        ;       Child Loop BB40_76 Depth 3
	v_lshl_add_u32 v8, s8, 7, v15
	v_mov_b32_e32 v9, v3
	s_cmp_le_i32 s26, s8
	s_mov_b32 s41, s9
	s_mov_b32 s42, s26
	ds_load_b32 v10, v8
	s_cbranch_scc1 .LBB40_75
.LBB40_74:                              ;   Parent Loop BB40_3 Depth=1
                                        ;     Parent Loop BB40_73 Depth=2
                                        ; =>    This Inner Loop Header: Depth=3
	v_mov_b32_e32 v11, s41
	s_add_co_i32 s42, s42, -1
	s_add_co_i32 s41, s41, -4
	s_cmp_le_u32 s42, s8
	ds_load_b32 v12, v9
	ds_load_b32 v11, v11
	v_add_nc_u32_e32 v9, 0xffffff80, v9
	s_wait_dscnt 0x0
	v_fma_f32 v10, -v12, v11, v10
	s_cbranch_scc0 .LBB40_74
.LBB40_75:                              ;   in Loop: Header=BB40_73 Depth=2
	s_mul_i32 s42, s8, 0x84
	s_add_co_i32 s41, s8, -1
	v_mov_b32_e32 v9, s42
	s_cmp_le_i32 s18, s8
	s_mov_b32 s43, s40
	s_mov_b32 s44, s26
	ds_load_b32 v12, v9
	v_lshl_add_u32 v9, s41, 7, v15
	ds_load_b32 v11, v9
	s_wait_dscnt 0x1
	v_div_scale_f32 v13, null, v12, v12, v10
	s_delay_alu instid0(VALU_DEP_1) | instskip(SKIP_1) | instid1(TRANS32_DEP_1)
	v_rcp_f32_e32 v18, v13
	v_nop
	v_fma_f32 v19, -v13, v18, 1.0
	s_delay_alu instid0(VALU_DEP_1) | instskip(SKIP_1) | instid1(VALU_DEP_1)
	v_fmac_f32_e32 v18, v19, v18
	v_div_scale_f32 v19, vcc_lo, v10, v12, v10
	v_mul_f32_e32 v20, v19, v18
	s_delay_alu instid0(VALU_DEP_1) | instskip(NEXT) | instid1(VALU_DEP_1)
	v_fma_f32 v21, -v13, v20, v19
	v_fmac_f32_e32 v20, v21, v18
	s_delay_alu instid0(VALU_DEP_1) | instskip(NEXT) | instid1(VALU_DEP_1)
	v_fma_f32 v13, -v13, v20, v19
	v_div_fmas_f32 v13, v13, v18, v20
	s_delay_alu instid0(VALU_DEP_1)
	v_div_fixup_f32 v12, v13, v12, v10
	v_mov_b32_e32 v10, v3
	ds_store_b32 v8, v12
	s_cbranch_scc1 .LBB40_72
.LBB40_76:                              ;   Parent Loop BB40_3 Depth=1
                                        ;     Parent Loop BB40_73 Depth=2
                                        ; =>    This Inner Loop Header: Depth=3
	v_mov_b32_e32 v8, s43
	s_add_co_i32 s44, s44, -1
	s_add_co_i32 s43, s43, -4
	s_cmp_gt_u32 s44, s41
	ds_load_b32 v12, v10
	ds_load_b32 v8, v8
	v_add_nc_u32_e32 v10, 0xffffff80, v10
	s_wait_dscnt 0x0
	v_fma_f32 v11, -v12, v8, v11
	s_cbranch_scc1 .LBB40_76
	s_branch .LBB40_72
.LBB40_77:                              ;   in Loop: Header=BB40_3 Depth=1
	s_mov_b32 s8, 0
.LBB40_78:                              ;   in Loop: Header=BB40_3 Depth=1
	s_delay_alu instid0(SALU_CYCLE_1)
	s_and_not1_b32 vcc_lo, exec_lo, s8
	s_cbranch_vccnz .LBB40_90
; %bb.79:                               ;   in Loop: Header=BB40_3 Depth=1
	s_and_not1_b32 vcc_lo, exec_lo, s29
	s_mov_b32 s40, 0
	s_cbranch_vccnz .LBB40_85
; %bb.80:                               ;   in Loop: Header=BB40_3 Depth=1
	s_mov_b32 s8, 0
	s_mov_b32 s9, 0
.LBB40_81:                              ;   Parent Loop BB40_3 Depth=1
                                        ; =>  This Loop Header: Depth=2
                                        ;       Child Loop BB40_82 Depth 3
	s_delay_alu instid0(SALU_CYCLE_1)
	s_or_b32 s41, s9, 1
	v_lshl_add_u32 v12, s9, 7, v15
	s_or_b32 s42, s9, 2
	s_or_b32 s40, s9, 3
	v_lshl_add_u32 v13, s41, 7, v15
	v_lshl_add_u32 v18, s42, 7, v15
	v_lshl_add_u32 v19, s40, 7, v15
	ds_load_b32 v10, v12
	ds_load_b32 v11, v13
	;; [unrolled: 1-line block ×4, first 2 shown]
	v_mov_b32_e32 v20, v15
	s_cmp_eq_u32 s9, 0
	s_mov_b32 s43, s8
	s_mov_b32 s44, s9
	s_cbranch_scc1 .LBB40_83
.LBB40_82:                              ;   Parent Loop BB40_3 Depth=1
                                        ;     Parent Loop BB40_81 Depth=2
                                        ; =>    This Inner Loop Header: Depth=3
	v_mov_b32_e32 v21, s43
	s_add_co_i32 s44, s44, -1
	s_add_co_i32 s43, s43, 4
	s_cmp_eq_u32 s44, 0
	ds_load_b32 v22, v20
	ds_load_2addr_b32 v[24:25], v21 offset1:32
	ds_load_2addr_b32 v[26:27], v21 offset0:64 offset1:96
	v_add_nc_u32_e32 v20, 0x80, v20
	s_wait_dscnt 0x1
	v_pk_fma_f32 v[10:11], v[22:23], v[24:25], v[10:11] op_sel_hi:[0,1,1] neg_lo:[1,0,0] neg_hi:[1,0,0]
	s_wait_dscnt 0x0
	v_pk_fma_f32 v[8:9], v[22:23], v[26:27], v[8:9] op_sel_hi:[0,1,1] neg_lo:[1,0,0] neg_hi:[1,0,0]
	s_cbranch_scc0 .LBB40_82
.LBB40_83:                              ;   in Loop: Header=BB40_81 Depth=2
	s_lshl_b32 s43, s41, 5
	s_lshl_b32 s41, s42, 5
	s_mul_i32 s42, s9, 0x84
	s_lshl_b32 s41, s41, 2
	v_mov_b32_e32 v20, s42
	s_lshl_b32 s42, s43, 2
	s_lshl_b32 s43, s9, 2
	;; [unrolled: 1-line block ×3, first 2 shown]
	s_add_co_i32 s41, s41, s43
	s_add_co_i32 s42, s42, s43
	v_mov_b32_e32 v22, s41
	ds_load_b32 v25, v20
	s_lshl_b32 s40, s40, 2
	s_addk_co_i32 s8, 0x200
	s_add_co_i32 s40, s40, s43
	s_wait_dscnt 0x0
	v_div_scale_f32 v26, null, v25, v25, v10
	v_div_scale_f32 v29, vcc_lo, v10, v25, v10
	s_delay_alu instid0(VALU_DEP_2) | instskip(SKIP_1) | instid1(TRANS32_DEP_1)
	v_rcp_f32_e32 v27, v26
	v_nop
	v_fma_f32 v28, -v26, v27, 1.0
	s_delay_alu instid0(VALU_DEP_1) | instskip(SKIP_3) | instid1(VALU_DEP_1)
	v_dual_mov_b32 v20, s42 :: v_dual_fmac_f32 v27, v28, v27
	ds_load_b64 v[20:21], v20
	ds_load_b96 v[22:24], v22
	v_mul_f32_e32 v28, v29, v27
	v_fma_f32 v30, -v26, v28, v29
	s_delay_alu instid0(VALU_DEP_1) | instskip(NEXT) | instid1(VALU_DEP_1)
	v_fmac_f32_e32 v28, v30, v27
	v_fma_f32 v26, -v26, v28, v29
	s_delay_alu instid0(VALU_DEP_1) | instskip(NEXT) | instid1(VALU_DEP_1)
	v_div_fmas_f32 v26, v26, v27, v28
	v_div_fixup_f32 v10, v26, v25, v10
	s_wait_dscnt 0x0
	s_delay_alu instid0(VALU_DEP_1) | instskip(NEXT) | instid1(VALU_DEP_1)
	v_dual_fma_f32 v11, -v10, v20, v11 :: v_dual_fma_f32 v8, -v10, v22, v8
	v_div_scale_f32 v20, null, v21, v21, v11
	v_div_scale_f32 v27, vcc_lo, v11, v21, v11
	s_delay_alu instid0(VALU_DEP_2) | instskip(SKIP_1) | instid1(TRANS32_DEP_1)
	v_rcp_f32_e32 v25, v20
	v_nop
	v_fma_f32 v26, -v20, v25, 1.0
	s_delay_alu instid0(VALU_DEP_1) | instskip(NEXT) | instid1(VALU_DEP_1)
	v_fmac_f32_e32 v25, v26, v25
	v_mul_f32_e32 v26, v27, v25
	s_delay_alu instid0(VALU_DEP_1) | instskip(NEXT) | instid1(VALU_DEP_1)
	v_fma_f32 v28, -v20, v26, v27
	v_fmac_f32_e32 v26, v28, v25
	s_delay_alu instid0(VALU_DEP_1) | instskip(NEXT) | instid1(VALU_DEP_1)
	v_fma_f32 v20, -v20, v26, v27
	v_div_fmas_f32 v20, v20, v25, v26
	s_delay_alu instid0(VALU_DEP_1) | instskip(NEXT) | instid1(VALU_DEP_1)
	v_div_fixup_f32 v11, v20, v21, v11
	v_fma_f32 v8, -v11, v23, v8
	s_delay_alu instid0(VALU_DEP_1) | instskip(SKIP_1) | instid1(VALU_DEP_2)
	v_div_scale_f32 v25, null, v24, v24, v8
	v_div_scale_f32 v27, vcc_lo, v8, v24, v8
	v_rcp_f32_e32 v26, v25
	v_nop
	s_delay_alu instid0(TRANS32_DEP_1) | instskip(SKIP_3) | instid1(VALU_DEP_2)
	v_fma_f32 v20, -v25, v26, 1.0
	v_mov_b32_e32 v21, s40
	s_add_co_i32 s40, s9, 4
	s_add_co_i32 s9, s9, 7
	v_fmac_f32_e32 v26, v20, v26
	ds_load_b128 v[20:23], v21
	s_cmp_ge_i32 s9, s18
	s_wait_dscnt 0x0
	v_dual_mul_f32 v28, v27, v26 :: v_dual_fma_f32 v9, -v10, v20, v9
	s_delay_alu instid0(VALU_DEP_1) | instskip(NEXT) | instid1(VALU_DEP_1)
	v_dual_fma_f32 v29, -v25, v28, v27 :: v_dual_fma_f32 v9, -v11, v21, v9
	v_fmac_f32_e32 v28, v29, v26
	s_delay_alu instid0(VALU_DEP_1) | instskip(NEXT) | instid1(VALU_DEP_1)
	v_fma_f32 v25, -v25, v28, v27
	v_div_fmas_f32 v20, v25, v26, v28
	s_delay_alu instid0(VALU_DEP_1) | instskip(NEXT) | instid1(VALU_DEP_1)
	v_div_fixup_f32 v8, v20, v24, v8
	v_fma_f32 v9, -v8, v22, v9
	s_delay_alu instid0(VALU_DEP_1) | instskip(SKIP_1) | instid1(VALU_DEP_2)
	v_div_scale_f32 v20, null, v23, v23, v9
	v_div_scale_f32 v24, vcc_lo, v9, v23, v9
	v_rcp_f32_e32 v21, v20
	v_nop
	s_delay_alu instid0(TRANS32_DEP_1) | instskip(NEXT) | instid1(VALU_DEP_1)
	v_fma_f32 v22, -v20, v21, 1.0
	v_fmac_f32_e32 v21, v22, v21
	s_delay_alu instid0(VALU_DEP_1) | instskip(NEXT) | instid1(VALU_DEP_1)
	v_mul_f32_e32 v22, v24, v21
	v_fma_f32 v25, -v20, v22, v24
	s_delay_alu instid0(VALU_DEP_1) | instskip(NEXT) | instid1(VALU_DEP_1)
	v_fmac_f32_e32 v22, v25, v21
	v_fma_f32 v20, -v20, v22, v24
	s_delay_alu instid0(VALU_DEP_1) | instskip(NEXT) | instid1(VALU_DEP_1)
	v_div_fmas_f32 v20, v20, v21, v22
	v_div_fixup_f32 v9, v20, v23, v9
	ds_store_b32 v12, v10
	ds_store_b32 v13, v11
	;; [unrolled: 1-line block ×4, first 2 shown]
	s_cbranch_scc1 .LBB40_85
; %bb.84:                               ;   in Loop: Header=BB40_81 Depth=2
	s_mov_b32 s9, s40
	s_branch .LBB40_81
.LBB40_85:                              ;   in Loop: Header=BB40_3 Depth=1
	s_cmp_ge_i32 s40, s18
	s_cbranch_scc1 .LBB40_90
; %bb.86:                               ;   in Loop: Header=BB40_3 Depth=1
	s_lshl_b32 s8, s40, 7
	s_branch .LBB40_88
.LBB40_87:                              ;   in Loop: Header=BB40_88 Depth=2
	s_mul_i32 s9, s40, 0x84
	s_add_co_i32 s40, s40, 1
	v_mov_b32_e32 v10, s9
	s_addk_co_i32 s8, 0x80
	s_cmp_ge_i32 s40, s18
	ds_load_b32 v10, v10
	s_wait_dscnt 0x0
	v_div_scale_f32 v11, null, v10, v10, v9
	s_delay_alu instid0(VALU_DEP_1) | instskip(SKIP_1) | instid1(TRANS32_DEP_1)
	v_rcp_f32_e32 v12, v11
	v_nop
	v_fma_f32 v13, -v11, v12, 1.0
	s_delay_alu instid0(VALU_DEP_1) | instskip(SKIP_1) | instid1(VALU_DEP_1)
	v_fmac_f32_e32 v12, v13, v12
	v_div_scale_f32 v13, vcc_lo, v9, v10, v9
	v_mul_f32_e32 v18, v13, v12
	s_delay_alu instid0(VALU_DEP_1) | instskip(NEXT) | instid1(VALU_DEP_1)
	v_fma_f32 v19, -v11, v18, v13
	v_fmac_f32_e32 v18, v19, v12
	s_delay_alu instid0(VALU_DEP_1) | instskip(NEXT) | instid1(VALU_DEP_1)
	v_fma_f32 v11, -v11, v18, v13
	v_div_fmas_f32 v11, v11, v12, v18
	s_delay_alu instid0(VALU_DEP_1)
	v_div_fixup_f32 v9, v11, v10, v9
	ds_store_b32 v8, v9
	s_cbranch_scc1 .LBB40_90
.LBB40_88:                              ;   Parent Loop BB40_3 Depth=1
                                        ; =>  This Loop Header: Depth=2
                                        ;       Child Loop BB40_89 Depth 3
	v_lshl_add_u32 v8, s40, 7, v15
	v_mov_b32_e32 v10, v15
	s_cmp_eq_u32 s40, 0
	s_mov_b32 s9, s8
	s_mov_b32 s41, s40
	ds_load_b32 v9, v8
	s_cbranch_scc1 .LBB40_87
.LBB40_89:                              ;   Parent Loop BB40_3 Depth=1
                                        ;     Parent Loop BB40_88 Depth=2
                                        ; =>    This Inner Loop Header: Depth=3
	v_mov_b32_e32 v11, s9
	s_add_co_i32 s41, s41, -1
	s_add_co_i32 s9, s9, 4
	s_cmp_eq_u32 s41, 0
	ds_load_b32 v12, v10
	ds_load_b32 v11, v11
	v_add_nc_u32_e32 v10, 0x80, v10
	s_wait_dscnt 0x0
	v_fma_f32 v9, -v12, v11, v9
	s_cbranch_scc0 .LBB40_89
	s_branch .LBB40_87
.LBB40_90:                              ;   in Loop: Header=BB40_3 Depth=1
	s_and_saveexec_b32 s40, s30
	s_cbranch_execz .LBB40_2
; %bb.91:                               ;   in Loop: Header=BB40_3 Depth=1
	s_and_not1_b32 vcc_lo, exec_lo, s36
	s_cbranch_vccnz .LBB40_95
; %bb.92:                               ;   in Loop: Header=BB40_3 Depth=1
	s_mov_b32 s9, 1
	s_mov_b32 s41, 0
	;; [unrolled: 1-line block ×3, first 2 shown]
.LBB40_93:                              ;   Parent Loop BB40_3 Depth=1
                                        ; =>  This Inner Loop Header: Depth=2
	v_lshl_add_u32 v8, s41, 7, v15
	v_lshl_add_u32 v9, s9, 7, v15
	s_add_co_i32 s42, s42, -2
	s_add_co_i32 s41, s41, 2
	s_add_co_i32 s9, s9, 2
	ds_load_b32 v8, v8
	ds_load_b32 v9, v9
	s_mov_b32 s8, s35
	s_cmp_lg_u32 s42, 0
	s_mov_b32 s43, s37
	s_wait_dscnt 0x0
	global_store_b64 v[6:7], v[8:9], off
	s_wait_xcnt 0x0
	v_add_nc_u64_e32 v[6:7], 8, v[6:7]
	s_cbranch_scc1 .LBB40_93
; %bb.94:                               ;   in Loop: Header=BB40_3 Depth=1
	s_and_b32 vcc_lo, exec_lo, s43
	s_cbranch_vccz .LBB40_2
	s_branch .LBB40_96
.LBB40_95:                              ;   in Loop: Header=BB40_3 Depth=1
	s_mov_b32 s8, 0
	s_cbranch_execz .LBB40_2
.LBB40_96:                              ;   in Loop: Header=BB40_3 Depth=1
	s_mov_b32 s9, s3
	v_lshl_add_u32 v8, s8, 7, v15
	s_mul_u64 s[42:43], s[16:17], s[8:9]
	s_delay_alu instid0(SALU_CYCLE_1) | instskip(NEXT) | instid1(SALU_CYCLE_1)
	s_add_nc_u64 s[6:7], s[42:43], s[6:7]
	v_add_nc_u64_e32 v[6:7], s[6:7], v[4:5]
	s_sub_co_i32 s6, s20, s8
.LBB40_97:                              ;   Parent Loop BB40_3 Depth=1
                                        ; =>  This Inner Loop Header: Depth=2
	ds_load_b32 v9, v8
	v_add_nc_u32_e32 v8, 0x80, v8
	s_add_co_i32 s6, s6, -1
	s_delay_alu instid0(SALU_CYCLE_1)
	s_cmp_lg_u32 s6, 0
	s_wait_dscnt 0x0
	global_store_b32 v[6:7], v9, off
	s_wait_xcnt 0x0
	v_add_nc_u64_e32 v[6:7], s[16:17], v[6:7]
	s_cbranch_scc1 .LBB40_97
	s_branch .LBB40_2
.LBB40_98:
	s_endpgm
	.section	.rodata,"a",@progbits
	.p2align	6, 0x0
	.amdhsa_kernel _ZL31rocblas_trsm_small_right_deviceIffPKfPfLi32EEv13rocblas_fill_18rocblas_operation_17rocblas_diagonal_iiT0_T1_lilT2_lili
		.amdhsa_group_segment_fixed_size 8192
		.amdhsa_private_segment_fixed_size 0
		.amdhsa_kernarg_size 352
		.amdhsa_user_sgpr_count 2
		.amdhsa_user_sgpr_dispatch_ptr 0
		.amdhsa_user_sgpr_queue_ptr 0
		.amdhsa_user_sgpr_kernarg_segment_ptr 1
		.amdhsa_user_sgpr_dispatch_id 0
		.amdhsa_user_sgpr_kernarg_preload_length 0
		.amdhsa_user_sgpr_kernarg_preload_offset 0
		.amdhsa_user_sgpr_private_segment_size 0
		.amdhsa_wavefront_size32 1
		.amdhsa_uses_dynamic_stack 0
		.amdhsa_enable_private_segment 0
		.amdhsa_system_sgpr_workgroup_id_x 1
		.amdhsa_system_sgpr_workgroup_id_y 0
		.amdhsa_system_sgpr_workgroup_id_z 1
		.amdhsa_system_sgpr_workgroup_info 0
		.amdhsa_system_vgpr_workitem_id 0
		.amdhsa_next_free_vgpr 81
		.amdhsa_next_free_sgpr 47
		.amdhsa_named_barrier_count 0
		.amdhsa_reserve_vcc 1
		.amdhsa_float_round_mode_32 0
		.amdhsa_float_round_mode_16_64 0
		.amdhsa_float_denorm_mode_32 3
		.amdhsa_float_denorm_mode_16_64 3
		.amdhsa_fp16_overflow 0
		.amdhsa_memory_ordered 1
		.amdhsa_forward_progress 1
		.amdhsa_inst_pref_size 53
		.amdhsa_round_robin_scheduling 0
		.amdhsa_exception_fp_ieee_invalid_op 0
		.amdhsa_exception_fp_denorm_src 0
		.amdhsa_exception_fp_ieee_div_zero 0
		.amdhsa_exception_fp_ieee_overflow 0
		.amdhsa_exception_fp_ieee_underflow 0
		.amdhsa_exception_fp_ieee_inexact 0
		.amdhsa_exception_int_div_zero 0
	.end_amdhsa_kernel
	.section	.text._ZL31rocblas_trsm_small_right_deviceIffPKfPfLi32EEv13rocblas_fill_18rocblas_operation_17rocblas_diagonal_iiT0_T1_lilT2_lili,"axG",@progbits,_ZL31rocblas_trsm_small_right_deviceIffPKfPfLi32EEv13rocblas_fill_18rocblas_operation_17rocblas_diagonal_iiT0_T1_lilT2_lili,comdat
.Lfunc_end40:
	.size	_ZL31rocblas_trsm_small_right_deviceIffPKfPfLi32EEv13rocblas_fill_18rocblas_operation_17rocblas_diagonal_iiT0_T1_lilT2_lili, .Lfunc_end40-_ZL31rocblas_trsm_small_right_deviceIffPKfPfLi32EEv13rocblas_fill_18rocblas_operation_17rocblas_diagonal_iiT0_T1_lilT2_lili
                                        ; -- End function
	.set _ZL31rocblas_trsm_small_right_deviceIffPKfPfLi32EEv13rocblas_fill_18rocblas_operation_17rocblas_diagonal_iiT0_T1_lilT2_lili.num_vgpr, 32
	.set _ZL31rocblas_trsm_small_right_deviceIffPKfPfLi32EEv13rocblas_fill_18rocblas_operation_17rocblas_diagonal_iiT0_T1_lilT2_lili.num_agpr, 0
	.set _ZL31rocblas_trsm_small_right_deviceIffPKfPfLi32EEv13rocblas_fill_18rocblas_operation_17rocblas_diagonal_iiT0_T1_lilT2_lili.numbered_sgpr, 47
	.set _ZL31rocblas_trsm_small_right_deviceIffPKfPfLi32EEv13rocblas_fill_18rocblas_operation_17rocblas_diagonal_iiT0_T1_lilT2_lili.num_named_barrier, 0
	.set _ZL31rocblas_trsm_small_right_deviceIffPKfPfLi32EEv13rocblas_fill_18rocblas_operation_17rocblas_diagonal_iiT0_T1_lilT2_lili.private_seg_size, 0
	.set _ZL31rocblas_trsm_small_right_deviceIffPKfPfLi32EEv13rocblas_fill_18rocblas_operation_17rocblas_diagonal_iiT0_T1_lilT2_lili.uses_vcc, 1
	.set _ZL31rocblas_trsm_small_right_deviceIffPKfPfLi32EEv13rocblas_fill_18rocblas_operation_17rocblas_diagonal_iiT0_T1_lilT2_lili.uses_flat_scratch, 0
	.set _ZL31rocblas_trsm_small_right_deviceIffPKfPfLi32EEv13rocblas_fill_18rocblas_operation_17rocblas_diagonal_iiT0_T1_lilT2_lili.has_dyn_sized_stack, 0
	.set _ZL31rocblas_trsm_small_right_deviceIffPKfPfLi32EEv13rocblas_fill_18rocblas_operation_17rocblas_diagonal_iiT0_T1_lilT2_lili.has_recursion, 0
	.set _ZL31rocblas_trsm_small_right_deviceIffPKfPfLi32EEv13rocblas_fill_18rocblas_operation_17rocblas_diagonal_iiT0_T1_lilT2_lili.has_indirect_call, 0
	.section	.AMDGPU.csdata,"",@progbits
; Kernel info:
; codeLenInByte = 6700
; TotalNumSgprs: 49
; NumVgprs: 32
; ScratchSize: 0
; MemoryBound: 0
; FloatMode: 240
; IeeeMode: 1
; LDSByteSize: 8192 bytes/workgroup (compile time only)
; SGPRBlocks: 0
; VGPRBlocks: 5
; NumSGPRsForWavesPerEU: 49
; NumVGPRsForWavesPerEU: 81
; NamedBarCnt: 0
; Occupancy: 10
; WaveLimiterHint : 0
; COMPUTE_PGM_RSRC2:SCRATCH_EN: 0
; COMPUTE_PGM_RSRC2:USER_SGPR: 2
; COMPUTE_PGM_RSRC2:TRAP_HANDLER: 0
; COMPUTE_PGM_RSRC2:TGID_X_EN: 1
; COMPUTE_PGM_RSRC2:TGID_Y_EN: 0
; COMPUTE_PGM_RSRC2:TGID_Z_EN: 1
; COMPUTE_PGM_RSRC2:TIDIG_COMP_CNT: 0
	.section	.text._ZL38rocblas_trsm_small_left_device_sharedBILi64ELi32ELb0EffPKfPfEv13rocblas_fill_18rocblas_operation_17rocblas_diagonal_iiT3_T4_lilT5_lili,"axG",@progbits,_ZL38rocblas_trsm_small_left_device_sharedBILi64ELi32ELb0EffPKfPfEv13rocblas_fill_18rocblas_operation_17rocblas_diagonal_iiT3_T4_lilT5_lili,comdat
	.globl	_ZL38rocblas_trsm_small_left_device_sharedBILi64ELi32ELb0EffPKfPfEv13rocblas_fill_18rocblas_operation_17rocblas_diagonal_iiT3_T4_lilT5_lili ; -- Begin function _ZL38rocblas_trsm_small_left_device_sharedBILi64ELi32ELb0EffPKfPfEv13rocblas_fill_18rocblas_operation_17rocblas_diagonal_iiT3_T4_lilT5_lili
	.p2align	8
	.type	_ZL38rocblas_trsm_small_left_device_sharedBILi64ELi32ELb0EffPKfPfEv13rocblas_fill_18rocblas_operation_17rocblas_diagonal_iiT3_T4_lilT5_lili,@function
_ZL38rocblas_trsm_small_left_device_sharedBILi64ELi32ELb0EffPKfPfEv13rocblas_fill_18rocblas_operation_17rocblas_diagonal_iiT3_T4_lilT5_lili: ; @_ZL38rocblas_trsm_small_left_device_sharedBILi64ELi32ELb0EffPKfPfEv13rocblas_fill_18rocblas_operation_17rocblas_diagonal_iiT3_T4_lilT5_lili
; %bb.0:
	s_load_b32 s19, s[0:1], 0x58
	s_bfe_u32 s2, ttmp6, 0x40014
	s_lshr_b32 s3, ttmp7, 16
	s_add_co_i32 s2, s2, 1
	s_bfe_u32 s4, ttmp6, 0x40008
	s_mul_i32 s2, s3, s2
	s_getreg_b32 s21, hwreg(HW_REG_IB_STS2, 6, 4)
	s_add_co_i32 s4, s4, s2
	s_cmp_eq_u32 s21, 0
	s_cselect_b32 s2, s3, s4
	s_mov_b32 s3, 0
	s_wait_kmcnt 0x0
	s_cmp_ge_u32 s2, s19
	s_cbranch_scc1 .LBB41_72
; %bb.1:
	s_clause 0x7
	s_load_b32 s22, s[0:1], 0x28
	s_load_b96 s[16:18], s[0:1], 0x40
	s_load_b128 s[12:15], s[0:1], 0x4
	s_load_b32 s26, s[0:1], 0x60
	s_load_b128 s[4:7], s[0:1], 0x18
	s_load_b128 s[8:11], s[0:1], 0x30
	s_load_b64 s[24:25], s[0:1], 0x50
	s_load_b32 s20, s[0:1], 0x14
	v_dual_lshlrev_b32 v66, 2, v0 :: v_dual_lshlrev_b32 v34, 8, v0
	s_delay_alu instid0(VALU_DEP_1) | instskip(SKIP_2) | instid1(SALU_CYCLE_1)
	v_or_b32_e32 v72, 0x4000, v66
	s_wait_kmcnt 0x0
	s_ashr_i32 s23, s22, 31
	s_cmp_eq_u64 s[22:23], 1
	s_cselect_b32 s0, -1, 0
	s_bfe_u32 s27, ttmp6, 0x4000c
	s_min_i32 s1, s14, 64
	s_add_co_i32 s27, s27, 1
	s_and_b32 s29, ttmp6, 15
	s_mul_i32 s27, ttmp9, s27
	s_ashr_i32 s37, s18, 31
	s_add_co_i32 s28, s26, -1
	s_add_co_i32 s26, s1, -1
	s_add_co_i32 s29, s29, s27
	s_cmp_eq_u32 s21, 0
	s_cselect_b32 s21, ttmp9, s29
	s_delay_alu instid0(SALU_CYCLE_1) | instskip(NEXT) | instid1(SALU_CYCLE_1)
	s_lshl_b32 s38, s21, 6
	s_sub_co_i32 s15, s15, s38
	s_cmp_ge_u32 s21, s28
	s_mov_b32 s21, s20
	s_cselect_b32 s15, s15, 64
	s_ashr_i32 s39, s38, 31
	s_cmp_lg_u32 s13, 0x84
	v_cmp_gt_i32_e32 vcc_lo, s15, v0
	s_cselect_b32 s27, -1, 0
	s_cmp_gt_i32 s14, 0
	s_cselect_b32 s13, -1, 0
	s_cmp_lg_u32 s12, 0x6f
	s_cselect_b32 s28, -1, 0
	s_and_b32 s29, vcc_lo, s13
	s_cmp_gt_u32 s1, 1
	s_cselect_b32 s12, -1, 0
	s_and_b32 s30, s1, -2
	s_and_b32 s31, s12, s0
	s_cmp_lg_u32 s1, s30
	v_cmp_gt_i32_e64 s0, s1, v0
	s_cselect_b32 s33, -1, 0
	s_cmp_gt_i32 s14, 1
	s_cselect_b32 s34, -1, 0
	s_and_b32 s35, s1, 0x7e
	s_delay_alu instid0(SALU_CYCLE_1) | instskip(SKIP_2) | instid1(SALU_CYCLE_1)
	s_cmp_lg_u32 s1, s35
	s_cselect_b32 s36, -1, 0
	s_lshl_b64 s[12:13], s[38:39], 2
	v_dual_mov_b32 v67, 0 :: v_dual_bitop2_b32 v29, s12, v66 bitop3:0x54
	s_lshl_b64 s[14:15], s[16:17], 2
	s_delay_alu instid0(SALU_CYCLE_1) | instskip(NEXT) | instid1(VALU_DEP_1)
	s_add_nc_u64 s[10:11], s[10:11], s[14:15]
	v_dual_mov_b32 v2, v67 :: v_dual_mov_b32 v3, v67
	s_delay_alu instid0(VALU_DEP_2)
	v_mad_nc_u64_u32 v[68:69], v29, s18, s[10:11]
	s_lshl_b64 s[10:11], s[6:7], 2
	s_lshl_b64 s[6:7], s[8:9], 2
	s_add_nc_u64 s[8:9], s[4:5], s[10:11]
	v_dual_mov_b32 v4, v67 :: v_dual_mov_b32 v5, v67
	v_add_nc_u64_e32 v[0:1], s[8:9], v[66:67]
	v_dual_mov_b32 v6, v67 :: v_dual_mov_b32 v7, v67
	v_dual_mov_b32 v8, v67 :: v_dual_mov_b32 v9, v67
	v_mad_u32 v30, s13, s18, v69
	v_dual_mov_b32 v10, v67 :: v_dual_mov_b32 v11, v67
	v_dual_mov_b32 v12, v67 :: v_dual_mov_b32 v13, v67
	;; [unrolled: 1-line block ×5, first 2 shown]
	v_mad_u32 v69, v29, s37, v30
	v_dual_mov_b32 v20, v67 :: v_dual_mov_b32 v21, v67
	v_dual_mov_b32 v22, v67 :: v_dual_mov_b32 v23, v67
	;; [unrolled: 1-line block ×7, first 2 shown]
	v_add_nc_u32_e32 v67, v66, v34
	s_lshl_b32 s18, s1, 8
	s_lshl_b64 s[4:5], s[22:23], 2
	s_lshl_b64 s[10:11], s[24:25], 2
	s_addk_co_i32 s18, 0xff00
	s_get_pc_i64 s[8:9]
	s_add_nc_u64 s[8:9], s[8:9], __const._ZL38rocblas_trsm_small_left_device_sharedBILi64ELi32ELb0EffPKfPfEv13rocblas_fill_18rocblas_operation_17rocblas_diagonal_iiT3_T4_lilT5_lili.step_sizes@rel64+4
	s_branch .LBB41_3
.LBB41_2:                               ;   in Loop: Header=BB41_3 Depth=1
	s_or_b32 exec_lo, exec_lo, s14
	s_add_co_i32 s2, s2, 0x10000
	s_delay_alu instid0(SALU_CYCLE_1)
	s_cmp_lt_u32 s2, s19
	s_cbranch_scc0 .LBB41_72
.LBB41_3:                               ; =>This Loop Header: Depth=1
                                        ;     Child Loop BB41_6 Depth 2
                                        ;     Child Loop BB41_10 Depth 2
	;; [unrolled: 1-line block ×5, first 2 shown]
                                        ;       Child Loop BB41_27 Depth 3
                                        ;         Child Loop BB41_28 Depth 4
                                        ;         Child Loop BB41_31 Depth 4
                                        ;           Child Loop BB41_32 Depth 5
                                        ;         Child Loop BB41_37 Depth 4
                                        ;           Child Loop BB41_39 Depth 5
                                        ;     Child Loop BB41_48 Depth 2
                                        ;       Child Loop BB41_49 Depth 3
                                        ;       Child Loop BB41_51 Depth 3
                                        ;         Child Loop BB41_52 Depth 4
                                        ;       Child Loop BB41_57 Depth 3
                                        ;         Child Loop BB41_59 Depth 4
                                        ;     Child Loop BB41_61 Depth 2
                                        ;     Child Loop BB41_67 Depth 2
	;; [unrolled: 1-line block ×3, first 2 shown]
	s_and_saveexec_b32 s16, s0
	s_cbranch_execz .LBB41_14
; %bb.4:                                ;   in Loop: Header=BB41_3 Depth=1
	s_and_not1_b32 vcc_lo, exec_lo, s31
	s_mul_u64 s[12:13], s[6:7], s[2:3]
	s_cbranch_vccnz .LBB41_8
; %bb.5:                                ;   in Loop: Header=BB41_3 Depth=1
	v_add_nc_u64_e32 v[34:35], s[12:13], v[0:1]
	s_mov_b32 s15, 1
	s_mov_b32 s17, 0
	;; [unrolled: 1-line block ×3, first 2 shown]
.LBB41_6:                               ;   Parent Loop BB41_3 Depth=1
                                        ; =>  This Inner Loop Header: Depth=2
	global_load_b64 v[36:37], v[34:35], off
	s_wait_xcnt 0x0
	v_add_nc_u64_e32 v[34:35], 8, v[34:35]
	v_lshl_or_b32 v38, s17, 8, v66
	v_lshl_or_b32 v39, s15, 8, v66
	s_add_co_i32 s22, s22, -2
	s_add_co_i32 s17, s17, 2
	s_add_co_i32 s15, s15, 2
	s_mov_b32 s14, s30
	s_mov_b32 s23, s33
	s_cmp_lg_u32 s22, 0
	s_wait_loadcnt 0x0
	ds_store_b32 v38, v36
	ds_store_b32 v39, v37
	s_cbranch_scc1 .LBB41_6
; %bb.7:                                ;   in Loop: Header=BB41_3 Depth=1
	s_and_b32 vcc_lo, exec_lo, s23
	s_cbranch_vccnz .LBB41_9
	s_branch .LBB41_11
.LBB41_8:                               ;   in Loop: Header=BB41_3 Depth=1
	s_wait_xcnt 0x0
	s_mov_b32 s14, 0
	s_cbranch_execz .LBB41_11
.LBB41_9:                               ;   in Loop: Header=BB41_3 Depth=1
	s_mov_b32 s15, s3
	v_lshl_or_b32 v36, s14, 8, v66
	s_mul_u64 s[22:23], s[4:5], s[14:15]
	s_delay_alu instid0(SALU_CYCLE_1) | instskip(NEXT) | instid1(SALU_CYCLE_1)
	s_add_nc_u64 s[12:13], s[22:23], s[12:13]
	v_add_nc_u64_e32 v[34:35], s[12:13], v[0:1]
	s_sub_co_i32 s12, s1, s14
.LBB41_10:                              ;   Parent Loop BB41_3 Depth=1
                                        ; =>  This Inner Loop Header: Depth=2
	global_load_b32 v37, v[34:35], off
	s_wait_xcnt 0x0
	v_add_nc_u64_e32 v[34:35], s[4:5], v[34:35]
	s_add_co_i32 s12, s12, -1
	s_delay_alu instid0(SALU_CYCLE_1)
	s_cmp_eq_u32 s12, 0
	s_wait_loadcnt 0x0
	ds_store_b32 v36, v37
	v_add_nc_u32_e32 v36, 0x100, v36
	s_cbranch_scc0 .LBB41_10
.LBB41_11:                              ;   in Loop: Header=BB41_3 Depth=1
	v_mov_b32_e32 v34, 1.0
	s_and_b32 vcc_lo, exec_lo, s27
	s_cbranch_vccz .LBB41_13
; %bb.12:                               ;   in Loop: Header=BB41_3 Depth=1
	ds_load_b32 v34, v67
	s_wait_dscnt 0x0
	v_div_scale_f32 v35, null, v34, v34, 1.0
	s_delay_alu instid0(VALU_DEP_1) | instskip(SKIP_1) | instid1(TRANS32_DEP_1)
	v_rcp_f32_e32 v36, v35
	v_nop
	v_fma_f32 v37, -v35, v36, 1.0
	s_delay_alu instid0(VALU_DEP_1) | instskip(SKIP_1) | instid1(VALU_DEP_1)
	v_fmac_f32_e32 v36, v37, v36
	v_div_scale_f32 v37, vcc_lo, 1.0, v34, 1.0
	v_mul_f32_e32 v38, v37, v36
	s_delay_alu instid0(VALU_DEP_1) | instskip(NEXT) | instid1(VALU_DEP_1)
	v_fma_f32 v39, -v35, v38, v37
	v_fmac_f32_e32 v38, v39, v36
	s_delay_alu instid0(VALU_DEP_1) | instskip(NEXT) | instid1(VALU_DEP_1)
	v_fma_f32 v35, -v35, v38, v37
	v_div_fmas_f32 v35, v35, v36, v38
	s_delay_alu instid0(VALU_DEP_1)
	v_div_fixup_f32 v34, v35, v34, 1.0
.LBB41_13:                              ;   in Loop: Header=BB41_3 Depth=1
	ds_store_b32 v67, v34
.LBB41_14:                              ;   in Loop: Header=BB41_3 Depth=1
	s_or_b32 exec_lo, exec_lo, s16
	s_mul_u64 s[12:13], s[10:11], s[2:3]
	s_delay_alu instid0(SALU_CYCLE_1)
	v_add_nc_u64_e32 v[70:71], s[12:13], v[68:69]
	s_and_saveexec_b32 s14, s29
	s_cbranch_execz .LBB41_22
; %bb.15:                               ;   in Loop: Header=BB41_3 Depth=1
	s_and_not1_b32 vcc_lo, exec_lo, s34
	s_cbranch_vccnz .LBB41_19
; %bb.16:                               ;   in Loop: Header=BB41_3 Depth=1
	s_delay_alu instid0(VALU_DEP_1)
	v_mov_b64_e32 v[34:35], v[70:71]
	s_mov_b32 s15, 1
	s_mov_b32 s16, 0
	;; [unrolled: 1-line block ×3, first 2 shown]
.LBB41_17:                              ;   Parent Loop BB41_3 Depth=1
                                        ; =>  This Inner Loop Header: Depth=2
	global_load_b64 v[36:37], v[34:35], off
	v_mov_b64_e32 v[38:39], s[20:21]
	s_wait_xcnt 0x0
	v_add_nc_u64_e32 v[34:35], 8, v[34:35]
	v_lshl_add_u32 v40, s16, 8, v72
	v_lshl_add_u32 v41, s15, 8, v72
	s_add_co_i32 s17, s17, -2
	s_add_co_i32 s16, s16, 2
	s_add_co_i32 s15, s15, 2
	s_mov_b32 s22, s35
	s_mov_b32 s23, s36
	s_cmp_lg_u32 s17, 0
	s_wait_loadcnt 0x0
	v_pk_mul_f32 v[36:37], v[38:39], v[36:37]
	ds_store_b32 v40, v36
	ds_store_b32 v41, v37
	s_cbranch_scc1 .LBB41_17
; %bb.18:                               ;   in Loop: Header=BB41_3 Depth=1
	s_and_b32 vcc_lo, exec_lo, s23
	s_cbranch_vccnz .LBB41_20
	s_branch .LBB41_22
.LBB41_19:                              ;   in Loop: Header=BB41_3 Depth=1
	s_wait_xcnt 0x0
	s_mov_b32 s22, 0
	s_cbranch_execz .LBB41_22
.LBB41_20:                              ;   in Loop: Header=BB41_3 Depth=1
	s_lshl_b32 s16, s22, 2
	s_mov_b32 s17, s3
	v_lshl_add_u32 v36, s22, 8, v72
	s_add_nc_u64 s[16:17], s[12:13], s[16:17]
	s_sub_co_i32 s15, s1, s22
	v_add_nc_u64_e32 v[34:35], s[16:17], v[68:69]
.LBB41_21:                              ;   Parent Loop BB41_3 Depth=1
                                        ; =>  This Inner Loop Header: Depth=2
	global_load_b32 v37, v[34:35], off
	s_wait_xcnt 0x0
	v_add_nc_u64_e32 v[34:35], 4, v[34:35]
	s_add_co_i32 s15, s15, -1
	s_delay_alu instid0(SALU_CYCLE_1)
	s_cmp_lg_u32 s15, 0
	s_wait_loadcnt 0x0
	v_mul_f32_e32 v37, s20, v37
	ds_store_b32 v36, v37
	v_add_nc_u32_e32 v36, 0x100, v36
	s_cbranch_scc1 .LBB41_21
.LBB41_22:                              ;   in Loop: Header=BB41_3 Depth=1
	s_or_b32 exec_lo, exec_lo, s14
	s_delay_alu instid0(SALU_CYCLE_1)
	s_and_not1_b32 vcc_lo, exec_lo, s28
	s_mov_b32 s14, -1
	s_wait_dscnt 0x0
	s_barrier_signal -1
	s_barrier_wait -1
                                        ; implicit-def: $vgpr34_vgpr35_vgpr36_vgpr37_vgpr38_vgpr39_vgpr40_vgpr41_vgpr42_vgpr43_vgpr44_vgpr45_vgpr46_vgpr47_vgpr48_vgpr49_vgpr50_vgpr51_vgpr52_vgpr53_vgpr54_vgpr55_vgpr56_vgpr57_vgpr58_vgpr59_vgpr60_vgpr61_vgpr62_vgpr63_vgpr64_vgpr65
	s_cbranch_vccnz .LBB41_44
; %bb.23:                               ;   in Loop: Header=BB41_3 Depth=1
	v_mov_b64_e32 v[64:65], v[32:33]
	v_mov_b64_e32 v[62:63], v[30:31]
	;; [unrolled: 1-line block ×16, first 2 shown]
	s_wait_xcnt 0x0
	s_mov_b32 s23, 0
	s_mov_b32 s22, 0
.LBB41_24:                              ;   Parent Loop BB41_3 Depth=1
                                        ; =>  This Loop Header: Depth=2
                                        ;       Child Loop BB41_27 Depth 3
                                        ;         Child Loop BB41_28 Depth 4
                                        ;         Child Loop BB41_31 Depth 4
                                        ;           Child Loop BB41_32 Depth 5
                                        ;         Child Loop BB41_37 Depth 4
                                        ;           Child Loop BB41_39 Depth 5
	s_load_b32 s24, s[8:9], s23 offset:0x0 scale_offset
	s_wait_kmcnt 0x0
	s_add_co_i32 s25, s24, -1
	s_delay_alu instid0(SALU_CYCLE_1) | instskip(NEXT) | instid1(SALU_CYCLE_1)
	s_add_co_i32 s14, s25, s22
	s_cmp_ge_i32 s14, s1
	s_cbranch_scc1 .LBB41_41
; %bb.25:                               ;   in Loop: Header=BB41_24 Depth=2
	s_lshl_b32 s37, s22, 8
	s_max_i32 s38, s24, 1
	v_add_nc_u32_e32 v73, s37, v72
	s_lshl_b32 s39, s24, 8
	s_mul_i32 s40, s22, 0x104
	s_mul_i32 s41, s24, 0x104
	s_branch .LBB41_27
.LBB41_26:                              ;   in Loop: Header=BB41_27 Depth=3
	s_add_co_i32 s22, s22, s24
	v_add_nc_u32_e32 v73, s39, v73
	s_add_co_i32 s14, s25, s22
	s_add_co_i32 s37, s37, s39
	s_add_co_i32 s40, s40, s41
	s_cmp_ge_i32 s14, s1
	s_cbranch_scc1 .LBB41_41
.LBB41_27:                              ;   Parent Loop BB41_3 Depth=1
                                        ;     Parent Loop BB41_24 Depth=2
                                        ; =>    This Loop Header: Depth=3
                                        ;         Child Loop BB41_28 Depth 4
                                        ;         Child Loop BB41_31 Depth 4
                                        ;           Child Loop BB41_32 Depth 5
                                        ;         Child Loop BB41_37 Depth 4
                                        ;           Child Loop BB41_39 Depth 5
	v_mov_b32_e32 v74, v73
	s_mov_b64 s[14:15], 0
.LBB41_28:                              ;   Parent Loop BB41_3 Depth=1
                                        ;     Parent Loop BB41_24 Depth=2
                                        ;       Parent Loop BB41_27 Depth=3
                                        ; =>      This Inner Loop Header: Depth=4
	ds_load_b32 v75, v74
	v_add_nc_u32_e32 v74, 0x100, v74
	s_mov_b32 m0, s14
	s_add_nc_u64 s[14:15], s[14:15], 1
	s_delay_alu instid0(SALU_CYCLE_1)
	s_cmp_eq_u32 s38, s14
	s_wait_dscnt 0x0
	v_movreld_b32_e32 v34, v75
	s_cbranch_scc0 .LBB41_28
; %bb.29:                               ;   in Loop: Header=BB41_27 Depth=3
	s_cmp_lt_i32 s22, 1
	s_cbranch_scc1 .LBB41_34
; %bb.30:                               ;   in Loop: Header=BB41_27 Depth=3
	s_mov_b32 s16, 0
	s_mov_b32 s17, s37
.LBB41_31:                              ;   Parent Loop BB41_3 Depth=1
                                        ;     Parent Loop BB41_24 Depth=2
                                        ;       Parent Loop BB41_27 Depth=3
                                        ; =>      This Loop Header: Depth=4
                                        ;           Child Loop BB41_32 Depth 5
	v_lshl_add_u32 v74, s16, 8, v72
	s_mov_b64 s[14:15], 0
	s_mov_b32 s42, s17
	ds_load_b32 v74, v74
.LBB41_32:                              ;   Parent Loop BB41_3 Depth=1
                                        ;     Parent Loop BB41_24 Depth=2
                                        ;       Parent Loop BB41_27 Depth=3
                                        ;         Parent Loop BB41_31 Depth=4
                                        ; =>        This Inner Loop Header: Depth=5
	v_mov_b32_e32 v75, s42
	s_mov_b32 m0, s14
	s_add_nc_u64 s[14:15], s[14:15], 1
	v_movrels_b32_e32 v76, v34
	s_addk_co_i32 s42, 0x100
	ds_load_b32 v75, v75
	s_cmp_eq_u32 s38, s14
	s_wait_dscnt 0x0
	v_fma_f32 v75, -v74, v75, v76
	s_delay_alu instid0(VALU_DEP_1)
	v_movreld_b32_e32 v34, v75
	s_cbranch_scc0 .LBB41_32
; %bb.33:                               ;   in Loop: Header=BB41_31 Depth=4
	s_add_co_i32 s16, s16, 1
	s_add_co_i32 s17, s17, 4
	s_cmp_eq_u32 s16, s22
	s_cbranch_scc0 .LBB41_31
.LBB41_34:                              ;   in Loop: Header=BB41_27 Depth=3
	s_lshl_b32 s42, s22, 8
	s_mov_b64 s[14:15], 0
	s_mov_b32 s43, s40
	s_branch .LBB41_37
.LBB41_35:                              ;   in Loop: Header=BB41_37 Depth=4
	s_mov_b32 s45, s22
	s_mov_b64 s[16:17], 0
	s_mov_b32 s44, s42
.LBB41_36:                              ;   in Loop: Header=BB41_37 Depth=4
	s_mov_b32 m0, s16
	s_mul_i32 s16, s45, 0x104
	v_movrels_b32_e32 v75, v34
	v_mov_b32_e32 v74, s16
	s_add_nc_u64 s[14:15], s[14:15], 1
	s_addk_co_i32 s43, 0x100
	s_cmp_eq_u32 s14, s38
	ds_load_b32 v74, v74
	s_wait_dscnt 0x0
	v_dual_mul_f32 v74, v75, v74 :: v_dual_add_nc_u32 v75, s44, v72
	s_delay_alu instid0(VALU_DEP_1)
	v_movreld_b32_e32 v34, v74
	ds_store_b32 v75, v74
	s_cbranch_scc1 .LBB41_26
.LBB41_37:                              ;   Parent Loop BB41_3 Depth=1
                                        ;     Parent Loop BB41_24 Depth=2
                                        ;       Parent Loop BB41_27 Depth=3
                                        ; =>      This Loop Header: Depth=4
                                        ;           Child Loop BB41_39 Depth 5
	s_cmp_eq_u32 s14, 0
	s_cbranch_scc1 .LBB41_35
; %bb.38:                               ;   in Loop: Header=BB41_37 Depth=4
	s_add_co_i32 s45, s14, s22
	s_mov_b64 s[16:17], 0
	s_lshl_b32 s44, s45, 8
	s_mov_b32 s46, s43
.LBB41_39:                              ;   Parent Loop BB41_3 Depth=1
                                        ;     Parent Loop BB41_24 Depth=2
                                        ;       Parent Loop BB41_27 Depth=3
                                        ;         Parent Loop BB41_37 Depth=4
                                        ; =>        This Inner Loop Header: Depth=5
	s_delay_alu instid0(SALU_CYCLE_1)
	v_mov_b32_e32 v74, s46
	s_mov_b32 m0, s16
	s_add_nc_u64 s[16:17], s[16:17], 1
	v_movrels_b32_e32 v75, v34
	s_mov_b32 m0, s14
	ds_load_b32 v74, v74
	v_movrels_b32_e32 v76, v34
	s_add_co_i32 s46, s46, 4
	s_cmp_eq_u32 s14, s16
	s_wait_dscnt 0x0
	s_delay_alu instid0(VALU_DEP_1) | instskip(NEXT) | instid1(VALU_DEP_1)
	v_fma_f32 v74, -v75, v74, v76
	v_movreld_b32_e32 v34, v74
	s_cbranch_scc0 .LBB41_39
; %bb.40:                               ;   in Loop: Header=BB41_37 Depth=4
	s_mov_b64 s[16:17], s[14:15]
	s_branch .LBB41_36
.LBB41_41:                              ;   in Loop: Header=BB41_24 Depth=2
	s_cmp_lt_i32 s22, s1
	s_cselect_b32 s15, -1, 0
	s_add_co_i32 s14, s23, 1
	s_cmp_lt_u32 s23, 2
	s_cselect_b32 s16, -1, 0
	s_delay_alu instid0(SALU_CYCLE_1) | instskip(NEXT) | instid1(SALU_CYCLE_1)
	s_and_b32 s15, s15, s16
	s_and_b32 vcc_lo, exec_lo, s15
	s_cbranch_vccz .LBB41_43
; %bb.42:                               ;   in Loop: Header=BB41_24 Depth=2
	s_wait_xcnt 0x0
	s_mov_b32 s23, s14
	s_branch .LBB41_24
.LBB41_43:                              ;   in Loop: Header=BB41_3 Depth=1
	s_mov_b32 s14, 0
.LBB41_44:                              ;   in Loop: Header=BB41_3 Depth=1
	s_delay_alu instid0(SALU_CYCLE_1)
	s_and_b32 vcc_lo, exec_lo, s14
	s_cbranch_vccz .LBB41_64
; %bb.45:                               ;   in Loop: Header=BB41_3 Depth=1
	s_wait_xcnt 0x0
	s_mov_b32 s23, 0
	s_mov_b32 s22, s26
	s_load_b32 s24, s[8:9], s23 offset:0x0 scale_offset
	s_wait_kmcnt 0x0
	s_add_co_i32 s25, s24, -1
	s_delay_alu instid0(SALU_CYCLE_1)
	s_cmp_lt_i32 s22, s25
	s_cbranch_scc1 .LBB41_61
.LBB41_46:                              ;   in Loop: Header=BB41_3 Depth=1
	s_lshl_b32 s14, s24, 8
	v_lshl_add_u32 v34, s22, 8, v72
	s_sub_co_i32 s38, 0, s14
	s_lshl_b32 s14, s22, 2
	s_lshl_b32 s15, s24, 2
	s_max_i32 s37, s24, 1
	s_add_co_i32 s39, s18, s14
	s_sub_co_i32 s40, 0, s15
	s_mul_i32 s41, s22, 0x104
	s_mul_i32 s42, s24, 0xfffffefc
	s_branch .LBB41_48
.LBB41_47:                              ;   in Loop: Header=BB41_48 Depth=2
	v_add_nc_u32_e32 v34, s38, v34
	s_sub_co_i32 s22, s22, s24
	s_add_co_i32 s39, s39, s40
	s_add_co_i32 s41, s41, s42
	s_cmp_lt_i32 s22, s25
	s_cbranch_scc1 .LBB41_61
.LBB41_48:                              ;   Parent Loop BB41_3 Depth=1
                                        ; =>  This Loop Header: Depth=2
                                        ;       Child Loop BB41_49 Depth 3
                                        ;       Child Loop BB41_51 Depth 3
                                        ;         Child Loop BB41_52 Depth 4
                                        ;       Child Loop BB41_57 Depth 3
                                        ;         Child Loop BB41_59 Depth 4
	v_mov_b32_e32 v35, v34
	s_mov_b64 s[14:15], 0
.LBB41_49:                              ;   Parent Loop BB41_3 Depth=1
                                        ;     Parent Loop BB41_48 Depth=2
                                        ; =>    This Inner Loop Header: Depth=3
	ds_load_b32 v36, v35
	v_add_nc_u32_e32 v35, 0xffffff00, v35
	s_mov_b32 m0, s14
	s_add_nc_u64 s[14:15], s[14:15], 1
	s_delay_alu instid0(SALU_CYCLE_1)
	s_cmp_eq_u32 s37, s14
	s_wait_dscnt 0x0
	v_movreld_b32_e32 v2, v36
	s_cbranch_scc0 .LBB41_49
; %bb.50:                               ;   in Loop: Header=BB41_48 Depth=2
	s_cmp_le_i32 s26, s22
	s_mov_b32 s16, s39
	s_mov_b32 s17, s26
	s_cbranch_scc1 .LBB41_54
.LBB41_51:                              ;   Parent Loop BB41_3 Depth=1
                                        ;     Parent Loop BB41_48 Depth=2
                                        ; =>    This Loop Header: Depth=3
                                        ;         Child Loop BB41_52 Depth 4
	v_lshl_add_u32 v35, s17, 8, v72
	s_mov_b64 s[14:15], 0
	s_mov_b32 s43, s16
	ds_load_b32 v35, v35
.LBB41_52:                              ;   Parent Loop BB41_3 Depth=1
                                        ;     Parent Loop BB41_48 Depth=2
                                        ;       Parent Loop BB41_51 Depth=3
                                        ; =>      This Inner Loop Header: Depth=4
	v_mov_b32_e32 v36, s43
	s_mov_b32 m0, s14
	s_add_nc_u64 s[14:15], s[14:15], 1
	v_movrels_b32_e32 v37, v2
	s_add_co_i32 s43, s43, -4
	ds_load_b32 v36, v36
	s_cmp_eq_u32 s37, s14
	s_wait_dscnt 0x0
	v_fma_f32 v36, -v35, v36, v37
	s_delay_alu instid0(VALU_DEP_1)
	v_movreld_b32_e32 v2, v36
	s_cbranch_scc0 .LBB41_52
; %bb.53:                               ;   in Loop: Header=BB41_51 Depth=3
	s_add_co_i32 s17, s17, -1
	s_addk_co_i32 s16, 0xff00
	s_cmp_le_i32 s17, s22
	s_cbranch_scc0 .LBB41_51
.LBB41_54:                              ;   in Loop: Header=BB41_48 Depth=2
	s_mov_b64 s[14:15], 0
	s_mov_b32 s43, s41
	s_branch .LBB41_57
.LBB41_55:                              ;   in Loop: Header=BB41_57 Depth=3
	s_mov_b32 s44, s22
	s_mov_b64 s[16:17], 0
.LBB41_56:                              ;   in Loop: Header=BB41_57 Depth=3
	s_delay_alu instid0(SALU_CYCLE_1)
	s_mov_b32 m0, s16
	s_mul_i32 s16, s44, 0x104
	v_movrels_b32_e32 v36, v2
	v_mov_b32_e32 v35, s16
	s_add_nc_u64 s[14:15], s[14:15], 1
	s_add_co_i32 s43, s43, -4
	s_cmp_eq_u32 s14, s37
	ds_load_b32 v35, v35
	s_wait_dscnt 0x0
	v_mul_f32_e32 v35, v36, v35
	v_lshl_add_u32 v36, s44, 8, v72
	s_delay_alu instid0(VALU_DEP_2)
	v_movreld_b32_e32 v2, v35
	ds_store_b32 v36, v35
	s_cbranch_scc1 .LBB41_47
.LBB41_57:                              ;   Parent Loop BB41_3 Depth=1
                                        ;     Parent Loop BB41_48 Depth=2
                                        ; =>    This Loop Header: Depth=3
                                        ;         Child Loop BB41_59 Depth 4
	s_cmp_eq_u32 s14, 0
	s_cbranch_scc1 .LBB41_55
; %bb.58:                               ;   in Loop: Header=BB41_57 Depth=3
	s_sub_co_i32 s44, s22, s14
	s_mov_b64 s[16:17], 0
	s_mov_b32 s45, s43
.LBB41_59:                              ;   Parent Loop BB41_3 Depth=1
                                        ;     Parent Loop BB41_48 Depth=2
                                        ;       Parent Loop BB41_57 Depth=3
                                        ; =>      This Inner Loop Header: Depth=4
	s_delay_alu instid0(SALU_CYCLE_1)
	v_mov_b32_e32 v35, s45
	s_mov_b32 m0, s16
	s_add_nc_u64 s[16:17], s[16:17], 1
	v_movrels_b32_e32 v36, v2
	s_mov_b32 m0, s14
	ds_load_b32 v35, v35
	v_movrels_b32_e32 v37, v2
	s_addk_co_i32 s45, 0xff00
	s_cmp_eq_u32 s14, s16
	s_wait_dscnt 0x0
	s_delay_alu instid0(VALU_DEP_1) | instskip(NEXT) | instid1(VALU_DEP_1)
	v_fma_f32 v35, -v36, v35, v37
	v_movreld_b32_e32 v2, v35
	s_cbranch_scc0 .LBB41_59
; %bb.60:                               ;   in Loop: Header=BB41_57 Depth=3
	s_mov_b64 s[16:17], s[14:15]
	s_branch .LBB41_56
.LBB41_61:                              ;   Parent Loop BB41_3 Depth=1
                                        ; =>  This Inner Loop Header: Depth=2
	s_cmp_gt_i32 s22, -1
	s_cselect_b32 s15, -1, 0
	s_add_co_i32 s14, s23, 1
	s_cmp_lt_u32 s23, 2
	s_cselect_b32 s16, -1, 0
	s_delay_alu instid0(SALU_CYCLE_1) | instskip(NEXT) | instid1(SALU_CYCLE_1)
	s_and_b32 s15, s15, s16
	s_and_not1_b32 vcc_lo, exec_lo, s15
	s_cbranch_vccnz .LBB41_63
; %bb.62:                               ;   in Loop: Header=BB41_61 Depth=2
	s_wait_xcnt 0x0
	s_mov_b32 s23, s14
	s_load_b32 s24, s[8:9], s23 offset:0x0 scale_offset
	s_wait_kmcnt 0x0
	s_add_co_i32 s25, s24, -1
	s_delay_alu instid0(SALU_CYCLE_1)
	s_cmp_lt_i32 s22, s25
	s_cbranch_scc0 .LBB41_46
	s_branch .LBB41_61
.LBB41_63:                              ;   in Loop: Header=BB41_3 Depth=1
	v_mov_b64_e32 v[64:65], v[32:33]
	v_mov_b64_e32 v[62:63], v[30:31]
	;; [unrolled: 1-line block ×16, first 2 shown]
.LBB41_64:                              ;   in Loop: Header=BB41_3 Depth=1
	s_delay_alu instid0(VALU_DEP_1) | instskip(NEXT) | instid1(VALU_DEP_3)
	v_mov_b64_e32 v[2:3], v[34:35]
	v_mov_b64_e32 v[4:5], v[36:37]
	;; [unrolled: 1-line block ×16, first 2 shown]
	s_wait_dscnt 0x0
	s_barrier_signal -1
	s_barrier_wait -1
	s_and_saveexec_b32 s14, s29
	s_cbranch_execz .LBB41_2
; %bb.65:                               ;   in Loop: Header=BB41_3 Depth=1
	s_and_not1_b32 vcc_lo, exec_lo, s34
	s_cbranch_vccnz .LBB41_69
; %bb.66:                               ;   in Loop: Header=BB41_3 Depth=1
	s_mov_b32 s15, 1
	s_mov_b32 s16, 0
	;; [unrolled: 1-line block ×3, first 2 shown]
.LBB41_67:                              ;   Parent Loop BB41_3 Depth=1
                                        ; =>  This Inner Loop Header: Depth=2
	v_lshl_add_u32 v34, s16, 8, v72
	v_lshl_add_u32 v35, s15, 8, v72
	s_add_co_i32 s17, s17, -2
	s_add_co_i32 s16, s16, 2
	s_add_co_i32 s15, s15, 2
	ds_load_b32 v34, v34
	ds_load_b32 v35, v35
	s_mov_b32 s22, s35
	s_cmp_lg_u32 s17, 0
	s_wait_xcnt 0x0
	s_mov_b32 s23, s36
	s_wait_dscnt 0x0
	global_store_b64 v[70:71], v[34:35], off
	s_wait_xcnt 0x0
	v_add_nc_u64_e32 v[70:71], 8, v[70:71]
	s_cbranch_scc1 .LBB41_67
; %bb.68:                               ;   in Loop: Header=BB41_3 Depth=1
	s_and_b32 vcc_lo, exec_lo, s23
	s_cbranch_vccz .LBB41_2
	s_branch .LBB41_70
.LBB41_69:                              ;   in Loop: Header=BB41_3 Depth=1
	s_wait_xcnt 0x0
	s_mov_b32 s22, 0
	s_cbranch_execz .LBB41_2
.LBB41_70:                              ;   in Loop: Header=BB41_3 Depth=1
	s_lshl_b32 s16, s22, 2
	s_mov_b32 s17, s3
	v_lshl_add_u32 v36, s22, 8, v72
	s_add_nc_u64 s[12:13], s[12:13], s[16:17]
	s_delay_alu instid0(SALU_CYCLE_1)
	v_add_nc_u64_e32 v[34:35], s[12:13], v[68:69]
	s_sub_co_i32 s12, s1, s22
.LBB41_71:                              ;   Parent Loop BB41_3 Depth=1
                                        ; =>  This Inner Loop Header: Depth=2
	ds_load_b32 v37, v36
	v_add_nc_u32_e32 v36, 0x100, v36
	s_add_co_i32 s12, s12, -1
	s_delay_alu instid0(SALU_CYCLE_1)
	s_cmp_lg_u32 s12, 0
	s_wait_dscnt 0x0
	global_store_b32 v[34:35], v37, off
	s_wait_xcnt 0x0
	v_add_nc_u64_e32 v[34:35], 4, v[34:35]
	s_cbranch_scc1 .LBB41_71
	s_branch .LBB41_2
.LBB41_72:
	s_sendmsg sendmsg(MSG_DEALLOC_VGPRS)
	s_endpgm
	.section	.rodata,"a",@progbits
	.p2align	6, 0x0
	.amdhsa_kernel _ZL38rocblas_trsm_small_left_device_sharedBILi64ELi32ELb0EffPKfPfEv13rocblas_fill_18rocblas_operation_17rocblas_diagonal_iiT3_T4_lilT5_lili
		.amdhsa_group_segment_fixed_size 32768
		.amdhsa_private_segment_fixed_size 0
		.amdhsa_kernarg_size 352
		.amdhsa_user_sgpr_count 2
		.amdhsa_user_sgpr_dispatch_ptr 0
		.amdhsa_user_sgpr_queue_ptr 0
		.amdhsa_user_sgpr_kernarg_segment_ptr 1
		.amdhsa_user_sgpr_dispatch_id 0
		.amdhsa_user_sgpr_kernarg_preload_length 0
		.amdhsa_user_sgpr_kernarg_preload_offset 0
		.amdhsa_user_sgpr_private_segment_size 0
		.amdhsa_wavefront_size32 1
		.amdhsa_uses_dynamic_stack 0
		.amdhsa_enable_private_segment 0
		.amdhsa_system_sgpr_workgroup_id_x 1
		.amdhsa_system_sgpr_workgroup_id_y 0
		.amdhsa_system_sgpr_workgroup_id_z 1
		.amdhsa_system_sgpr_workgroup_info 0
		.amdhsa_system_vgpr_workitem_id 0
		.amdhsa_next_free_vgpr 161
		.amdhsa_next_free_sgpr 47
		.amdhsa_named_barrier_count 0
		.amdhsa_reserve_vcc 1
		.amdhsa_float_round_mode_32 0
		.amdhsa_float_round_mode_16_64 0
		.amdhsa_float_denorm_mode_32 3
		.amdhsa_float_denorm_mode_16_64 3
		.amdhsa_fp16_overflow 0
		.amdhsa_memory_ordered 1
		.amdhsa_forward_progress 1
		.amdhsa_inst_pref_size 22
		.amdhsa_round_robin_scheduling 0
		.amdhsa_exception_fp_ieee_invalid_op 0
		.amdhsa_exception_fp_denorm_src 0
		.amdhsa_exception_fp_ieee_div_zero 0
		.amdhsa_exception_fp_ieee_overflow 0
		.amdhsa_exception_fp_ieee_underflow 0
		.amdhsa_exception_fp_ieee_inexact 0
		.amdhsa_exception_int_div_zero 0
	.end_amdhsa_kernel
	.section	.text._ZL38rocblas_trsm_small_left_device_sharedBILi64ELi32ELb0EffPKfPfEv13rocblas_fill_18rocblas_operation_17rocblas_diagonal_iiT3_T4_lilT5_lili,"axG",@progbits,_ZL38rocblas_trsm_small_left_device_sharedBILi64ELi32ELb0EffPKfPfEv13rocblas_fill_18rocblas_operation_17rocblas_diagonal_iiT3_T4_lilT5_lili,comdat
.Lfunc_end41:
	.size	_ZL38rocblas_trsm_small_left_device_sharedBILi64ELi32ELb0EffPKfPfEv13rocblas_fill_18rocblas_operation_17rocblas_diagonal_iiT3_T4_lilT5_lili, .Lfunc_end41-_ZL38rocblas_trsm_small_left_device_sharedBILi64ELi32ELb0EffPKfPfEv13rocblas_fill_18rocblas_operation_17rocblas_diagonal_iiT3_T4_lilT5_lili
                                        ; -- End function
	.set _ZL38rocblas_trsm_small_left_device_sharedBILi64ELi32ELb0EffPKfPfEv13rocblas_fill_18rocblas_operation_17rocblas_diagonal_iiT3_T4_lilT5_lili.num_vgpr, 77
	.set _ZL38rocblas_trsm_small_left_device_sharedBILi64ELi32ELb0EffPKfPfEv13rocblas_fill_18rocblas_operation_17rocblas_diagonal_iiT3_T4_lilT5_lili.num_agpr, 0
	.set _ZL38rocblas_trsm_small_left_device_sharedBILi64ELi32ELb0EffPKfPfEv13rocblas_fill_18rocblas_operation_17rocblas_diagonal_iiT3_T4_lilT5_lili.numbered_sgpr, 47
	.set _ZL38rocblas_trsm_small_left_device_sharedBILi64ELi32ELb0EffPKfPfEv13rocblas_fill_18rocblas_operation_17rocblas_diagonal_iiT3_T4_lilT5_lili.num_named_barrier, 0
	.set _ZL38rocblas_trsm_small_left_device_sharedBILi64ELi32ELb0EffPKfPfEv13rocblas_fill_18rocblas_operation_17rocblas_diagonal_iiT3_T4_lilT5_lili.private_seg_size, 0
	.set _ZL38rocblas_trsm_small_left_device_sharedBILi64ELi32ELb0EffPKfPfEv13rocblas_fill_18rocblas_operation_17rocblas_diagonal_iiT3_T4_lilT5_lili.uses_vcc, 1
	.set _ZL38rocblas_trsm_small_left_device_sharedBILi64ELi32ELb0EffPKfPfEv13rocblas_fill_18rocblas_operation_17rocblas_diagonal_iiT3_T4_lilT5_lili.uses_flat_scratch, 0
	.set _ZL38rocblas_trsm_small_left_device_sharedBILi64ELi32ELb0EffPKfPfEv13rocblas_fill_18rocblas_operation_17rocblas_diagonal_iiT3_T4_lilT5_lili.has_dyn_sized_stack, 0
	.set _ZL38rocblas_trsm_small_left_device_sharedBILi64ELi32ELb0EffPKfPfEv13rocblas_fill_18rocblas_operation_17rocblas_diagonal_iiT3_T4_lilT5_lili.has_recursion, 0
	.set _ZL38rocblas_trsm_small_left_device_sharedBILi64ELi32ELb0EffPKfPfEv13rocblas_fill_18rocblas_operation_17rocblas_diagonal_iiT3_T4_lilT5_lili.has_indirect_call, 0
	.section	.AMDGPU.csdata,"",@progbits
; Kernel info:
; codeLenInByte = 2808
; TotalNumSgprs: 49
; NumVgprs: 77
; ScratchSize: 0
; MemoryBound: 0
; FloatMode: 240
; IeeeMode: 1
; LDSByteSize: 32768 bytes/workgroup (compile time only)
; SGPRBlocks: 0
; VGPRBlocks: 10
; NumSGPRsForWavesPerEU: 49
; NumVGPRsForWavesPerEU: 161
; NamedBarCnt: 0
; Occupancy: 5
; WaveLimiterHint : 0
; COMPUTE_PGM_RSRC2:SCRATCH_EN: 0
; COMPUTE_PGM_RSRC2:USER_SGPR: 2
; COMPUTE_PGM_RSRC2:TRAP_HANDLER: 0
; COMPUTE_PGM_RSRC2:TGID_X_EN: 1
; COMPUTE_PGM_RSRC2:TGID_Y_EN: 0
; COMPUTE_PGM_RSRC2:TGID_Z_EN: 1
; COMPUTE_PGM_RSRC2:TIDIG_COMP_CNT: 0
	.section	.text._ZL30rocblas_trsm_small_left_deviceILi64ELi32ELb0EffPKfPfEv13rocblas_fill_18rocblas_operation_17rocblas_diagonal_iiT3_T4_lilT5_lili,"axG",@progbits,_ZL30rocblas_trsm_small_left_deviceILi64ELi32ELb0EffPKfPfEv13rocblas_fill_18rocblas_operation_17rocblas_diagonal_iiT3_T4_lilT5_lili,comdat
	.globl	_ZL30rocblas_trsm_small_left_deviceILi64ELi32ELb0EffPKfPfEv13rocblas_fill_18rocblas_operation_17rocblas_diagonal_iiT3_T4_lilT5_lili ; -- Begin function _ZL30rocblas_trsm_small_left_deviceILi64ELi32ELb0EffPKfPfEv13rocblas_fill_18rocblas_operation_17rocblas_diagonal_iiT3_T4_lilT5_lili
	.p2align	8
	.type	_ZL30rocblas_trsm_small_left_deviceILi64ELi32ELb0EffPKfPfEv13rocblas_fill_18rocblas_operation_17rocblas_diagonal_iiT3_T4_lilT5_lili,@function
_ZL30rocblas_trsm_small_left_deviceILi64ELi32ELb0EffPKfPfEv13rocblas_fill_18rocblas_operation_17rocblas_diagonal_iiT3_T4_lilT5_lili: ; @_ZL30rocblas_trsm_small_left_deviceILi64ELi32ELb0EffPKfPfEv13rocblas_fill_18rocblas_operation_17rocblas_diagonal_iiT3_T4_lilT5_lili
; %bb.0:
	s_load_b32 s30, s[0:1], 0x58
	s_bfe_u32 s2, ttmp6, 0x40014
	s_lshr_b32 s4, ttmp7, 16
	s_add_co_i32 s2, s2, 1
	s_bfe_u32 s5, ttmp6, 0x40008
	s_mul_i32 s2, s4, s2
	s_getreg_b32 s3, hwreg(HW_REG_IB_STS2, 6, 4)
	s_add_co_i32 s5, s5, s2
	s_cmp_eq_u32 s3, 0
	s_mov_b32 s19, 0
	s_cselect_b32 s2, s4, s5
	s_wait_kmcnt 0x0
	s_cmp_ge_u32 s2, s30
	s_cbranch_scc1 .LBB42_58
; %bb.1:
	s_clause 0x7
	s_load_b32 s22, s[0:1], 0x28
	s_load_b96 s[16:18], s[0:1], 0x40
	s_load_b128 s[4:7], s[0:1], 0x18
	s_load_b128 s[12:15], s[0:1], 0x4
	;; [unrolled: 1-line block ×3, first 2 shown]
	s_load_b32 s24, s[0:1], 0x60
	s_load_b64 s[20:21], s[0:1], 0x50
	s_load_b32 s31, s[0:1], 0x14
	v_dual_mov_b32 v67, 0 :: v_dual_lshlrev_b32 v66, 2, v0
	v_lshlrev_b32_e32 v34, 8, v0
	s_mov_b32 s41, 0
	s_delay_alu instid0(VALU_DEP_2)
	v_dual_mov_b32 v2, v67 :: v_dual_mov_b32 v3, v67
	v_dual_mov_b32 v4, v67 :: v_dual_mov_b32 v5, v67
	;; [unrolled: 1-line block ×4, first 2 shown]
	v_mov_b32_e32 v10, v67
	s_wait_kmcnt 0x0
	s_ashr_i32 s23, s22, 31
	v_dual_mov_b32 v12, v67 :: v_dual_mov_b32 v13, v67
	s_cmp_eq_u64 s[22:23], 1
	v_dual_mov_b32 v14, v67 :: v_dual_mov_b32 v15, v67
	s_cselect_b32 s25, -1, 0
	s_bfe_u32 s0, ttmp6, 0x4000c
	s_min_i32 s33, s14, 64
	s_add_co_i32 s0, s0, 1
	s_and_b32 s14, ttmp6, 15
	s_mul_i32 s0, ttmp9, s0
	s_ashr_i32 s1, s18, 31
	s_lshl_b64 s[16:17], s[16:17], 2
	s_add_co_i32 s24, s24, -1
	s_add_co_i32 s34, s33, -1
	s_add_co_i32 s14, s14, s0
	s_cmp_eq_u32 s3, 0
	s_mov_b32 s0, s18
	s_cselect_b32 s3, ttmp9, s14
	s_add_nc_u64 s[10:11], s[10:11], s[16:17]
	s_lshl_b32 s14, s3, 6
	s_delay_alu instid0(SALU_CYCLE_1) | instskip(SKIP_2) | instid1(VALU_DEP_3)
	v_dual_mov_b32 v11, v67 :: v_dual_bitop2_b32 v20, s14, v0 bitop3:0x54
	v_dual_mov_b32 v16, v67 :: v_dual_mov_b32 v17, v67
	v_dual_mov_b32 v18, v67 :: v_dual_mov_b32 v19, v67
	v_dual_mov_b32 v22, v67 :: v_dual_ashrrev_i32 v21, 31, v20
	v_dual_mov_b32 v23, v67 :: v_dual_mov_b32 v24, v67
	v_dual_mov_b32 v25, v67 :: v_dual_mov_b32 v26, v67
	s_delay_alu instid0(VALU_DEP_3)
	v_mul_u64_e32 v[28:29], s[0:1], v[20:21]
	s_sub_co_i32 s0, s15, s14
	s_cmp_ge_u32 s3, s24
	v_mov_b32_e32 v20, v67
	s_cselect_b32 s1, s0, 64
	s_cmp_lg_u32 s13, 0x84
	v_cmp_gt_i32_e64 s0, s33, v0
	s_cselect_b32 s35, -1, 0
	s_cmp_lg_u32 s12, 0x6f
	v_cmp_gt_i32_e64 s1, s1, v0
	s_cselect_b32 s36, -1, 0
	s_cmp_gt_u32 s33, 1
	v_mov_b32_e32 v21, v67
	s_cselect_b32 s3, -1, 0
	s_and_b32 s37, s33, -2
	s_and_b32 s38, s3, s25
	s_cmp_lg_u32 s33, s37
	v_mov_b32_e32 v27, v67
	s_cselect_b32 s39, -1, 0
	s_lshl_b64 s[12:13], s[6:7], 2
	v_dual_mov_b32 v31, v67 :: v_dual_mov_b32 v32, v67
	s_add_nc_u64 s[4:5], s[4:5], s[12:13]
	v_mov_b32_e32 v33, v67
	v_add_nc_u64_e32 v[0:1], s[4:5], v[66:67]
	v_mov_b32_e32 v30, v67
	s_lshl_b32 s40, s33, 8
	s_lshl_b64 s[6:7], s[8:9], 2
	s_lshl_b64 s[8:9], s[22:23], 2
	s_addk_co_i32 s40, 0xff00
	s_get_pc_i64 s[4:5]
	s_add_nc_u64 s[4:5], s[4:5], __const._ZL30rocblas_trsm_small_left_deviceILi64ELi32ELb0EffPKfPfEv13rocblas_fill_18rocblas_operation_17rocblas_diagonal_iiT3_T4_lilT5_lili.step_sizes@rel64+4
	v_lshl_add_u64 v[68:69], v[28:29], 2, s[10:11]
	v_dual_mov_b32 v28, v67 :: v_dual_mov_b32 v29, v67
	v_add_nc_u32_e32 v67, v66, v34
	s_lshl_b64 s[10:11], s[20:21], 2
	s_branch .LBB42_5
.LBB42_2:                               ;   in Loop: Header=BB42_5 Depth=1
	s_wait_xcnt 0x0
	v_mov_b64_e32 v[64:65], v[32:33]
	v_mov_b64_e32 v[62:63], v[30:31]
	;; [unrolled: 1-line block ×16, first 2 shown]
.LBB42_3:                               ;   in Loop: Header=BB42_5 Depth=1
	s_add_co_i32 s2, s2, 0x10000
	s_delay_alu instid0(SALU_CYCLE_1) | instskip(SKIP_1) | instid1(SALU_CYCLE_1)
	s_cmp_ge_u32 s2, s30
	s_cselect_b32 s3, -1, 0
	s_or_not1_b32 s12, s3, exec_lo
.LBB42_4:                               ;   in Loop: Header=BB42_5 Depth=1
	s_wait_xcnt 0x0
	s_or_b32 exec_lo, exec_lo, s42
	v_mov_b64_e32 v[2:3], v[34:35]
	v_mov_b64_e32 v[4:5], v[36:37]
	;; [unrolled: 1-line block ×16, first 2 shown]
	s_and_b32 s3, exec_lo, s12
	s_delay_alu instid0(SALU_CYCLE_1) | instskip(NEXT) | instid1(SALU_CYCLE_1)
	s_or_b32 s41, s3, s41
	s_and_not1_b32 exec_lo, exec_lo, s41
	s_cbranch_execz .LBB42_58
.LBB42_5:                               ; =>This Loop Header: Depth=1
                                        ;     Child Loop BB42_8 Depth 2
                                        ;     Child Loop BB42_12 Depth 2
	;; [unrolled: 1-line block ×3, first 2 shown]
                                        ;       Child Loop BB42_22 Depth 3
                                        ;         Child Loop BB42_23 Depth 4
                                        ;         Child Loop BB42_26 Depth 4
                                        ;           Child Loop BB42_27 Depth 5
                                        ;         Child Loop BB42_32 Depth 4
                                        ;           Child Loop BB42_34 Depth 5
                                        ;     Child Loop BB42_43 Depth 2
                                        ;       Child Loop BB42_44 Depth 3
                                        ;       Child Loop BB42_46 Depth 3
                                        ;         Child Loop BB42_47 Depth 4
                                        ;       Child Loop BB42_52 Depth 3
                                        ;         Child Loop BB42_54 Depth 4
                                        ;     Child Loop BB42_56 Depth 2
	s_mov_b32 s3, s19
	s_and_saveexec_b32 s14, s0
	s_cbranch_execz .LBB42_16
; %bb.6:                                ;   in Loop: Header=BB42_5 Depth=1
	s_and_not1_b32 vcc_lo, exec_lo, s38
	s_mul_u64 s[12:13], s[6:7], s[2:3]
	s_cbranch_vccnz .LBB42_10
; %bb.7:                                ;   in Loop: Header=BB42_5 Depth=1
	v_add_nc_u64_e32 v[34:35], s[12:13], v[0:1]
	s_mov_b32 s15, 1
	s_mov_b32 s16, 0
	;; [unrolled: 1-line block ×3, first 2 shown]
.LBB42_8:                               ;   Parent Loop BB42_5 Depth=1
                                        ; =>  This Inner Loop Header: Depth=2
	global_load_b64 v[36:37], v[34:35], off
	s_wait_xcnt 0x0
	v_add_nc_u64_e32 v[34:35], 8, v[34:35]
	v_lshl_or_b32 v38, s16, 8, v66
	v_lshl_or_b32 v39, s15, 8, v66
	s_add_co_i32 s17, s17, -2
	s_add_co_i32 s16, s16, 2
	s_add_co_i32 s15, s15, 2
	s_mov_b32 s18, s37
	s_mov_b32 s22, s39
	s_cmp_lg_u32 s17, 0
	s_wait_loadcnt 0x0
	ds_store_b32 v38, v36
	ds_store_b32 v39, v37
	s_cbranch_scc1 .LBB42_8
; %bb.9:                                ;   in Loop: Header=BB42_5 Depth=1
	s_and_b32 vcc_lo, exec_lo, s22
	s_cbranch_vccnz .LBB42_11
	s_branch .LBB42_13
.LBB42_10:                              ;   in Loop: Header=BB42_5 Depth=1
	s_mov_b32 s18, 0
	s_cbranch_execz .LBB42_13
.LBB42_11:                              ;   in Loop: Header=BB42_5 Depth=1
	s_mul_u64 s[16:17], s[8:9], s[18:19]
	v_lshl_or_b32 v36, s18, 8, v66
	s_add_nc_u64 s[12:13], s[16:17], s[12:13]
	s_delay_alu instid0(SALU_CYCLE_1)
	v_add_nc_u64_e32 v[34:35], s[12:13], v[0:1]
	s_sub_co_i32 s12, s33, s18
.LBB42_12:                              ;   Parent Loop BB42_5 Depth=1
                                        ; =>  This Inner Loop Header: Depth=2
	global_load_b32 v37, v[34:35], off
	s_wait_xcnt 0x0
	v_add_nc_u64_e32 v[34:35], s[8:9], v[34:35]
	s_add_co_i32 s12, s12, -1
	s_delay_alu instid0(SALU_CYCLE_1)
	s_cmp_eq_u32 s12, 0
	s_wait_loadcnt 0x0
	ds_store_b32 v36, v37
	v_add_nc_u32_e32 v36, 0x100, v36
	s_cbranch_scc0 .LBB42_12
.LBB42_13:                              ;   in Loop: Header=BB42_5 Depth=1
	v_mov_b32_e32 v34, 1.0
	s_and_b32 vcc_lo, exec_lo, s35
	s_cbranch_vccz .LBB42_15
; %bb.14:                               ;   in Loop: Header=BB42_5 Depth=1
	ds_load_b32 v34, v67
	s_wait_dscnt 0x0
	v_div_scale_f32 v35, null, v34, v34, 1.0
	s_delay_alu instid0(VALU_DEP_1) | instskip(SKIP_1) | instid1(TRANS32_DEP_1)
	v_rcp_f32_e32 v36, v35
	v_nop
	v_fma_f32 v37, -v35, v36, 1.0
	s_delay_alu instid0(VALU_DEP_1) | instskip(SKIP_1) | instid1(VALU_DEP_1)
	v_fmac_f32_e32 v36, v37, v36
	v_div_scale_f32 v37, vcc_lo, 1.0, v34, 1.0
	v_mul_f32_e32 v38, v37, v36
	s_delay_alu instid0(VALU_DEP_1) | instskip(NEXT) | instid1(VALU_DEP_1)
	v_fma_f32 v39, -v35, v38, v37
	v_fmac_f32_e32 v38, v39, v36
	s_delay_alu instid0(VALU_DEP_1) | instskip(NEXT) | instid1(VALU_DEP_1)
	v_fma_f32 v35, -v35, v38, v37
	v_div_fmas_f32 v35, v35, v36, v38
	s_delay_alu instid0(VALU_DEP_1)
	v_div_fixup_f32 v34, v35, v34, 1.0
.LBB42_15:                              ;   in Loop: Header=BB42_5 Depth=1
	ds_store_b32 v67, v34
.LBB42_16:                              ;   in Loop: Header=BB42_5 Depth=1
	s_or_b32 exec_lo, exec_lo, s14
	s_mov_b32 s12, -1
	s_wait_dscnt 0x0
	s_barrier_signal -1
	s_barrier_wait -1
                                        ; implicit-def: $vgpr34_vgpr35_vgpr36_vgpr37_vgpr38_vgpr39_vgpr40_vgpr41_vgpr42_vgpr43_vgpr44_vgpr45_vgpr46_vgpr47_vgpr48_vgpr49_vgpr50_vgpr51_vgpr52_vgpr53_vgpr54_vgpr55_vgpr56_vgpr57_vgpr58_vgpr59_vgpr60_vgpr61_vgpr62_vgpr63_vgpr64_vgpr65
	s_and_saveexec_b32 s42, s1
	s_cbranch_execz .LBB42_4
; %bb.17:                               ;   in Loop: Header=BB42_5 Depth=1
	s_mul_u64 s[12:13], s[20:21], s[2:3]
	s_and_not1_b32 vcc_lo, exec_lo, s36
	v_lshl_add_u64 v[70:71], s[12:13], 2, v[68:69]
	s_mul_u64 s[12:13], s[10:11], s[2:3]
	s_mov_b32 s3, -1
                                        ; implicit-def: $vgpr34_vgpr35_vgpr36_vgpr37_vgpr38_vgpr39_vgpr40_vgpr41_vgpr42_vgpr43_vgpr44_vgpr45_vgpr46_vgpr47_vgpr48_vgpr49_vgpr50_vgpr51_vgpr52_vgpr53_vgpr54_vgpr55_vgpr56_vgpr57_vgpr58_vgpr59_vgpr60_vgpr61_vgpr62_vgpr63_vgpr64_vgpr65
	s_cbranch_vccnz .LBB42_39
; %bb.18:                               ;   in Loop: Header=BB42_5 Depth=1
	v_mov_b64_e32 v[64:65], v[32:33]
	v_add_nc_u64_e32 v[72:73], s[12:13], v[68:69]
	v_mov_b64_e32 v[62:63], v[30:31]
	v_mov_b64_e32 v[60:61], v[28:29]
	;; [unrolled: 1-line block ×15, first 2 shown]
	s_mov_b32 s3, 0
	s_mov_b32 s14, 0
.LBB42_19:                              ;   Parent Loop BB42_5 Depth=1
                                        ; =>  This Loop Header: Depth=2
                                        ;       Child Loop BB42_22 Depth 3
                                        ;         Child Loop BB42_23 Depth 4
                                        ;         Child Loop BB42_26 Depth 4
                                        ;           Child Loop BB42_27 Depth 5
                                        ;         Child Loop BB42_32 Depth 4
                                        ;           Child Loop BB42_34 Depth 5
	s_load_b32 s16, s[4:5], s3 offset:0x0 scale_offset
	s_wait_kmcnt 0x0
	s_add_co_i32 s43, s16, -1
	s_delay_alu instid0(SALU_CYCLE_1) | instskip(NEXT) | instid1(SALU_CYCLE_1)
	s_add_co_i32 s15, s43, s14
	s_cmp_ge_i32 s15, s33
	s_cbranch_scc1 .LBB42_36
; %bb.20:                               ;   in Loop: Header=BB42_19 Depth=2
	s_ashr_i32 s15, s14, 31
	s_ashr_i32 s17, s16, 31
	v_lshl_add_u64 v[74:75], s[14:15], 2, v[72:73]
	s_max_i32 s44, s16, 1
	s_lshl_b64 s[22:23], s[16:17], 2
	s_lshl_b32 s15, s14, 8
	s_lshl_b32 s17, s16, 8
	s_mul_i32 s45, s14, 0x104
	s_mul_i32 s46, s16, 0x104
	s_branch .LBB42_22
.LBB42_21:                              ;   in Loop: Header=BB42_22 Depth=3
	v_add_nc_u64_e32 v[74:75], s[22:23], v[74:75]
	s_add_co_i32 s14, s14, s16
	s_add_co_i32 s15, s15, s17
	;; [unrolled: 1-line block ×4, first 2 shown]
	s_cmp_ge_i32 s18, s33
	s_cbranch_scc1 .LBB42_36
.LBB42_22:                              ;   Parent Loop BB42_5 Depth=1
                                        ;     Parent Loop BB42_19 Depth=2
                                        ; =>    This Loop Header: Depth=3
                                        ;         Child Loop BB42_23 Depth 4
                                        ;         Child Loop BB42_26 Depth 4
                                        ;           Child Loop BB42_27 Depth 5
                                        ;         Child Loop BB42_32 Depth 4
                                        ;           Child Loop BB42_34 Depth 5
	s_wait_xcnt 0x0
	v_mov_b64_e32 v[76:77], v[74:75]
	s_mov_b64 s[24:25], 0
.LBB42_23:                              ;   Parent Loop BB42_5 Depth=1
                                        ;     Parent Loop BB42_19 Depth=2
                                        ;       Parent Loop BB42_22 Depth=3
                                        ; =>      This Inner Loop Header: Depth=4
	global_load_b32 v78, v[76:77], off
	s_wait_xcnt 0x0
	v_add_nc_u64_e32 v[76:77], 4, v[76:77]
	s_mov_b32 m0, s24
	s_add_nc_u64 s[24:25], s[24:25], 1
	s_delay_alu instid0(SALU_CYCLE_1) | instskip(SKIP_2) | instid1(VALU_DEP_1)
	s_cmp_eq_u32 s44, s24
	s_wait_loadcnt 0x0
	v_mul_f32_e32 v78, s31, v78
	v_movreld_b32_e32 v34, v78
	s_cbranch_scc0 .LBB42_23
; %bb.24:                               ;   in Loop: Header=BB42_22 Depth=3
	s_cmp_lt_i32 s14, 1
	s_cbranch_scc1 .LBB42_29
; %bb.25:                               ;   in Loop: Header=BB42_22 Depth=3
	s_mov_b32 s18, 0
	s_mov_b32 s26, s15
.LBB42_26:                              ;   Parent Loop BB42_5 Depth=1
                                        ;     Parent Loop BB42_19 Depth=2
                                        ;       Parent Loop BB42_22 Depth=3
                                        ; =>      This Loop Header: Depth=4
                                        ;           Child Loop BB42_27 Depth 5
	v_lshl_add_u64 v[76:77], s[18:19], 2, v[70:71]
	s_mov_b64 s[24:25], 0
	s_mov_b32 s27, s26
	global_load_b32 v76, v[76:77], off
.LBB42_27:                              ;   Parent Loop BB42_5 Depth=1
                                        ;     Parent Loop BB42_19 Depth=2
                                        ;       Parent Loop BB42_22 Depth=3
                                        ;         Parent Loop BB42_26 Depth=4
                                        ; =>        This Inner Loop Header: Depth=5
	s_wait_xcnt 0x0
	v_mov_b32_e32 v77, s27
	s_mov_b32 m0, s24
	s_add_nc_u64 s[24:25], s[24:25], 1
	v_movrels_b32_e32 v78, v34
	s_addk_co_i32 s27, 0x100
	ds_load_b32 v77, v77
	s_cmp_eq_u32 s44, s24
	s_wait_loadcnt_dscnt 0x0
	v_fma_f32 v77, -v76, v77, v78
	s_delay_alu instid0(VALU_DEP_1)
	v_movreld_b32_e32 v34, v77
	s_cbranch_scc0 .LBB42_27
; %bb.28:                               ;   in Loop: Header=BB42_26 Depth=4
	s_add_co_i32 s18, s18, 1
	s_add_co_i32 s26, s26, 4
	s_cmp_eq_u32 s18, s14
	s_cbranch_scc0 .LBB42_26
.LBB42_29:                              ;   in Loop: Header=BB42_22 Depth=3
	s_mov_b64 s[24:25], 0
	s_mov_b32 s18, s45
	s_branch .LBB42_32
.LBB42_30:                              ;   in Loop: Header=BB42_32 Depth=4
	s_mov_b32 s26, s14
	s_mov_b64 s[28:29], 0
.LBB42_31:                              ;   in Loop: Header=BB42_32 Depth=4
	s_mul_i32 s27, s26, 0x104
	s_mov_b32 m0, s28
	s_wait_xcnt 0x0
	v_mov_b32_e32 v76, s27
	v_movrels_b32_e32 v77, v34
	s_ashr_i32 s27, s26, 31
	s_add_nc_u64 s[24:25], s[24:25], 1
	s_addk_co_i32 s18, 0x100
	ds_load_b32 v76, v76
	s_cmp_eq_u32 s24, s44
	s_wait_dscnt 0x0
	v_mul_f32_e32 v78, v77, v76
	v_lshl_add_u64 v[76:77], s[26:27], 2, v[70:71]
	s_delay_alu instid0(VALU_DEP_2)
	v_movreld_b32_e32 v34, v78
	global_store_b32 v[76:77], v78, off
	s_cbranch_scc1 .LBB42_21
.LBB42_32:                              ;   Parent Loop BB42_5 Depth=1
                                        ;     Parent Loop BB42_19 Depth=2
                                        ;       Parent Loop BB42_22 Depth=3
                                        ; =>      This Loop Header: Depth=4
                                        ;           Child Loop BB42_34 Depth 5
	s_cmp_eq_u32 s24, 0
	s_cbranch_scc1 .LBB42_30
; %bb.33:                               ;   in Loop: Header=BB42_32 Depth=4
	s_add_co_i32 s26, s24, s14
	s_mov_b64 s[28:29], 0
	s_mov_b32 s27, s18
.LBB42_34:                              ;   Parent Loop BB42_5 Depth=1
                                        ;     Parent Loop BB42_19 Depth=2
                                        ;       Parent Loop BB42_22 Depth=3
                                        ;         Parent Loop BB42_32 Depth=4
                                        ; =>        This Inner Loop Header: Depth=5
	s_wait_xcnt 0x0
	v_mov_b32_e32 v76, s27
	s_mov_b32 m0, s28
	s_add_nc_u64 s[28:29], s[28:29], 1
	v_movrels_b32_e32 v77, v34
	s_mov_b32 m0, s24
	ds_load_b32 v76, v76
	v_movrels_b32_e32 v78, v34
	s_add_co_i32 s27, s27, 4
	s_cmp_eq_u32 s24, s28
	s_wait_dscnt 0x0
	s_delay_alu instid0(VALU_DEP_1) | instskip(NEXT) | instid1(VALU_DEP_1)
	v_fma_f32 v76, -v77, v76, v78
	v_movreld_b32_e32 v34, v76
	s_cbranch_scc0 .LBB42_34
; %bb.35:                               ;   in Loop: Header=BB42_32 Depth=4
	s_mov_b64 s[28:29], s[24:25]
	s_branch .LBB42_31
.LBB42_36:                              ;   in Loop: Header=BB42_19 Depth=2
	s_cmp_lt_i32 s14, s33
	s_cselect_b32 s16, -1, 0
	s_add_co_i32 s15, s3, 1
	s_cmp_lt_u32 s3, 2
	s_wait_xcnt 0x0
	s_cselect_b32 s3, -1, 0
	s_delay_alu instid0(SALU_CYCLE_1) | instskip(NEXT) | instid1(SALU_CYCLE_1)
	s_and_b32 s3, s16, s3
	s_and_b32 vcc_lo, exec_lo, s3
	s_cbranch_vccz .LBB42_38
; %bb.37:                               ;   in Loop: Header=BB42_19 Depth=2
	s_mov_b32 s3, s15
	s_branch .LBB42_19
.LBB42_38:                              ;   in Loop: Header=BB42_5 Depth=1
	s_mov_b32 s3, 0
.LBB42_39:                              ;   in Loop: Header=BB42_5 Depth=1
	s_delay_alu instid0(SALU_CYCLE_1)
	s_and_b32 vcc_lo, exec_lo, s3
	s_cbranch_vccz .LBB42_3
; %bb.40:                               ;   in Loop: Header=BB42_5 Depth=1
	v_add_nc_u64_e32 v[34:35], s[12:13], v[68:69]
	s_mov_b32 s3, 0
	s_mov_b32 s12, s34
	s_load_b32 s18, s[4:5], s3 offset:0x0 scale_offset
	s_wait_kmcnt 0x0
	s_add_co_i32 s26, s18, -1
	s_delay_alu instid0(SALU_CYCLE_1)
	s_cmp_lt_i32 s12, s26
	s_cbranch_scc1 .LBB42_56
.LBB42_41:                              ;   in Loop: Header=BB42_5 Depth=1
	s_lshl_b32 s13, s12, 2
	s_lshl_b32 s14, s18, 2
	s_max_i32 s27, s18, 1
	s_add_co_i32 s28, s40, s13
	s_sub_co_i32 s29, 0, s14
	s_mul_i32 s43, s12, 0x104
	s_mul_i32 s44, s18, 0xfffffefc
	s_branch .LBB42_43
.LBB42_42:                              ;   in Loop: Header=BB42_43 Depth=2
	s_sub_co_i32 s12, s12, s18
	s_add_co_i32 s28, s28, s29
	s_add_co_i32 s43, s43, s44
	s_cmp_lt_i32 s12, s26
	s_cbranch_scc1 .LBB42_56
.LBB42_43:                              ;   Parent Loop BB42_5 Depth=1
                                        ; =>  This Loop Header: Depth=2
                                        ;       Child Loop BB42_44 Depth 3
                                        ;       Child Loop BB42_46 Depth 3
                                        ;         Child Loop BB42_47 Depth 4
                                        ;       Child Loop BB42_52 Depth 3
                                        ;         Child Loop BB42_54 Depth 4
	s_ashr_i32 s13, s12, 31
	s_mov_b64 s[14:15], 0
	s_wait_xcnt 0x0
	v_lshl_add_u64 v[36:37], s[12:13], 2, v[34:35]
.LBB42_44:                              ;   Parent Loop BB42_5 Depth=1
                                        ;     Parent Loop BB42_43 Depth=2
                                        ; =>    This Inner Loop Header: Depth=3
	global_load_b32 v38, v[36:37], off
	s_wait_xcnt 0x0
	v_add_nc_u64_e32 v[36:37], -4, v[36:37]
	s_mov_b32 m0, s14
	s_add_nc_u64 s[14:15], s[14:15], 1
	s_delay_alu instid0(SALU_CYCLE_1) | instskip(SKIP_2) | instid1(VALU_DEP_1)
	s_cmp_eq_u32 s27, s14
	s_wait_loadcnt 0x0
	v_mul_f32_e32 v38, s31, v38
	v_movreld_b32_e32 v2, v38
	s_cbranch_scc0 .LBB42_44
; %bb.45:                               ;   in Loop: Header=BB42_43 Depth=2
	s_cmp_le_i32 s34, s12
	s_mov_b32 s22, s28
	s_mov_b32 s14, s34
	s_cbranch_scc1 .LBB42_49
.LBB42_46:                              ;   Parent Loop BB42_5 Depth=1
                                        ;     Parent Loop BB42_43 Depth=2
                                        ; =>    This Loop Header: Depth=3
                                        ;         Child Loop BB42_47 Depth 4
	s_ashr_i32 s15, s14, 31
	s_mov_b64 s[16:17], 0
	v_lshl_add_u64 v[36:37], s[14:15], 2, v[70:71]
	s_mov_b32 s15, s22
	global_load_b32 v36, v[36:37], off
.LBB42_47:                              ;   Parent Loop BB42_5 Depth=1
                                        ;     Parent Loop BB42_43 Depth=2
                                        ;       Parent Loop BB42_46 Depth=3
                                        ; =>      This Inner Loop Header: Depth=4
	s_wait_xcnt 0x0
	v_mov_b32_e32 v37, s15
	s_mov_b32 m0, s16
	s_add_nc_u64 s[16:17], s[16:17], 1
	v_movrels_b32_e32 v38, v2
	s_add_co_i32 s15, s15, -4
	ds_load_b32 v37, v37
	s_cmp_eq_u32 s27, s16
	s_wait_loadcnt_dscnt 0x0
	v_fma_f32 v37, -v36, v37, v38
	s_delay_alu instid0(VALU_DEP_1)
	v_movreld_b32_e32 v2, v37
	s_cbranch_scc0 .LBB42_47
; %bb.48:                               ;   in Loop: Header=BB42_46 Depth=3
	s_add_co_i32 s14, s14, -1
	s_addk_co_i32 s22, 0xff00
	s_cmp_le_i32 s14, s12
	s_cbranch_scc0 .LBB42_46
.LBB42_49:                              ;   in Loop: Header=BB42_43 Depth=2
	s_mov_b64 s[14:15], 0
	s_mov_b32 s45, s43
	s_branch .LBB42_52
.LBB42_50:                              ;   in Loop: Header=BB42_52 Depth=3
	s_mov_b32 s16, s12
	s_mov_b64 s[24:25], 0
	s_mov_b64 s[22:23], s[12:13]
.LBB42_51:                              ;   in Loop: Header=BB42_52 Depth=3
	s_mulk_i32 s16, 0x104
	s_mov_b32 m0, s24
	s_wait_xcnt 0x0
	v_mov_b32_e32 v36, s16
	v_movrels_b32_e32 v37, v2
	s_add_nc_u64 s[14:15], s[14:15], 1
	s_add_co_i32 s45, s45, -4
	s_cmp_eq_u32 s14, s27
	ds_load_b32 v36, v36
	s_wait_dscnt 0x0
	v_mul_f32_e32 v38, v37, v36
	v_lshl_add_u64 v[36:37], s[22:23], 2, v[70:71]
	s_delay_alu instid0(VALU_DEP_2)
	v_movreld_b32_e32 v2, v38
	global_store_b32 v[36:37], v38, off
	s_cbranch_scc1 .LBB42_42
.LBB42_52:                              ;   Parent Loop BB42_5 Depth=1
                                        ;     Parent Loop BB42_43 Depth=2
                                        ; =>    This Loop Header: Depth=3
                                        ;         Child Loop BB42_54 Depth 4
	s_cmp_eq_u32 s14, 0
	s_cbranch_scc1 .LBB42_50
; %bb.53:                               ;   in Loop: Header=BB42_52 Depth=3
	s_mov_b64 s[16:17], 0
	s_mov_b32 s22, s45
.LBB42_54:                              ;   Parent Loop BB42_5 Depth=1
                                        ;     Parent Loop BB42_43 Depth=2
                                        ;       Parent Loop BB42_52 Depth=3
                                        ; =>      This Inner Loop Header: Depth=4
	s_wait_xcnt 0x0
	v_mov_b32_e32 v36, s22
	s_mov_b32 m0, s16
	s_add_nc_u64 s[16:17], s[16:17], 1
	v_movrels_b32_e32 v37, v2
	s_mov_b32 m0, s14
	ds_load_b32 v36, v36
	v_movrels_b32_e32 v38, v2
	s_addk_co_i32 s22, 0xff00
	s_cmp_eq_u32 s14, s16
	s_wait_dscnt 0x0
	s_delay_alu instid0(VALU_DEP_1) | instskip(NEXT) | instid1(VALU_DEP_1)
	v_fma_f32 v36, -v37, v36, v38
	v_movreld_b32_e32 v2, v36
	s_cbranch_scc0 .LBB42_54
; %bb.55:                               ;   in Loop: Header=BB42_52 Depth=3
	s_sub_co_i32 s16, s12, s14
	s_mov_b64 s[24:25], s[14:15]
	s_ashr_i32 s17, s16, 31
	s_delay_alu instid0(SALU_CYCLE_1)
	s_mov_b64 s[22:23], s[16:17]
	s_branch .LBB42_51
.LBB42_56:                              ;   Parent Loop BB42_5 Depth=1
                                        ; =>  This Inner Loop Header: Depth=2
	s_cmp_gt_i32 s12, -1
	s_cselect_b32 s14, -1, 0
	s_add_co_i32 s13, s3, 1
	s_cmp_lt_u32 s3, 2
	s_cselect_b32 s3, -1, 0
	s_delay_alu instid0(SALU_CYCLE_1) | instskip(NEXT) | instid1(SALU_CYCLE_1)
	s_and_b32 s3, s14, s3
	s_and_not1_b32 vcc_lo, exec_lo, s3
	s_cbranch_vccnz .LBB42_2
; %bb.57:                               ;   in Loop: Header=BB42_56 Depth=2
	s_mov_b32 s3, s13
	s_load_b32 s18, s[4:5], s3 offset:0x0 scale_offset
	s_wait_kmcnt 0x0
	s_add_co_i32 s26, s18, -1
	s_delay_alu instid0(SALU_CYCLE_1)
	s_cmp_lt_i32 s12, s26
	s_cbranch_scc0 .LBB42_41
	s_branch .LBB42_56
.LBB42_58:
	s_sendmsg sendmsg(MSG_DEALLOC_VGPRS)
	s_endpgm
	.section	.rodata,"a",@progbits
	.p2align	6, 0x0
	.amdhsa_kernel _ZL30rocblas_trsm_small_left_deviceILi64ELi32ELb0EffPKfPfEv13rocblas_fill_18rocblas_operation_17rocblas_diagonal_iiT3_T4_lilT5_lili
		.amdhsa_group_segment_fixed_size 16384
		.amdhsa_private_segment_fixed_size 0
		.amdhsa_kernarg_size 352
		.amdhsa_user_sgpr_count 2
		.amdhsa_user_sgpr_dispatch_ptr 0
		.amdhsa_user_sgpr_queue_ptr 0
		.amdhsa_user_sgpr_kernarg_segment_ptr 1
		.amdhsa_user_sgpr_dispatch_id 0
		.amdhsa_user_sgpr_kernarg_preload_length 0
		.amdhsa_user_sgpr_kernarg_preload_offset 0
		.amdhsa_user_sgpr_private_segment_size 0
		.amdhsa_wavefront_size32 1
		.amdhsa_uses_dynamic_stack 0
		.amdhsa_enable_private_segment 0
		.amdhsa_system_sgpr_workgroup_id_x 1
		.amdhsa_system_sgpr_workgroup_id_y 0
		.amdhsa_system_sgpr_workgroup_id_z 1
		.amdhsa_system_sgpr_workgroup_info 0
		.amdhsa_system_vgpr_workitem_id 0
		.amdhsa_next_free_vgpr 113
		.amdhsa_next_free_sgpr 47
		.amdhsa_named_barrier_count 0
		.amdhsa_reserve_vcc 1
		.amdhsa_float_round_mode_32 0
		.amdhsa_float_round_mode_16_64 0
		.amdhsa_float_denorm_mode_32 3
		.amdhsa_float_denorm_mode_16_64 3
		.amdhsa_fp16_overflow 0
		.amdhsa_memory_ordered 1
		.amdhsa_forward_progress 1
		.amdhsa_inst_pref_size 19
		.amdhsa_round_robin_scheduling 0
		.amdhsa_exception_fp_ieee_invalid_op 0
		.amdhsa_exception_fp_denorm_src 0
		.amdhsa_exception_fp_ieee_div_zero 0
		.amdhsa_exception_fp_ieee_overflow 0
		.amdhsa_exception_fp_ieee_underflow 0
		.amdhsa_exception_fp_ieee_inexact 0
		.amdhsa_exception_int_div_zero 0
	.end_amdhsa_kernel
	.section	.text._ZL30rocblas_trsm_small_left_deviceILi64ELi32ELb0EffPKfPfEv13rocblas_fill_18rocblas_operation_17rocblas_diagonal_iiT3_T4_lilT5_lili,"axG",@progbits,_ZL30rocblas_trsm_small_left_deviceILi64ELi32ELb0EffPKfPfEv13rocblas_fill_18rocblas_operation_17rocblas_diagonal_iiT3_T4_lilT5_lili,comdat
.Lfunc_end42:
	.size	_ZL30rocblas_trsm_small_left_deviceILi64ELi32ELb0EffPKfPfEv13rocblas_fill_18rocblas_operation_17rocblas_diagonal_iiT3_T4_lilT5_lili, .Lfunc_end42-_ZL30rocblas_trsm_small_left_deviceILi64ELi32ELb0EffPKfPfEv13rocblas_fill_18rocblas_operation_17rocblas_diagonal_iiT3_T4_lilT5_lili
                                        ; -- End function
	.set _ZL30rocblas_trsm_small_left_deviceILi64ELi32ELb0EffPKfPfEv13rocblas_fill_18rocblas_operation_17rocblas_diagonal_iiT3_T4_lilT5_lili.num_vgpr, 79
	.set _ZL30rocblas_trsm_small_left_deviceILi64ELi32ELb0EffPKfPfEv13rocblas_fill_18rocblas_operation_17rocblas_diagonal_iiT3_T4_lilT5_lili.num_agpr, 0
	.set _ZL30rocblas_trsm_small_left_deviceILi64ELi32ELb0EffPKfPfEv13rocblas_fill_18rocblas_operation_17rocblas_diagonal_iiT3_T4_lilT5_lili.numbered_sgpr, 47
	.set _ZL30rocblas_trsm_small_left_deviceILi64ELi32ELb0EffPKfPfEv13rocblas_fill_18rocblas_operation_17rocblas_diagonal_iiT3_T4_lilT5_lili.num_named_barrier, 0
	.set _ZL30rocblas_trsm_small_left_deviceILi64ELi32ELb0EffPKfPfEv13rocblas_fill_18rocblas_operation_17rocblas_diagonal_iiT3_T4_lilT5_lili.private_seg_size, 0
	.set _ZL30rocblas_trsm_small_left_deviceILi64ELi32ELb0EffPKfPfEv13rocblas_fill_18rocblas_operation_17rocblas_diagonal_iiT3_T4_lilT5_lili.uses_vcc, 1
	.set _ZL30rocblas_trsm_small_left_deviceILi64ELi32ELb0EffPKfPfEv13rocblas_fill_18rocblas_operation_17rocblas_diagonal_iiT3_T4_lilT5_lili.uses_flat_scratch, 0
	.set _ZL30rocblas_trsm_small_left_deviceILi64ELi32ELb0EffPKfPfEv13rocblas_fill_18rocblas_operation_17rocblas_diagonal_iiT3_T4_lilT5_lili.has_dyn_sized_stack, 0
	.set _ZL30rocblas_trsm_small_left_deviceILi64ELi32ELb0EffPKfPfEv13rocblas_fill_18rocblas_operation_17rocblas_diagonal_iiT3_T4_lilT5_lili.has_recursion, 0
	.set _ZL30rocblas_trsm_small_left_deviceILi64ELi32ELb0EffPKfPfEv13rocblas_fill_18rocblas_operation_17rocblas_diagonal_iiT3_T4_lilT5_lili.has_indirect_call, 0
	.section	.AMDGPU.csdata,"",@progbits
; Kernel info:
; codeLenInByte = 2352
; TotalNumSgprs: 49
; NumVgprs: 79
; ScratchSize: 0
; MemoryBound: 0
; FloatMode: 240
; IeeeMode: 1
; LDSByteSize: 16384 bytes/workgroup (compile time only)
; SGPRBlocks: 0
; VGPRBlocks: 7
; NumSGPRsForWavesPerEU: 49
; NumVGPRsForWavesPerEU: 113
; NamedBarCnt: 0
; Occupancy: 8
; WaveLimiterHint : 0
; COMPUTE_PGM_RSRC2:SCRATCH_EN: 0
; COMPUTE_PGM_RSRC2:USER_SGPR: 2
; COMPUTE_PGM_RSRC2:TRAP_HANDLER: 0
; COMPUTE_PGM_RSRC2:TGID_X_EN: 1
; COMPUTE_PGM_RSRC2:TGID_Y_EN: 0
; COMPUTE_PGM_RSRC2:TGID_Z_EN: 1
; COMPUTE_PGM_RSRC2:TIDIG_COMP_CNT: 0
	.section	.text._ZL38rocblas_trsm_small_left_device_sharedBILi64ELi32ELb1EffPKfPfEv13rocblas_fill_18rocblas_operation_17rocblas_diagonal_iiT3_T4_lilT5_lili,"axG",@progbits,_ZL38rocblas_trsm_small_left_device_sharedBILi64ELi32ELb1EffPKfPfEv13rocblas_fill_18rocblas_operation_17rocblas_diagonal_iiT3_T4_lilT5_lili,comdat
	.globl	_ZL38rocblas_trsm_small_left_device_sharedBILi64ELi32ELb1EffPKfPfEv13rocblas_fill_18rocblas_operation_17rocblas_diagonal_iiT3_T4_lilT5_lili ; -- Begin function _ZL38rocblas_trsm_small_left_device_sharedBILi64ELi32ELb1EffPKfPfEv13rocblas_fill_18rocblas_operation_17rocblas_diagonal_iiT3_T4_lilT5_lili
	.p2align	8
	.type	_ZL38rocblas_trsm_small_left_device_sharedBILi64ELi32ELb1EffPKfPfEv13rocblas_fill_18rocblas_operation_17rocblas_diagonal_iiT3_T4_lilT5_lili,@function
_ZL38rocblas_trsm_small_left_device_sharedBILi64ELi32ELb1EffPKfPfEv13rocblas_fill_18rocblas_operation_17rocblas_diagonal_iiT3_T4_lilT5_lili: ; @_ZL38rocblas_trsm_small_left_device_sharedBILi64ELi32ELb1EffPKfPfEv13rocblas_fill_18rocblas_operation_17rocblas_diagonal_iiT3_T4_lilT5_lili
; %bb.0:
	s_load_b32 s19, s[0:1], 0x58
	s_bfe_u32 s2, ttmp6, 0x40014
	s_lshr_b32 s3, ttmp7, 16
	s_add_co_i32 s2, s2, 1
	s_bfe_u32 s4, ttmp6, 0x40008
	s_mul_i32 s2, s3, s2
	s_getreg_b32 s21, hwreg(HW_REG_IB_STS2, 6, 4)
	s_add_co_i32 s4, s4, s2
	s_cmp_eq_u32 s21, 0
	s_cselect_b32 s2, s3, s4
	s_mov_b32 s3, 0
	s_wait_kmcnt 0x0
	s_cmp_ge_u32 s2, s19
	s_cbranch_scc1 .LBB43_71
; %bb.1:
	s_clause 0x7
	s_load_b32 s22, s[0:1], 0x28
	s_load_b96 s[16:18], s[0:1], 0x40
	s_load_b128 s[12:15], s[0:1], 0x4
	s_load_b32 s26, s[0:1], 0x60
	s_load_b128 s[4:7], s[0:1], 0x18
	s_load_b128 s[8:11], s[0:1], 0x30
	s_load_b64 s[24:25], s[0:1], 0x50
	s_load_b32 s20, s[0:1], 0x14
	v_dual_lshlrev_b32 v66, 2, v0 :: v_dual_lshlrev_b32 v34, 8, v0
	s_delay_alu instid0(VALU_DEP_1) | instskip(SKIP_2) | instid1(SALU_CYCLE_1)
	v_or_b32_e32 v72, 0x4000, v66
	s_wait_kmcnt 0x0
	s_ashr_i32 s23, s22, 31
	s_cmp_eq_u64 s[22:23], 1
	s_cselect_b32 s0, -1, 0
	s_bfe_u32 s27, ttmp6, 0x4000c
	s_min_i32 s1, s14, 64
	s_add_co_i32 s27, s27, 1
	s_and_b32 s29, ttmp6, 15
	s_mul_i32 s27, ttmp9, s27
	s_ashr_i32 s37, s18, 31
	s_add_co_i32 s28, s26, -1
	s_add_co_i32 s26, s1, -1
	s_add_co_i32 s29, s29, s27
	s_cmp_eq_u32 s21, 0
	s_cselect_b32 s21, ttmp9, s29
	s_delay_alu instid0(SALU_CYCLE_1) | instskip(NEXT) | instid1(SALU_CYCLE_1)
	s_lshl_b32 s38, s21, 6
	s_sub_co_i32 s15, s15, s38
	s_cmp_ge_u32 s21, s28
	s_mov_b32 s21, s20
	s_cselect_b32 s15, s15, 64
	s_ashr_i32 s39, s38, 31
	s_cmp_lg_u32 s13, 0x84
	v_cmp_gt_i32_e32 vcc_lo, s15, v0
	s_cselect_b32 s27, -1, 0
	s_cmp_gt_i32 s14, 0
	s_cselect_b32 s13, -1, 0
	s_cmp_lg_u32 s12, 0x6f
	s_cselect_b32 s28, -1, 0
	s_and_b32 s29, vcc_lo, s13
	s_cmp_gt_u32 s1, 1
	s_cselect_b32 s12, -1, 0
	s_and_b32 s30, s1, -2
	s_and_b32 s31, s12, s0
	s_cmp_lg_u32 s1, s30
	v_cmp_gt_i32_e64 s0, s1, v0
	s_cselect_b32 s33, -1, 0
	s_cmp_gt_i32 s14, 1
	s_cselect_b32 s34, -1, 0
	s_and_b32 s35, s1, 0x7e
	s_delay_alu instid0(SALU_CYCLE_1) | instskip(SKIP_2) | instid1(SALU_CYCLE_1)
	s_cmp_lg_u32 s1, s35
	s_cselect_b32 s36, -1, 0
	s_lshl_b64 s[12:13], s[38:39], 2
	v_dual_mov_b32 v67, 0 :: v_dual_bitop2_b32 v29, s12, v66 bitop3:0x54
	s_lshl_b64 s[14:15], s[16:17], 2
	s_delay_alu instid0(SALU_CYCLE_1) | instskip(NEXT) | instid1(VALU_DEP_1)
	s_add_nc_u64 s[10:11], s[10:11], s[14:15]
	v_dual_mov_b32 v2, v67 :: v_dual_mov_b32 v3, v67
	s_delay_alu instid0(VALU_DEP_2)
	v_mad_nc_u64_u32 v[68:69], v29, s18, s[10:11]
	s_lshl_b64 s[10:11], s[6:7], 2
	s_lshl_b64 s[6:7], s[8:9], 2
	s_add_nc_u64 s[8:9], s[4:5], s[10:11]
	v_dual_mov_b32 v4, v67 :: v_dual_mov_b32 v5, v67
	v_add_nc_u64_e32 v[0:1], s[8:9], v[66:67]
	v_dual_mov_b32 v6, v67 :: v_dual_mov_b32 v7, v67
	v_dual_mov_b32 v8, v67 :: v_dual_mov_b32 v9, v67
	v_mad_u32 v30, s13, s18, v69
	v_dual_mov_b32 v10, v67 :: v_dual_mov_b32 v11, v67
	v_dual_mov_b32 v12, v67 :: v_dual_mov_b32 v13, v67
	;; [unrolled: 1-line block ×5, first 2 shown]
	v_mad_u32 v69, v29, s37, v30
	v_dual_mov_b32 v20, v67 :: v_dual_mov_b32 v21, v67
	v_dual_mov_b32 v22, v67 :: v_dual_mov_b32 v23, v67
	;; [unrolled: 1-line block ×7, first 2 shown]
	v_add_nc_u32_e32 v67, v66, v34
	s_lshl_b32 s18, s1, 2
	s_lshl_b64 s[4:5], s[22:23], 2
	s_lshl_b64 s[10:11], s[24:25], 2
	s_add_co_i32 s18, s18, -4
	s_get_pc_i64 s[8:9]
	s_add_nc_u64 s[8:9], s[8:9], __const._ZL38rocblas_trsm_small_left_device_sharedBILi64ELi32ELb1EffPKfPfEv13rocblas_fill_18rocblas_operation_17rocblas_diagonal_iiT3_T4_lilT5_lili.step_sizes@rel64+4
	s_branch .LBB43_3
.LBB43_2:                               ;   in Loop: Header=BB43_3 Depth=1
	s_or_b32 exec_lo, exec_lo, s14
	s_add_co_i32 s2, s2, 0x10000
	s_delay_alu instid0(SALU_CYCLE_1)
	s_cmp_lt_u32 s2, s19
	s_cbranch_scc0 .LBB43_71
.LBB43_3:                               ; =>This Loop Header: Depth=1
                                        ;     Child Loop BB43_6 Depth 2
                                        ;     Child Loop BB43_10 Depth 2
	;; [unrolled: 1-line block ×5, first 2 shown]
                                        ;       Child Loop BB43_27 Depth 3
                                        ;       Child Loop BB43_29 Depth 3
                                        ;         Child Loop BB43_30 Depth 4
                                        ;       Child Loop BB43_35 Depth 3
                                        ;         Child Loop BB43_37 Depth 4
                                        ;     Child Loop BB43_39 Depth 2
                                        ;     Child Loop BB43_44 Depth 2
                                        ;       Child Loop BB43_47 Depth 3
                                        ;         Child Loop BB43_48 Depth 4
                                        ;         Child Loop BB43_51 Depth 4
                                        ;           Child Loop BB43_52 Depth 5
                                        ;         Child Loop BB43_57 Depth 4
                                        ;           Child Loop BB43_59 Depth 5
                                        ;     Child Loop BB43_66 Depth 2
                                        ;     Child Loop BB43_70 Depth 2
	s_and_saveexec_b32 s16, s0
	s_cbranch_execz .LBB43_14
; %bb.4:                                ;   in Loop: Header=BB43_3 Depth=1
	s_and_not1_b32 vcc_lo, exec_lo, s31
	s_mul_u64 s[12:13], s[6:7], s[2:3]
	s_cbranch_vccnz .LBB43_8
; %bb.5:                                ;   in Loop: Header=BB43_3 Depth=1
	v_add_nc_u64_e32 v[34:35], s[12:13], v[0:1]
	s_mov_b32 s15, 1
	s_mov_b32 s17, 0
	;; [unrolled: 1-line block ×3, first 2 shown]
.LBB43_6:                               ;   Parent Loop BB43_3 Depth=1
                                        ; =>  This Inner Loop Header: Depth=2
	global_load_b64 v[36:37], v[34:35], off
	s_wait_xcnt 0x0
	v_add_nc_u64_e32 v[34:35], 8, v[34:35]
	v_lshl_or_b32 v38, s17, 8, v66
	v_lshl_or_b32 v39, s15, 8, v66
	s_add_co_i32 s22, s22, -2
	s_add_co_i32 s17, s17, 2
	s_add_co_i32 s15, s15, 2
	s_mov_b32 s14, s30
	s_mov_b32 s23, s33
	s_cmp_lg_u32 s22, 0
	s_wait_loadcnt 0x0
	ds_store_b32 v38, v36
	ds_store_b32 v39, v37
	s_cbranch_scc1 .LBB43_6
; %bb.7:                                ;   in Loop: Header=BB43_3 Depth=1
	s_and_b32 vcc_lo, exec_lo, s23
	s_cbranch_vccnz .LBB43_9
	s_branch .LBB43_11
.LBB43_8:                               ;   in Loop: Header=BB43_3 Depth=1
	s_wait_xcnt 0x0
	s_mov_b32 s14, 0
	s_cbranch_execz .LBB43_11
.LBB43_9:                               ;   in Loop: Header=BB43_3 Depth=1
	s_mov_b32 s15, s3
	v_lshl_or_b32 v36, s14, 8, v66
	s_mul_u64 s[22:23], s[4:5], s[14:15]
	s_delay_alu instid0(SALU_CYCLE_1) | instskip(NEXT) | instid1(SALU_CYCLE_1)
	s_add_nc_u64 s[12:13], s[22:23], s[12:13]
	v_add_nc_u64_e32 v[34:35], s[12:13], v[0:1]
	s_sub_co_i32 s12, s1, s14
.LBB43_10:                              ;   Parent Loop BB43_3 Depth=1
                                        ; =>  This Inner Loop Header: Depth=2
	global_load_b32 v37, v[34:35], off
	s_wait_xcnt 0x0
	v_add_nc_u64_e32 v[34:35], s[4:5], v[34:35]
	s_add_co_i32 s12, s12, -1
	s_delay_alu instid0(SALU_CYCLE_1)
	s_cmp_eq_u32 s12, 0
	s_wait_loadcnt 0x0
	ds_store_b32 v36, v37
	v_add_nc_u32_e32 v36, 0x100, v36
	s_cbranch_scc0 .LBB43_10
.LBB43_11:                              ;   in Loop: Header=BB43_3 Depth=1
	v_mov_b32_e32 v34, 1.0
	s_and_b32 vcc_lo, exec_lo, s27
	s_cbranch_vccz .LBB43_13
; %bb.12:                               ;   in Loop: Header=BB43_3 Depth=1
	ds_load_b32 v34, v67
	s_wait_dscnt 0x0
	v_div_scale_f32 v35, null, v34, v34, 1.0
	s_delay_alu instid0(VALU_DEP_1) | instskip(SKIP_1) | instid1(TRANS32_DEP_1)
	v_rcp_f32_e32 v36, v35
	v_nop
	v_fma_f32 v37, -v35, v36, 1.0
	s_delay_alu instid0(VALU_DEP_1) | instskip(SKIP_1) | instid1(VALU_DEP_1)
	v_fmac_f32_e32 v36, v37, v36
	v_div_scale_f32 v37, vcc_lo, 1.0, v34, 1.0
	v_mul_f32_e32 v38, v37, v36
	s_delay_alu instid0(VALU_DEP_1) | instskip(NEXT) | instid1(VALU_DEP_1)
	v_fma_f32 v39, -v35, v38, v37
	v_fmac_f32_e32 v38, v39, v36
	s_delay_alu instid0(VALU_DEP_1) | instskip(NEXT) | instid1(VALU_DEP_1)
	v_fma_f32 v35, -v35, v38, v37
	v_div_fmas_f32 v35, v35, v36, v38
	s_delay_alu instid0(VALU_DEP_1)
	v_div_fixup_f32 v34, v35, v34, 1.0
.LBB43_13:                              ;   in Loop: Header=BB43_3 Depth=1
	ds_store_b32 v67, v34
.LBB43_14:                              ;   in Loop: Header=BB43_3 Depth=1
	s_or_b32 exec_lo, exec_lo, s16
	s_mul_u64 s[12:13], s[10:11], s[2:3]
	s_delay_alu instid0(SALU_CYCLE_1)
	v_add_nc_u64_e32 v[70:71], s[12:13], v[68:69]
	s_and_saveexec_b32 s14, s29
	s_cbranch_execz .LBB43_22
; %bb.15:                               ;   in Loop: Header=BB43_3 Depth=1
	s_and_not1_b32 vcc_lo, exec_lo, s34
	s_cbranch_vccnz .LBB43_19
; %bb.16:                               ;   in Loop: Header=BB43_3 Depth=1
	s_delay_alu instid0(VALU_DEP_1)
	v_mov_b64_e32 v[34:35], v[70:71]
	s_mov_b32 s15, 1
	s_mov_b32 s16, 0
	;; [unrolled: 1-line block ×3, first 2 shown]
.LBB43_17:                              ;   Parent Loop BB43_3 Depth=1
                                        ; =>  This Inner Loop Header: Depth=2
	global_load_b64 v[36:37], v[34:35], off
	v_mov_b64_e32 v[38:39], s[20:21]
	s_wait_xcnt 0x0
	v_add_nc_u64_e32 v[34:35], 8, v[34:35]
	v_lshl_add_u32 v40, s16, 8, v72
	v_lshl_add_u32 v41, s15, 8, v72
	s_add_co_i32 s17, s17, -2
	s_add_co_i32 s16, s16, 2
	s_add_co_i32 s15, s15, 2
	s_mov_b32 s22, s35
	s_mov_b32 s23, s36
	s_cmp_lg_u32 s17, 0
	s_wait_loadcnt 0x0
	v_pk_mul_f32 v[36:37], v[38:39], v[36:37]
	ds_store_b32 v40, v36
	ds_store_b32 v41, v37
	s_cbranch_scc1 .LBB43_17
; %bb.18:                               ;   in Loop: Header=BB43_3 Depth=1
	s_and_b32 vcc_lo, exec_lo, s23
	s_cbranch_vccnz .LBB43_20
	s_branch .LBB43_22
.LBB43_19:                              ;   in Loop: Header=BB43_3 Depth=1
	s_wait_xcnt 0x0
	s_mov_b32 s22, 0
	s_cbranch_execz .LBB43_22
.LBB43_20:                              ;   in Loop: Header=BB43_3 Depth=1
	s_lshl_b32 s16, s22, 2
	s_mov_b32 s17, s3
	v_lshl_add_u32 v36, s22, 8, v72
	s_add_nc_u64 s[16:17], s[12:13], s[16:17]
	s_sub_co_i32 s15, s1, s22
	v_add_nc_u64_e32 v[34:35], s[16:17], v[68:69]
.LBB43_21:                              ;   Parent Loop BB43_3 Depth=1
                                        ; =>  This Inner Loop Header: Depth=2
	global_load_b32 v37, v[34:35], off
	s_wait_xcnt 0x0
	v_add_nc_u64_e32 v[34:35], 4, v[34:35]
	s_add_co_i32 s15, s15, -1
	s_delay_alu instid0(SALU_CYCLE_1)
	s_cmp_lg_u32 s15, 0
	s_wait_loadcnt 0x0
	v_mul_f32_e32 v37, s20, v37
	ds_store_b32 v36, v37
	v_add_nc_u32_e32 v36, 0x100, v36
	s_cbranch_scc1 .LBB43_21
.LBB43_22:                              ;   in Loop: Header=BB43_3 Depth=1
	s_or_b32 exec_lo, exec_lo, s14
	s_delay_alu instid0(SALU_CYCLE_1)
	s_and_not1_b32 vcc_lo, exec_lo, s28
	s_mov_b32 s14, -1
	s_wait_dscnt 0x0
	s_barrier_signal -1
	s_barrier_wait -1
                                        ; implicit-def: $vgpr34_vgpr35_vgpr36_vgpr37_vgpr38_vgpr39_vgpr40_vgpr41_vgpr42_vgpr43_vgpr44_vgpr45_vgpr46_vgpr47_vgpr48_vgpr49_vgpr50_vgpr51_vgpr52_vgpr53_vgpr54_vgpr55_vgpr56_vgpr57_vgpr58_vgpr59_vgpr60_vgpr61_vgpr62_vgpr63_vgpr64_vgpr65
	s_cbranch_vccnz .LBB43_42
; %bb.23:                               ;   in Loop: Header=BB43_3 Depth=1
	v_mov_b64_e32 v[64:65], v[32:33]
	v_mov_b64_e32 v[62:63], v[30:31]
	;; [unrolled: 1-line block ×16, first 2 shown]
	s_wait_xcnt 0x0
	s_mov_b32 s23, 0
	s_mov_b32 s22, s26
	s_load_b32 s24, s[8:9], s23 offset:0x0 scale_offset
	s_wait_kmcnt 0x0
	s_add_co_i32 s25, s24, -1
	s_delay_alu instid0(SALU_CYCLE_1)
	s_cmp_lt_i32 s22, s25
	s_cbranch_scc1 .LBB43_39
.LBB43_24:                              ;   in Loop: Header=BB43_3 Depth=1
	s_lshl_b32 s14, s22, 8
	s_lshl_b32 s15, s24, 8
	v_add_nc_u32_e32 v73, s14, v72
	s_max_i32 s37, s24, 1
	s_sub_co_i32 s38, 0, s15
	s_add_co_i32 s39, s18, s14
	s_mul_i32 s40, s22, 0x104
	s_mul_i32 s41, s24, 0xfffffefc
	s_branch .LBB43_26
.LBB43_25:                              ;   in Loop: Header=BB43_26 Depth=2
	v_add_nc_u32_e32 v73, s38, v73
	s_sub_co_i32 s22, s22, s24
	s_add_co_i32 s39, s39, s38
	s_add_co_i32 s40, s40, s41
	s_cmp_lt_i32 s22, s25
	s_cbranch_scc1 .LBB43_39
.LBB43_26:                              ;   Parent Loop BB43_3 Depth=1
                                        ; =>  This Loop Header: Depth=2
                                        ;       Child Loop BB43_27 Depth 3
                                        ;       Child Loop BB43_29 Depth 3
                                        ;         Child Loop BB43_30 Depth 4
                                        ;       Child Loop BB43_35 Depth 3
                                        ;         Child Loop BB43_37 Depth 4
	v_mov_b32_e32 v74, v73
	s_mov_b64 s[14:15], 0
.LBB43_27:                              ;   Parent Loop BB43_3 Depth=1
                                        ;     Parent Loop BB43_26 Depth=2
                                        ; =>    This Inner Loop Header: Depth=3
	ds_load_b32 v75, v74
	v_add_nc_u32_e32 v74, 0xffffff00, v74
	s_mov_b32 m0, s14
	s_add_nc_u64 s[14:15], s[14:15], 1
	s_delay_alu instid0(SALU_CYCLE_1)
	s_cmp_eq_u32 s37, s14
	s_wait_dscnt 0x0
	v_movreld_b32_e32 v34, v75
	s_cbranch_scc0 .LBB43_27
; %bb.28:                               ;   in Loop: Header=BB43_26 Depth=2
	s_cmp_le_i32 s26, s22
	s_mov_b32 s16, s39
	s_mov_b32 s17, s26
	s_cbranch_scc1 .LBB43_32
.LBB43_29:                              ;   Parent Loop BB43_3 Depth=1
                                        ;     Parent Loop BB43_26 Depth=2
                                        ; =>    This Loop Header: Depth=3
                                        ;         Child Loop BB43_30 Depth 4
	v_lshl_add_u32 v74, s17, 8, v72
	s_mov_b64 s[14:15], 0
	s_mov_b32 s42, s16
	ds_load_b32 v74, v74
.LBB43_30:                              ;   Parent Loop BB43_3 Depth=1
                                        ;     Parent Loop BB43_26 Depth=2
                                        ;       Parent Loop BB43_29 Depth=3
                                        ; =>      This Inner Loop Header: Depth=4
	v_mov_b32_e32 v75, s42
	s_mov_b32 m0, s14
	s_add_nc_u64 s[14:15], s[14:15], 1
	v_movrels_b32_e32 v76, v34
	s_addk_co_i32 s42, 0xff00
	ds_load_b32 v75, v75
	s_cmp_eq_u32 s37, s14
	s_wait_dscnt 0x0
	v_fma_f32 v75, -v74, v75, v76
	s_delay_alu instid0(VALU_DEP_1)
	v_movreld_b32_e32 v34, v75
	s_cbranch_scc0 .LBB43_30
; %bb.31:                               ;   in Loop: Header=BB43_29 Depth=3
	s_add_co_i32 s17, s17, -1
	s_add_co_i32 s16, s16, -4
	s_cmp_le_i32 s17, s22
	s_cbranch_scc0 .LBB43_29
.LBB43_32:                              ;   in Loop: Header=BB43_26 Depth=2
	s_lshl_b32 s42, s22, 8
	s_mov_b64 s[14:15], 0
	s_mov_b32 s43, s40
	s_branch .LBB43_35
.LBB43_33:                              ;   in Loop: Header=BB43_35 Depth=3
	s_mov_b32 s45, s22
	s_mov_b64 s[16:17], 0
	s_mov_b32 s44, s42
.LBB43_34:                              ;   in Loop: Header=BB43_35 Depth=3
	s_mov_b32 m0, s16
	s_mul_i32 s16, s45, 0x104
	v_movrels_b32_e32 v75, v34
	v_mov_b32_e32 v74, s16
	s_add_nc_u64 s[14:15], s[14:15], 1
	s_addk_co_i32 s43, 0xff00
	s_cmp_eq_u32 s14, s37
	ds_load_b32 v74, v74
	s_wait_dscnt 0x0
	v_dual_mul_f32 v74, v75, v74 :: v_dual_add_nc_u32 v75, s44, v72
	s_delay_alu instid0(VALU_DEP_1)
	v_movreld_b32_e32 v34, v74
	ds_store_b32 v75, v74
	s_cbranch_scc1 .LBB43_25
.LBB43_35:                              ;   Parent Loop BB43_3 Depth=1
                                        ;     Parent Loop BB43_26 Depth=2
                                        ; =>    This Loop Header: Depth=3
                                        ;         Child Loop BB43_37 Depth 4
	s_cmp_eq_u32 s14, 0
	s_cbranch_scc1 .LBB43_33
; %bb.36:                               ;   in Loop: Header=BB43_35 Depth=3
	s_sub_co_i32 s45, s22, s14
	s_mov_b64 s[16:17], 0
	s_lshl_b32 s44, s45, 8
	s_mov_b32 s46, s43
.LBB43_37:                              ;   Parent Loop BB43_3 Depth=1
                                        ;     Parent Loop BB43_26 Depth=2
                                        ;       Parent Loop BB43_35 Depth=3
                                        ; =>      This Inner Loop Header: Depth=4
	s_delay_alu instid0(SALU_CYCLE_1)
	v_mov_b32_e32 v74, s46
	s_mov_b32 m0, s16
	s_add_nc_u64 s[16:17], s[16:17], 1
	v_movrels_b32_e32 v75, v34
	s_mov_b32 m0, s14
	ds_load_b32 v74, v74
	v_movrels_b32_e32 v76, v34
	s_add_co_i32 s46, s46, -4
	s_cmp_eq_u32 s14, s16
	s_wait_dscnt 0x0
	s_delay_alu instid0(VALU_DEP_1) | instskip(NEXT) | instid1(VALU_DEP_1)
	v_fma_f32 v74, -v75, v74, v76
	v_movreld_b32_e32 v34, v74
	s_cbranch_scc0 .LBB43_37
; %bb.38:                               ;   in Loop: Header=BB43_35 Depth=3
	s_mov_b64 s[16:17], s[14:15]
	s_branch .LBB43_34
.LBB43_39:                              ;   Parent Loop BB43_3 Depth=1
                                        ; =>  This Inner Loop Header: Depth=2
	s_cmp_gt_i32 s22, -1
	s_cselect_b32 s15, -1, 0
	s_add_co_i32 s14, s23, 1
	s_cmp_lt_u32 s23, 2
	s_cselect_b32 s16, -1, 0
	s_delay_alu instid0(SALU_CYCLE_1) | instskip(NEXT) | instid1(SALU_CYCLE_1)
	s_and_b32 s15, s15, s16
	s_and_b32 vcc_lo, exec_lo, s15
	s_cbranch_vccz .LBB43_41
; %bb.40:                               ;   in Loop: Header=BB43_39 Depth=2
	s_wait_xcnt 0x0
	s_mov_b32 s23, s14
	s_load_b32 s24, s[8:9], s23 offset:0x0 scale_offset
	s_wait_kmcnt 0x0
	s_add_co_i32 s25, s24, -1
	s_delay_alu instid0(SALU_CYCLE_1)
	s_cmp_lt_i32 s22, s25
	s_cbranch_scc0 .LBB43_24
	s_branch .LBB43_39
.LBB43_41:                              ;   in Loop: Header=BB43_3 Depth=1
	s_mov_b32 s14, 0
.LBB43_42:                              ;   in Loop: Header=BB43_3 Depth=1
	s_delay_alu instid0(SALU_CYCLE_1)
	s_and_b32 vcc_lo, exec_lo, s14
	s_cbranch_vccz .LBB43_63
; %bb.43:                               ;   in Loop: Header=BB43_3 Depth=1
	s_mov_b32 s22, 0
	s_wait_xcnt 0x0
	s_mov_b32 s23, 0
.LBB43_44:                              ;   Parent Loop BB43_3 Depth=1
                                        ; =>  This Loop Header: Depth=2
                                        ;       Child Loop BB43_47 Depth 3
                                        ;         Child Loop BB43_48 Depth 4
                                        ;         Child Loop BB43_51 Depth 4
                                        ;           Child Loop BB43_52 Depth 5
                                        ;         Child Loop BB43_57 Depth 4
                                        ;           Child Loop BB43_59 Depth 5
	s_load_b32 s24, s[8:9], s23 offset:0x0 scale_offset
	s_wait_kmcnt 0x0
	s_add_co_i32 s25, s24, -1
	s_delay_alu instid0(SALU_CYCLE_1) | instskip(NEXT) | instid1(SALU_CYCLE_1)
	s_add_co_i32 s14, s25, s22
	s_cmp_ge_i32 s14, s1
	s_cbranch_scc1 .LBB43_60
; %bb.45:                               ;   in Loop: Header=BB43_44 Depth=2
	v_lshl_add_u32 v34, s22, 8, v72
	s_max_i32 s37, s24, 1
	s_lshl_b32 s38, s24, 8
	s_lshl_b32 s39, s22, 2
	;; [unrolled: 1-line block ×3, first 2 shown]
	s_mul_i32 s41, s22, 0x104
	s_mul_i32 s42, s24, 0x104
	s_branch .LBB43_47
.LBB43_46:                              ;   in Loop: Header=BB43_47 Depth=3
	s_add_co_i32 s22, s22, s24
	v_add_nc_u32_e32 v34, s38, v34
	s_add_co_i32 s14, s25, s22
	s_add_co_i32 s39, s39, s40
	;; [unrolled: 1-line block ×3, first 2 shown]
	s_cmp_ge_i32 s14, s1
	s_cbranch_scc1 .LBB43_60
.LBB43_47:                              ;   Parent Loop BB43_3 Depth=1
                                        ;     Parent Loop BB43_44 Depth=2
                                        ; =>    This Loop Header: Depth=3
                                        ;         Child Loop BB43_48 Depth 4
                                        ;         Child Loop BB43_51 Depth 4
                                        ;           Child Loop BB43_52 Depth 5
                                        ;         Child Loop BB43_57 Depth 4
                                        ;           Child Loop BB43_59 Depth 5
	v_mov_b32_e32 v35, v34
	s_mov_b64 s[14:15], 0
.LBB43_48:                              ;   Parent Loop BB43_3 Depth=1
                                        ;     Parent Loop BB43_44 Depth=2
                                        ;       Parent Loop BB43_47 Depth=3
                                        ; =>      This Inner Loop Header: Depth=4
	ds_load_b32 v36, v35
	v_add_nc_u32_e32 v35, 0x100, v35
	s_mov_b32 m0, s14
	s_add_nc_u64 s[14:15], s[14:15], 1
	s_delay_alu instid0(SALU_CYCLE_1)
	s_cmp_eq_u32 s37, s14
	s_wait_dscnt 0x0
	v_movreld_b32_e32 v2, v36
	s_cbranch_scc0 .LBB43_48
; %bb.49:                               ;   in Loop: Header=BB43_47 Depth=3
	s_cmp_lt_i32 s22, 1
	s_cbranch_scc1 .LBB43_54
; %bb.50:                               ;   in Loop: Header=BB43_47 Depth=3
	s_mov_b32 s16, 0
	s_mov_b32 s17, s39
.LBB43_51:                              ;   Parent Loop BB43_3 Depth=1
                                        ;     Parent Loop BB43_44 Depth=2
                                        ;       Parent Loop BB43_47 Depth=3
                                        ; =>      This Loop Header: Depth=4
                                        ;           Child Loop BB43_52 Depth 5
	v_lshl_add_u32 v35, s16, 8, v72
	s_mov_b64 s[14:15], 0
	s_mov_b32 s43, s17
	ds_load_b32 v35, v35
.LBB43_52:                              ;   Parent Loop BB43_3 Depth=1
                                        ;     Parent Loop BB43_44 Depth=2
                                        ;       Parent Loop BB43_47 Depth=3
                                        ;         Parent Loop BB43_51 Depth=4
                                        ; =>        This Inner Loop Header: Depth=5
	v_mov_b32_e32 v36, s43
	s_mov_b32 m0, s14
	s_add_nc_u64 s[14:15], s[14:15], 1
	v_movrels_b32_e32 v37, v2
	s_add_co_i32 s43, s43, 4
	ds_load_b32 v36, v36
	s_cmp_eq_u32 s37, s14
	s_wait_dscnt 0x0
	v_fma_f32 v36, -v35, v36, v37
	s_delay_alu instid0(VALU_DEP_1)
	v_movreld_b32_e32 v2, v36
	s_cbranch_scc0 .LBB43_52
; %bb.53:                               ;   in Loop: Header=BB43_51 Depth=4
	s_add_co_i32 s16, s16, 1
	s_addk_co_i32 s17, 0x100
	s_cmp_eq_u32 s16, s22
	s_cbranch_scc0 .LBB43_51
.LBB43_54:                              ;   in Loop: Header=BB43_47 Depth=3
	s_mov_b64 s[14:15], 0
	s_mov_b32 s43, s41
	s_branch .LBB43_57
.LBB43_55:                              ;   in Loop: Header=BB43_57 Depth=4
	s_mov_b64 s[16:17], s[14:15]
.LBB43_56:                              ;   in Loop: Header=BB43_57 Depth=4
	s_delay_alu instid0(SALU_CYCLE_1)
	s_mov_b32 m0, s16
	s_add_co_i32 s16, s14, s22
	v_movrels_b32_e32 v36, v2
	s_mul_i32 s17, s16, 0x104
	s_add_nc_u64 s[14:15], s[14:15], 1
	v_mov_b32_e32 v35, s17
	s_add_co_i32 s43, s43, 4
	s_cmp_eq_u32 s14, s37
	ds_load_b32 v35, v35
	s_wait_dscnt 0x0
	v_mul_f32_e32 v35, v36, v35
	v_lshl_add_u32 v36, s16, 8, v72
	s_delay_alu instid0(VALU_DEP_2)
	v_movreld_b32_e32 v2, v35
	ds_store_b32 v36, v35
	s_cbranch_scc1 .LBB43_46
.LBB43_57:                              ;   Parent Loop BB43_3 Depth=1
                                        ;     Parent Loop BB43_44 Depth=2
                                        ;       Parent Loop BB43_47 Depth=3
                                        ; =>      This Loop Header: Depth=4
                                        ;           Child Loop BB43_59 Depth 5
	s_mov_b64 s[16:17], 0
	s_cmp_eq_u32 s14, 0
	s_cbranch_scc1 .LBB43_56
; %bb.58:                               ;   in Loop: Header=BB43_57 Depth=4
	s_mov_b32 s44, s43
.LBB43_59:                              ;   Parent Loop BB43_3 Depth=1
                                        ;     Parent Loop BB43_44 Depth=2
                                        ;       Parent Loop BB43_47 Depth=3
                                        ;         Parent Loop BB43_57 Depth=4
                                        ; =>        This Inner Loop Header: Depth=5
	s_delay_alu instid0(SALU_CYCLE_1)
	v_mov_b32_e32 v35, s44
	s_mov_b32 m0, s16
	s_add_nc_u64 s[16:17], s[16:17], 1
	v_movrels_b32_e32 v36, v2
	s_mov_b32 m0, s14
	ds_load_b32 v35, v35
	v_movrels_b32_e32 v37, v2
	s_addk_co_i32 s44, 0x100
	s_cmp_eq_u32 s14, s16
	s_wait_dscnt 0x0
	s_delay_alu instid0(VALU_DEP_1) | instskip(NEXT) | instid1(VALU_DEP_1)
	v_fma_f32 v35, -v36, v35, v37
	v_movreld_b32_e32 v2, v35
	s_cbranch_scc0 .LBB43_59
	s_branch .LBB43_55
.LBB43_60:                              ;   in Loop: Header=BB43_44 Depth=2
	s_cmp_lt_i32 s22, s1
	s_cselect_b32 s15, -1, 0
	s_add_co_i32 s14, s23, 1
	s_cmp_lt_u32 s23, 2
	s_cselect_b32 s16, -1, 0
	s_delay_alu instid0(SALU_CYCLE_1) | instskip(NEXT) | instid1(SALU_CYCLE_1)
	s_and_b32 s15, s15, s16
	s_and_not1_b32 vcc_lo, exec_lo, s15
	s_cbranch_vccnz .LBB43_62
; %bb.61:                               ;   in Loop: Header=BB43_44 Depth=2
	s_wait_xcnt 0x0
	s_mov_b32 s23, s14
	s_branch .LBB43_44
.LBB43_62:                              ;   in Loop: Header=BB43_3 Depth=1
	v_mov_b64_e32 v[64:65], v[32:33]
	v_mov_b64_e32 v[62:63], v[30:31]
	v_mov_b64_e32 v[60:61], v[28:29]
	v_mov_b64_e32 v[58:59], v[26:27]
	v_mov_b64_e32 v[56:57], v[24:25]
	v_mov_b64_e32 v[54:55], v[22:23]
	v_mov_b64_e32 v[52:53], v[20:21]
	v_mov_b64_e32 v[50:51], v[18:19]
	v_mov_b64_e32 v[48:49], v[16:17]
	v_mov_b64_e32 v[46:47], v[14:15]
	v_mov_b64_e32 v[44:45], v[12:13]
	v_mov_b64_e32 v[42:43], v[10:11]
	v_mov_b64_e32 v[40:41], v[8:9]
	v_mov_b64_e32 v[38:39], v[6:7]
	v_mov_b64_e32 v[36:37], v[4:5]
	v_mov_b64_e32 v[34:35], v[2:3]
.LBB43_63:                              ;   in Loop: Header=BB43_3 Depth=1
	s_delay_alu instid0(VALU_DEP_1) | instskip(NEXT) | instid1(VALU_DEP_3)
	v_mov_b64_e32 v[2:3], v[34:35]
	v_mov_b64_e32 v[4:5], v[36:37]
	;; [unrolled: 1-line block ×16, first 2 shown]
	s_wait_dscnt 0x0
	s_barrier_signal -1
	s_barrier_wait -1
	s_and_saveexec_b32 s14, s29
	s_cbranch_execz .LBB43_2
; %bb.64:                               ;   in Loop: Header=BB43_3 Depth=1
	s_and_not1_b32 vcc_lo, exec_lo, s34
	s_cbranch_vccnz .LBB43_68
; %bb.65:                               ;   in Loop: Header=BB43_3 Depth=1
	s_mov_b32 s15, 1
	s_mov_b32 s16, 0
	;; [unrolled: 1-line block ×3, first 2 shown]
.LBB43_66:                              ;   Parent Loop BB43_3 Depth=1
                                        ; =>  This Inner Loop Header: Depth=2
	v_lshl_add_u32 v34, s16, 8, v72
	v_lshl_add_u32 v35, s15, 8, v72
	s_add_co_i32 s17, s17, -2
	s_add_co_i32 s16, s16, 2
	s_add_co_i32 s15, s15, 2
	ds_load_b32 v34, v34
	ds_load_b32 v35, v35
	s_mov_b32 s22, s35
	s_cmp_lg_u32 s17, 0
	s_wait_xcnt 0x0
	s_mov_b32 s23, s36
	s_wait_dscnt 0x0
	global_store_b64 v[70:71], v[34:35], off
	s_wait_xcnt 0x0
	v_add_nc_u64_e32 v[70:71], 8, v[70:71]
	s_cbranch_scc1 .LBB43_66
; %bb.67:                               ;   in Loop: Header=BB43_3 Depth=1
	s_and_b32 vcc_lo, exec_lo, s23
	s_cbranch_vccz .LBB43_2
	s_branch .LBB43_69
.LBB43_68:                              ;   in Loop: Header=BB43_3 Depth=1
	s_wait_xcnt 0x0
	s_mov_b32 s22, 0
	s_cbranch_execz .LBB43_2
.LBB43_69:                              ;   in Loop: Header=BB43_3 Depth=1
	s_lshl_b32 s16, s22, 2
	s_mov_b32 s17, s3
	v_lshl_add_u32 v36, s22, 8, v72
	s_add_nc_u64 s[12:13], s[12:13], s[16:17]
	s_delay_alu instid0(SALU_CYCLE_1)
	v_add_nc_u64_e32 v[34:35], s[12:13], v[68:69]
	s_sub_co_i32 s12, s1, s22
.LBB43_70:                              ;   Parent Loop BB43_3 Depth=1
                                        ; =>  This Inner Loop Header: Depth=2
	ds_load_b32 v37, v36
	v_add_nc_u32_e32 v36, 0x100, v36
	s_add_co_i32 s12, s12, -1
	s_delay_alu instid0(SALU_CYCLE_1)
	s_cmp_lg_u32 s12, 0
	s_wait_dscnt 0x0
	global_store_b32 v[34:35], v37, off
	s_wait_xcnt 0x0
	v_add_nc_u64_e32 v[34:35], 4, v[34:35]
	s_cbranch_scc1 .LBB43_70
	s_branch .LBB43_2
.LBB43_71:
	s_sendmsg sendmsg(MSG_DEALLOC_VGPRS)
	s_endpgm
	.section	.rodata,"a",@progbits
	.p2align	6, 0x0
	.amdhsa_kernel _ZL38rocblas_trsm_small_left_device_sharedBILi64ELi32ELb1EffPKfPfEv13rocblas_fill_18rocblas_operation_17rocblas_diagonal_iiT3_T4_lilT5_lili
		.amdhsa_group_segment_fixed_size 32768
		.amdhsa_private_segment_fixed_size 0
		.amdhsa_kernarg_size 352
		.amdhsa_user_sgpr_count 2
		.amdhsa_user_sgpr_dispatch_ptr 0
		.amdhsa_user_sgpr_queue_ptr 0
		.amdhsa_user_sgpr_kernarg_segment_ptr 1
		.amdhsa_user_sgpr_dispatch_id 0
		.amdhsa_user_sgpr_kernarg_preload_length 0
		.amdhsa_user_sgpr_kernarg_preload_offset 0
		.amdhsa_user_sgpr_private_segment_size 0
		.amdhsa_wavefront_size32 1
		.amdhsa_uses_dynamic_stack 0
		.amdhsa_enable_private_segment 0
		.amdhsa_system_sgpr_workgroup_id_x 1
		.amdhsa_system_sgpr_workgroup_id_y 0
		.amdhsa_system_sgpr_workgroup_id_z 1
		.amdhsa_system_sgpr_workgroup_info 0
		.amdhsa_system_vgpr_workitem_id 0
		.amdhsa_next_free_vgpr 161
		.amdhsa_next_free_sgpr 47
		.amdhsa_named_barrier_count 0
		.amdhsa_reserve_vcc 1
		.amdhsa_float_round_mode_32 0
		.amdhsa_float_round_mode_16_64 0
		.amdhsa_float_denorm_mode_32 3
		.amdhsa_float_denorm_mode_16_64 3
		.amdhsa_fp16_overflow 0
		.amdhsa_memory_ordered 1
		.amdhsa_forward_progress 1
		.amdhsa_inst_pref_size 22
		.amdhsa_round_robin_scheduling 0
		.amdhsa_exception_fp_ieee_invalid_op 0
		.amdhsa_exception_fp_denorm_src 0
		.amdhsa_exception_fp_ieee_div_zero 0
		.amdhsa_exception_fp_ieee_overflow 0
		.amdhsa_exception_fp_ieee_underflow 0
		.amdhsa_exception_fp_ieee_inexact 0
		.amdhsa_exception_int_div_zero 0
	.end_amdhsa_kernel
	.section	.text._ZL38rocblas_trsm_small_left_device_sharedBILi64ELi32ELb1EffPKfPfEv13rocblas_fill_18rocblas_operation_17rocblas_diagonal_iiT3_T4_lilT5_lili,"axG",@progbits,_ZL38rocblas_trsm_small_left_device_sharedBILi64ELi32ELb1EffPKfPfEv13rocblas_fill_18rocblas_operation_17rocblas_diagonal_iiT3_T4_lilT5_lili,comdat
.Lfunc_end43:
	.size	_ZL38rocblas_trsm_small_left_device_sharedBILi64ELi32ELb1EffPKfPfEv13rocblas_fill_18rocblas_operation_17rocblas_diagonal_iiT3_T4_lilT5_lili, .Lfunc_end43-_ZL38rocblas_trsm_small_left_device_sharedBILi64ELi32ELb1EffPKfPfEv13rocblas_fill_18rocblas_operation_17rocblas_diagonal_iiT3_T4_lilT5_lili
                                        ; -- End function
	.set _ZL38rocblas_trsm_small_left_device_sharedBILi64ELi32ELb1EffPKfPfEv13rocblas_fill_18rocblas_operation_17rocblas_diagonal_iiT3_T4_lilT5_lili.num_vgpr, 77
	.set _ZL38rocblas_trsm_small_left_device_sharedBILi64ELi32ELb1EffPKfPfEv13rocblas_fill_18rocblas_operation_17rocblas_diagonal_iiT3_T4_lilT5_lili.num_agpr, 0
	.set _ZL38rocblas_trsm_small_left_device_sharedBILi64ELi32ELb1EffPKfPfEv13rocblas_fill_18rocblas_operation_17rocblas_diagonal_iiT3_T4_lilT5_lili.numbered_sgpr, 47
	.set _ZL38rocblas_trsm_small_left_device_sharedBILi64ELi32ELb1EffPKfPfEv13rocblas_fill_18rocblas_operation_17rocblas_diagonal_iiT3_T4_lilT5_lili.num_named_barrier, 0
	.set _ZL38rocblas_trsm_small_left_device_sharedBILi64ELi32ELb1EffPKfPfEv13rocblas_fill_18rocblas_operation_17rocblas_diagonal_iiT3_T4_lilT5_lili.private_seg_size, 0
	.set _ZL38rocblas_trsm_small_left_device_sharedBILi64ELi32ELb1EffPKfPfEv13rocblas_fill_18rocblas_operation_17rocblas_diagonal_iiT3_T4_lilT5_lili.uses_vcc, 1
	.set _ZL38rocblas_trsm_small_left_device_sharedBILi64ELi32ELb1EffPKfPfEv13rocblas_fill_18rocblas_operation_17rocblas_diagonal_iiT3_T4_lilT5_lili.uses_flat_scratch, 0
	.set _ZL38rocblas_trsm_small_left_device_sharedBILi64ELi32ELb1EffPKfPfEv13rocblas_fill_18rocblas_operation_17rocblas_diagonal_iiT3_T4_lilT5_lili.has_dyn_sized_stack, 0
	.set _ZL38rocblas_trsm_small_left_device_sharedBILi64ELi32ELb1EffPKfPfEv13rocblas_fill_18rocblas_operation_17rocblas_diagonal_iiT3_T4_lilT5_lili.has_recursion, 0
	.set _ZL38rocblas_trsm_small_left_device_sharedBILi64ELi32ELb1EffPKfPfEv13rocblas_fill_18rocblas_operation_17rocblas_diagonal_iiT3_T4_lilT5_lili.has_indirect_call, 0
	.section	.AMDGPU.csdata,"",@progbits
; Kernel info:
; codeLenInByte = 2796
; TotalNumSgprs: 49
; NumVgprs: 77
; ScratchSize: 0
; MemoryBound: 0
; FloatMode: 240
; IeeeMode: 1
; LDSByteSize: 32768 bytes/workgroup (compile time only)
; SGPRBlocks: 0
; VGPRBlocks: 10
; NumSGPRsForWavesPerEU: 49
; NumVGPRsForWavesPerEU: 161
; NamedBarCnt: 0
; Occupancy: 5
; WaveLimiterHint : 0
; COMPUTE_PGM_RSRC2:SCRATCH_EN: 0
; COMPUTE_PGM_RSRC2:USER_SGPR: 2
; COMPUTE_PGM_RSRC2:TRAP_HANDLER: 0
; COMPUTE_PGM_RSRC2:TGID_X_EN: 1
; COMPUTE_PGM_RSRC2:TGID_Y_EN: 0
; COMPUTE_PGM_RSRC2:TGID_Z_EN: 1
; COMPUTE_PGM_RSRC2:TIDIG_COMP_CNT: 0
	.section	.text._ZL30rocblas_trsm_small_left_deviceILi64ELi32ELb1EffPKfPfEv13rocblas_fill_18rocblas_operation_17rocblas_diagonal_iiT3_T4_lilT5_lili,"axG",@progbits,_ZL30rocblas_trsm_small_left_deviceILi64ELi32ELb1EffPKfPfEv13rocblas_fill_18rocblas_operation_17rocblas_diagonal_iiT3_T4_lilT5_lili,comdat
	.globl	_ZL30rocblas_trsm_small_left_deviceILi64ELi32ELb1EffPKfPfEv13rocblas_fill_18rocblas_operation_17rocblas_diagonal_iiT3_T4_lilT5_lili ; -- Begin function _ZL30rocblas_trsm_small_left_deviceILi64ELi32ELb1EffPKfPfEv13rocblas_fill_18rocblas_operation_17rocblas_diagonal_iiT3_T4_lilT5_lili
	.p2align	8
	.type	_ZL30rocblas_trsm_small_left_deviceILi64ELi32ELb1EffPKfPfEv13rocblas_fill_18rocblas_operation_17rocblas_diagonal_iiT3_T4_lilT5_lili,@function
_ZL30rocblas_trsm_small_left_deviceILi64ELi32ELb1EffPKfPfEv13rocblas_fill_18rocblas_operation_17rocblas_diagonal_iiT3_T4_lilT5_lili: ; @_ZL30rocblas_trsm_small_left_deviceILi64ELi32ELb1EffPKfPfEv13rocblas_fill_18rocblas_operation_17rocblas_diagonal_iiT3_T4_lilT5_lili
; %bb.0:
	s_load_b32 s28, s[0:1], 0x58
	s_bfe_u32 s2, ttmp6, 0x40014
	s_lshr_b32 s4, ttmp7, 16
	s_add_co_i32 s2, s2, 1
	s_bfe_u32 s5, ttmp6, 0x40008
	s_mul_i32 s2, s4, s2
	s_getreg_b32 s3, hwreg(HW_REG_IB_STS2, 6, 4)
	s_add_co_i32 s5, s5, s2
	s_cmp_eq_u32 s3, 0
	s_mov_b32 s19, 0
	s_cselect_b32 s2, s4, s5
	s_wait_kmcnt 0x0
	s_cmp_ge_u32 s2, s28
	s_cbranch_scc1 .LBB44_57
; %bb.1:
	s_clause 0x7
	s_load_b32 s22, s[0:1], 0x28
	s_load_b96 s[16:18], s[0:1], 0x40
	s_load_b128 s[4:7], s[0:1], 0x18
	s_load_b128 s[12:15], s[0:1], 0x4
	;; [unrolled: 1-line block ×3, first 2 shown]
	s_load_b32 s24, s[0:1], 0x60
	s_load_b64 s[20:21], s[0:1], 0x50
	s_load_b32 s29, s[0:1], 0x14
	v_dual_mov_b32 v67, 0 :: v_dual_lshlrev_b32 v66, 2, v0
	v_lshlrev_b32_e32 v34, 8, v0
	s_mov_b32 s39, 0
	s_delay_alu instid0(VALU_DEP_2)
	v_dual_mov_b32 v2, v67 :: v_dual_mov_b32 v3, v67
	v_dual_mov_b32 v4, v67 :: v_dual_mov_b32 v5, v67
	;; [unrolled: 1-line block ×4, first 2 shown]
	v_mov_b32_e32 v10, v67
	s_wait_kmcnt 0x0
	s_ashr_i32 s23, s22, 31
	v_dual_mov_b32 v12, v67 :: v_dual_mov_b32 v13, v67
	s_cmp_eq_u64 s[22:23], 1
	v_dual_mov_b32 v14, v67 :: v_dual_mov_b32 v15, v67
	s_cselect_b32 s25, -1, 0
	s_bfe_u32 s0, ttmp6, 0x4000c
	s_min_i32 s30, s14, 64
	s_add_co_i32 s0, s0, 1
	s_and_b32 s14, ttmp6, 15
	s_mul_i32 s0, ttmp9, s0
	s_ashr_i32 s1, s18, 31
	s_lshl_b64 s[16:17], s[16:17], 2
	s_add_co_i32 s24, s24, -1
	s_add_co_i32 s31, s30, -1
	s_add_co_i32 s14, s14, s0
	s_cmp_eq_u32 s3, 0
	s_mov_b32 s0, s18
	s_cselect_b32 s3, ttmp9, s14
	s_add_nc_u64 s[10:11], s[10:11], s[16:17]
	s_lshl_b32 s14, s3, 6
	s_delay_alu instid0(SALU_CYCLE_1) | instskip(SKIP_2) | instid1(VALU_DEP_3)
	v_dual_mov_b32 v11, v67 :: v_dual_bitop2_b32 v20, s14, v0 bitop3:0x54
	v_dual_mov_b32 v16, v67 :: v_dual_mov_b32 v17, v67
	v_dual_mov_b32 v18, v67 :: v_dual_mov_b32 v19, v67
	v_dual_mov_b32 v22, v67 :: v_dual_ashrrev_i32 v21, 31, v20
	v_dual_mov_b32 v23, v67 :: v_dual_mov_b32 v24, v67
	v_dual_mov_b32 v25, v67 :: v_dual_mov_b32 v26, v67
	s_delay_alu instid0(VALU_DEP_3)
	v_mul_u64_e32 v[28:29], s[0:1], v[20:21]
	s_sub_co_i32 s0, s15, s14
	s_cmp_ge_u32 s3, s24
	v_mov_b32_e32 v20, v67
	s_cselect_b32 s1, s0, 64
	s_cmp_lg_u32 s13, 0x84
	v_cmp_gt_i32_e64 s0, s30, v0
	s_cselect_b32 s33, -1, 0
	s_cmp_lg_u32 s12, 0x6f
	v_cmp_gt_i32_e64 s1, s1, v0
	s_cselect_b32 s34, -1, 0
	s_cmp_gt_u32 s30, 1
	v_mov_b32_e32 v21, v67
	s_cselect_b32 s3, -1, 0
	s_and_b32 s35, s30, -2
	s_and_b32 s36, s3, s25
	s_cmp_lg_u32 s30, s35
	v_mov_b32_e32 v27, v67
	s_cselect_b32 s37, -1, 0
	s_lshl_b64 s[12:13], s[6:7], 2
	v_dual_mov_b32 v31, v67 :: v_dual_mov_b32 v32, v67
	s_add_nc_u64 s[4:5], s[4:5], s[12:13]
	v_mov_b32_e32 v33, v67
	v_add_nc_u64_e32 v[0:1], s[4:5], v[66:67]
	v_mov_b32_e32 v30, v67
	s_lshl_b32 s38, s30, 2
	s_lshl_b64 s[6:7], s[8:9], 2
	s_lshl_b64 s[8:9], s[22:23], 2
	s_add_co_i32 s38, s38, -4
	s_get_pc_i64 s[4:5]
	s_add_nc_u64 s[4:5], s[4:5], __const._ZL30rocblas_trsm_small_left_deviceILi64ELi32ELb1EffPKfPfEv13rocblas_fill_18rocblas_operation_17rocblas_diagonal_iiT3_T4_lilT5_lili.step_sizes@rel64+4
	v_lshl_add_u64 v[68:69], v[28:29], 2, s[10:11]
	v_dual_mov_b32 v28, v67 :: v_dual_mov_b32 v29, v67
	v_add_nc_u32_e32 v67, v66, v34
	s_lshl_b64 s[10:11], s[20:21], 2
	s_branch .LBB44_5
.LBB44_2:                               ;   in Loop: Header=BB44_5 Depth=1
	s_wait_xcnt 0x0
	v_mov_b64_e32 v[64:65], v[32:33]
	v_mov_b64_e32 v[62:63], v[30:31]
	;; [unrolled: 1-line block ×16, first 2 shown]
.LBB44_3:                               ;   in Loop: Header=BB44_5 Depth=1
	s_add_co_i32 s2, s2, 0x10000
	s_delay_alu instid0(SALU_CYCLE_1) | instskip(SKIP_1) | instid1(SALU_CYCLE_1)
	s_cmp_ge_u32 s2, s28
	s_cselect_b32 s3, -1, 0
	s_or_not1_b32 s12, s3, exec_lo
.LBB44_4:                               ;   in Loop: Header=BB44_5 Depth=1
	s_wait_xcnt 0x0
	s_or_b32 exec_lo, exec_lo, s40
	v_mov_b64_e32 v[2:3], v[34:35]
	v_mov_b64_e32 v[4:5], v[36:37]
	;; [unrolled: 1-line block ×16, first 2 shown]
	s_and_b32 s3, exec_lo, s12
	s_delay_alu instid0(SALU_CYCLE_1) | instskip(NEXT) | instid1(SALU_CYCLE_1)
	s_or_b32 s39, s3, s39
	s_and_not1_b32 exec_lo, exec_lo, s39
	s_cbranch_execz .LBB44_57
.LBB44_5:                               ; =>This Loop Header: Depth=1
                                        ;     Child Loop BB44_8 Depth 2
                                        ;     Child Loop BB44_12 Depth 2
	;; [unrolled: 1-line block ×3, first 2 shown]
                                        ;       Child Loop BB44_22 Depth 3
                                        ;       Child Loop BB44_24 Depth 3
                                        ;         Child Loop BB44_25 Depth 4
                                        ;       Child Loop BB44_30 Depth 3
                                        ;         Child Loop BB44_32 Depth 4
                                        ;     Child Loop BB44_34 Depth 2
                                        ;     Child Loop BB44_39 Depth 2
                                        ;       Child Loop BB44_42 Depth 3
                                        ;         Child Loop BB44_43 Depth 4
                                        ;         Child Loop BB44_46 Depth 4
                                        ;           Child Loop BB44_47 Depth 5
                                        ;         Child Loop BB44_52 Depth 4
                                        ;           Child Loop BB44_54 Depth 5
	s_mov_b32 s3, s19
	s_and_saveexec_b32 s14, s0
	s_cbranch_execz .LBB44_16
; %bb.6:                                ;   in Loop: Header=BB44_5 Depth=1
	s_and_not1_b32 vcc_lo, exec_lo, s36
	s_mul_u64 s[12:13], s[6:7], s[2:3]
	s_cbranch_vccnz .LBB44_10
; %bb.7:                                ;   in Loop: Header=BB44_5 Depth=1
	v_add_nc_u64_e32 v[34:35], s[12:13], v[0:1]
	s_mov_b32 s15, 1
	s_mov_b32 s16, 0
	;; [unrolled: 1-line block ×3, first 2 shown]
.LBB44_8:                               ;   Parent Loop BB44_5 Depth=1
                                        ; =>  This Inner Loop Header: Depth=2
	global_load_b64 v[36:37], v[34:35], off
	s_wait_xcnt 0x0
	v_add_nc_u64_e32 v[34:35], 8, v[34:35]
	v_lshl_or_b32 v38, s16, 8, v66
	v_lshl_or_b32 v39, s15, 8, v66
	s_add_co_i32 s17, s17, -2
	s_add_co_i32 s16, s16, 2
	s_add_co_i32 s15, s15, 2
	s_mov_b32 s18, s35
	s_mov_b32 s22, s37
	s_cmp_lg_u32 s17, 0
	s_wait_loadcnt 0x0
	ds_store_b32 v38, v36
	ds_store_b32 v39, v37
	s_cbranch_scc1 .LBB44_8
; %bb.9:                                ;   in Loop: Header=BB44_5 Depth=1
	s_and_b32 vcc_lo, exec_lo, s22
	s_cbranch_vccnz .LBB44_11
	s_branch .LBB44_13
.LBB44_10:                              ;   in Loop: Header=BB44_5 Depth=1
	s_mov_b32 s18, 0
	s_cbranch_execz .LBB44_13
.LBB44_11:                              ;   in Loop: Header=BB44_5 Depth=1
	s_mul_u64 s[16:17], s[8:9], s[18:19]
	v_lshl_or_b32 v36, s18, 8, v66
	s_add_nc_u64 s[12:13], s[16:17], s[12:13]
	s_delay_alu instid0(SALU_CYCLE_1)
	v_add_nc_u64_e32 v[34:35], s[12:13], v[0:1]
	s_sub_co_i32 s12, s30, s18
.LBB44_12:                              ;   Parent Loop BB44_5 Depth=1
                                        ; =>  This Inner Loop Header: Depth=2
	global_load_b32 v37, v[34:35], off
	s_wait_xcnt 0x0
	v_add_nc_u64_e32 v[34:35], s[8:9], v[34:35]
	s_add_co_i32 s12, s12, -1
	s_delay_alu instid0(SALU_CYCLE_1)
	s_cmp_eq_u32 s12, 0
	s_wait_loadcnt 0x0
	ds_store_b32 v36, v37
	v_add_nc_u32_e32 v36, 0x100, v36
	s_cbranch_scc0 .LBB44_12
.LBB44_13:                              ;   in Loop: Header=BB44_5 Depth=1
	v_mov_b32_e32 v34, 1.0
	s_and_b32 vcc_lo, exec_lo, s33
	s_cbranch_vccz .LBB44_15
; %bb.14:                               ;   in Loop: Header=BB44_5 Depth=1
	ds_load_b32 v34, v67
	s_wait_dscnt 0x0
	v_div_scale_f32 v35, null, v34, v34, 1.0
	s_delay_alu instid0(VALU_DEP_1) | instskip(SKIP_1) | instid1(TRANS32_DEP_1)
	v_rcp_f32_e32 v36, v35
	v_nop
	v_fma_f32 v37, -v35, v36, 1.0
	s_delay_alu instid0(VALU_DEP_1) | instskip(SKIP_1) | instid1(VALU_DEP_1)
	v_fmac_f32_e32 v36, v37, v36
	v_div_scale_f32 v37, vcc_lo, 1.0, v34, 1.0
	v_mul_f32_e32 v38, v37, v36
	s_delay_alu instid0(VALU_DEP_1) | instskip(NEXT) | instid1(VALU_DEP_1)
	v_fma_f32 v39, -v35, v38, v37
	v_fmac_f32_e32 v38, v39, v36
	s_delay_alu instid0(VALU_DEP_1) | instskip(NEXT) | instid1(VALU_DEP_1)
	v_fma_f32 v35, -v35, v38, v37
	v_div_fmas_f32 v35, v35, v36, v38
	s_delay_alu instid0(VALU_DEP_1)
	v_div_fixup_f32 v34, v35, v34, 1.0
.LBB44_15:                              ;   in Loop: Header=BB44_5 Depth=1
	ds_store_b32 v67, v34
.LBB44_16:                              ;   in Loop: Header=BB44_5 Depth=1
	s_or_b32 exec_lo, exec_lo, s14
	s_mov_b32 s12, -1
	s_wait_dscnt 0x0
	s_barrier_signal -1
	s_barrier_wait -1
                                        ; implicit-def: $vgpr34_vgpr35_vgpr36_vgpr37_vgpr38_vgpr39_vgpr40_vgpr41_vgpr42_vgpr43_vgpr44_vgpr45_vgpr46_vgpr47_vgpr48_vgpr49_vgpr50_vgpr51_vgpr52_vgpr53_vgpr54_vgpr55_vgpr56_vgpr57_vgpr58_vgpr59_vgpr60_vgpr61_vgpr62_vgpr63_vgpr64_vgpr65
	s_and_saveexec_b32 s40, s1
	s_cbranch_execz .LBB44_4
; %bb.17:                               ;   in Loop: Header=BB44_5 Depth=1
	s_mul_u64 s[12:13], s[20:21], s[2:3]
	s_and_not1_b32 vcc_lo, exec_lo, s34
	v_lshl_add_u64 v[70:71], s[12:13], 2, v[68:69]
	s_mul_u64 s[12:13], s[10:11], s[2:3]
	s_mov_b32 s3, -1
                                        ; implicit-def: $vgpr34_vgpr35_vgpr36_vgpr37_vgpr38_vgpr39_vgpr40_vgpr41_vgpr42_vgpr43_vgpr44_vgpr45_vgpr46_vgpr47_vgpr48_vgpr49_vgpr50_vgpr51_vgpr52_vgpr53_vgpr54_vgpr55_vgpr56_vgpr57_vgpr58_vgpr59_vgpr60_vgpr61_vgpr62_vgpr63_vgpr64_vgpr65
	s_cbranch_vccnz .LBB44_37
; %bb.18:                               ;   in Loop: Header=BB44_5 Depth=1
	v_mov_b64_e32 v[64:65], v[32:33]
	v_add_nc_u64_e32 v[72:73], s[12:13], v[68:69]
	v_mov_b64_e32 v[62:63], v[30:31]
	v_mov_b64_e32 v[60:61], v[28:29]
	;; [unrolled: 1-line block ×15, first 2 shown]
	s_mov_b32 s3, 0
	s_mov_b32 s14, s31
	s_load_b32 s18, s[4:5], s3 offset:0x0 scale_offset
	s_wait_kmcnt 0x0
	s_add_co_i32 s41, s18, -1
	s_delay_alu instid0(SALU_CYCLE_1)
	s_cmp_lt_i32 s14, s41
	s_cbranch_scc1 .LBB44_34
.LBB44_19:                              ;   in Loop: Header=BB44_5 Depth=1
	s_lshl_b32 s15, s14, 8
	s_lshl_b32 s16, s18, 8
	s_max_i32 s42, s18, 1
	s_add_co_i32 s43, s38, s15
	s_sub_co_i32 s44, 0, s16
	s_mul_i32 s45, s14, 0x104
	s_mul_i32 s46, s18, 0xfffffefc
	s_branch .LBB44_21
.LBB44_20:                              ;   in Loop: Header=BB44_21 Depth=2
	s_sub_co_i32 s14, s14, s18
	s_add_co_i32 s43, s43, s44
	s_add_co_i32 s45, s45, s46
	s_cmp_lt_i32 s14, s41
	s_cbranch_scc1 .LBB44_34
.LBB44_21:                              ;   Parent Loop BB44_5 Depth=1
                                        ; =>  This Loop Header: Depth=2
                                        ;       Child Loop BB44_22 Depth 3
                                        ;       Child Loop BB44_24 Depth 3
                                        ;         Child Loop BB44_25 Depth 4
                                        ;       Child Loop BB44_30 Depth 3
                                        ;         Child Loop BB44_32 Depth 4
	s_ashr_i32 s15, s14, 31
	s_mov_b64 s[16:17], 0
	s_wait_xcnt 0x0
	v_lshl_add_u64 v[74:75], s[14:15], 2, v[72:73]
.LBB44_22:                              ;   Parent Loop BB44_5 Depth=1
                                        ;     Parent Loop BB44_21 Depth=2
                                        ; =>    This Inner Loop Header: Depth=3
	global_load_b32 v76, v[74:75], off
	s_wait_xcnt 0x0
	v_add_nc_u64_e32 v[74:75], -4, v[74:75]
	s_mov_b32 m0, s16
	s_add_nc_u64 s[16:17], s[16:17], 1
	s_delay_alu instid0(SALU_CYCLE_1) | instskip(SKIP_2) | instid1(VALU_DEP_1)
	s_cmp_eq_u32 s42, s16
	s_wait_loadcnt 0x0
	v_mul_f32_e32 v76, s29, v76
	v_movreld_b32_e32 v34, v76
	s_cbranch_scc0 .LBB44_22
; %bb.23:                               ;   in Loop: Header=BB44_21 Depth=2
	s_cmp_le_i32 s31, s14
	s_mov_b32 s24, s43
	s_mov_b32 s16, s31
	s_cbranch_scc1 .LBB44_27
.LBB44_24:                              ;   Parent Loop BB44_5 Depth=1
                                        ;     Parent Loop BB44_21 Depth=2
                                        ; =>    This Loop Header: Depth=3
                                        ;         Child Loop BB44_25 Depth 4
	s_ashr_i32 s17, s16, 31
	s_mov_b64 s[22:23], 0
	v_lshl_add_u64 v[74:75], s[16:17], 2, v[70:71]
	s_mov_b32 s17, s24
	global_load_b32 v74, v[74:75], off
.LBB44_25:                              ;   Parent Loop BB44_5 Depth=1
                                        ;     Parent Loop BB44_21 Depth=2
                                        ;       Parent Loop BB44_24 Depth=3
                                        ; =>      This Inner Loop Header: Depth=4
	s_wait_xcnt 0x0
	v_mov_b32_e32 v75, s17
	s_mov_b32 m0, s22
	s_add_nc_u64 s[22:23], s[22:23], 1
	v_movrels_b32_e32 v76, v34
	s_addk_co_i32 s17, 0xff00
	ds_load_b32 v75, v75
	s_cmp_eq_u32 s42, s22
	s_wait_loadcnt_dscnt 0x0
	v_fma_f32 v75, -v74, v75, v76
	s_delay_alu instid0(VALU_DEP_1)
	v_movreld_b32_e32 v34, v75
	s_cbranch_scc0 .LBB44_25
; %bb.26:                               ;   in Loop: Header=BB44_24 Depth=3
	s_add_co_i32 s16, s16, -1
	s_add_co_i32 s24, s24, -4
	s_cmp_le_i32 s16, s14
	s_cbranch_scc0 .LBB44_24
.LBB44_27:                              ;   in Loop: Header=BB44_21 Depth=2
	s_mov_b64 s[16:17], 0
	s_mov_b32 s47, s45
	s_branch .LBB44_30
.LBB44_28:                              ;   in Loop: Header=BB44_30 Depth=3
	s_mov_b32 s22, s14
	s_mov_b64 s[26:27], 0
	s_mov_b64 s[24:25], s[14:15]
.LBB44_29:                              ;   in Loop: Header=BB44_30 Depth=3
	s_mulk_i32 s22, 0x104
	s_mov_b32 m0, s26
	s_wait_xcnt 0x0
	v_mov_b32_e32 v74, s22
	v_movrels_b32_e32 v75, v34
	s_add_nc_u64 s[16:17], s[16:17], 1
	s_addk_co_i32 s47, 0xff00
	s_cmp_eq_u32 s16, s42
	ds_load_b32 v74, v74
	s_wait_dscnt 0x0
	v_mul_f32_e32 v76, v75, v74
	v_lshl_add_u64 v[74:75], s[24:25], 2, v[70:71]
	s_delay_alu instid0(VALU_DEP_2)
	v_movreld_b32_e32 v34, v76
	global_store_b32 v[74:75], v76, off
	s_cbranch_scc1 .LBB44_20
.LBB44_30:                              ;   Parent Loop BB44_5 Depth=1
                                        ;     Parent Loop BB44_21 Depth=2
                                        ; =>    This Loop Header: Depth=3
                                        ;         Child Loop BB44_32 Depth 4
	s_cmp_eq_u32 s16, 0
	s_cbranch_scc1 .LBB44_28
; %bb.31:                               ;   in Loop: Header=BB44_30 Depth=3
	s_mov_b64 s[22:23], 0
	s_mov_b32 s24, s47
.LBB44_32:                              ;   Parent Loop BB44_5 Depth=1
                                        ;     Parent Loop BB44_21 Depth=2
                                        ;       Parent Loop BB44_30 Depth=3
                                        ; =>      This Inner Loop Header: Depth=4
	s_wait_xcnt 0x0
	v_mov_b32_e32 v74, s24
	s_mov_b32 m0, s22
	s_add_nc_u64 s[22:23], s[22:23], 1
	v_movrels_b32_e32 v75, v34
	s_mov_b32 m0, s16
	ds_load_b32 v74, v74
	v_movrels_b32_e32 v76, v34
	s_add_co_i32 s24, s24, -4
	s_cmp_eq_u32 s16, s22
	s_wait_dscnt 0x0
	s_delay_alu instid0(VALU_DEP_1) | instskip(NEXT) | instid1(VALU_DEP_1)
	v_fma_f32 v74, -v75, v74, v76
	v_movreld_b32_e32 v34, v74
	s_cbranch_scc0 .LBB44_32
; %bb.33:                               ;   in Loop: Header=BB44_30 Depth=3
	s_sub_co_i32 s22, s14, s16
	s_mov_b64 s[26:27], s[16:17]
	s_ashr_i32 s23, s22, 31
	s_delay_alu instid0(SALU_CYCLE_1)
	s_mov_b64 s[24:25], s[22:23]
	s_branch .LBB44_29
.LBB44_34:                              ;   Parent Loop BB44_5 Depth=1
                                        ; =>  This Inner Loop Header: Depth=2
	s_cmp_gt_i32 s14, -1
	s_cselect_b32 s16, -1, 0
	s_add_co_i32 s15, s3, 1
	s_cmp_lt_u32 s3, 2
	s_wait_xcnt 0x0
	s_cselect_b32 s3, -1, 0
	s_delay_alu instid0(SALU_CYCLE_1) | instskip(NEXT) | instid1(SALU_CYCLE_1)
	s_and_b32 s3, s16, s3
	s_and_b32 vcc_lo, exec_lo, s3
	s_cbranch_vccz .LBB44_36
; %bb.35:                               ;   in Loop: Header=BB44_34 Depth=2
	s_mov_b32 s3, s15
	s_load_b32 s18, s[4:5], s3 offset:0x0 scale_offset
	s_wait_kmcnt 0x0
	s_add_co_i32 s41, s18, -1
	s_delay_alu instid0(SALU_CYCLE_1)
	s_cmp_lt_i32 s14, s41
	s_cbranch_scc0 .LBB44_19
	s_branch .LBB44_34
.LBB44_36:                              ;   in Loop: Header=BB44_5 Depth=1
	s_mov_b32 s3, 0
.LBB44_37:                              ;   in Loop: Header=BB44_5 Depth=1
	s_delay_alu instid0(SALU_CYCLE_1)
	s_and_b32 vcc_lo, exec_lo, s3
	s_cbranch_vccz .LBB44_3
; %bb.38:                               ;   in Loop: Header=BB44_5 Depth=1
	v_add_nc_u64_e32 v[34:35], s[12:13], v[68:69]
	s_mov_b32 s12, 0
	s_mov_b32 s3, 0
.LBB44_39:                              ;   Parent Loop BB44_5 Depth=1
                                        ; =>  This Loop Header: Depth=2
                                        ;       Child Loop BB44_42 Depth 3
                                        ;         Child Loop BB44_43 Depth 4
                                        ;         Child Loop BB44_46 Depth 4
                                        ;           Child Loop BB44_47 Depth 5
                                        ;         Child Loop BB44_52 Depth 4
                                        ;           Child Loop BB44_54 Depth 5
	s_load_b32 s14, s[4:5], s3 offset:0x0 scale_offset
	s_wait_kmcnt 0x0
	s_add_co_i32 s26, s14, -1
	s_delay_alu instid0(SALU_CYCLE_1) | instskip(NEXT) | instid1(SALU_CYCLE_1)
	s_add_co_i32 s13, s26, s12
	s_cmp_ge_i32 s13, s30
	s_cbranch_scc1 .LBB44_55
; %bb.40:                               ;   in Loop: Header=BB44_39 Depth=2
	s_ashr_i32 s13, s12, 31
	s_ashr_i32 s15, s14, 31
	v_lshl_add_u64 v[36:37], s[12:13], 2, v[34:35]
	s_max_i32 s27, s14, 1
	s_lshl_b64 s[16:17], s[14:15], 2
	s_lshl_b32 s13, s12, 2
	s_lshl_b32 s15, s14, 2
	s_mul_i32 s41, s12, 0x104
	s_mul_i32 s42, s14, 0x104
	s_branch .LBB44_42
.LBB44_41:                              ;   in Loop: Header=BB44_42 Depth=3
	v_add_nc_u64_e32 v[36:37], s[16:17], v[36:37]
	s_add_co_i32 s12, s12, s14
	s_add_co_i32 s13, s13, s15
	;; [unrolled: 1-line block ×4, first 2 shown]
	s_cmp_ge_i32 s18, s30
	s_cbranch_scc1 .LBB44_55
.LBB44_42:                              ;   Parent Loop BB44_5 Depth=1
                                        ;     Parent Loop BB44_39 Depth=2
                                        ; =>    This Loop Header: Depth=3
                                        ;         Child Loop BB44_43 Depth 4
                                        ;         Child Loop BB44_46 Depth 4
                                        ;           Child Loop BB44_47 Depth 5
                                        ;         Child Loop BB44_52 Depth 4
                                        ;           Child Loop BB44_54 Depth 5
	s_wait_xcnt 0x0
	v_mov_b64_e32 v[38:39], v[36:37]
	s_mov_b64 s[22:23], 0
.LBB44_43:                              ;   Parent Loop BB44_5 Depth=1
                                        ;     Parent Loop BB44_39 Depth=2
                                        ;       Parent Loop BB44_42 Depth=3
                                        ; =>      This Inner Loop Header: Depth=4
	global_load_b32 v40, v[38:39], off
	s_wait_xcnt 0x0
	v_add_nc_u64_e32 v[38:39], 4, v[38:39]
	s_mov_b32 m0, s22
	s_add_nc_u64 s[22:23], s[22:23], 1
	s_delay_alu instid0(SALU_CYCLE_1) | instskip(SKIP_2) | instid1(VALU_DEP_1)
	s_cmp_eq_u32 s27, s22
	s_wait_loadcnt 0x0
	v_mul_f32_e32 v40, s29, v40
	v_movreld_b32_e32 v2, v40
	s_cbranch_scc0 .LBB44_43
; %bb.44:                               ;   in Loop: Header=BB44_42 Depth=3
	s_cmp_lt_i32 s12, 1
	s_cbranch_scc1 .LBB44_49
; %bb.45:                               ;   in Loop: Header=BB44_42 Depth=3
	s_mov_b32 s18, 0
	s_mov_b32 s24, s13
.LBB44_46:                              ;   Parent Loop BB44_5 Depth=1
                                        ;     Parent Loop BB44_39 Depth=2
                                        ;       Parent Loop BB44_42 Depth=3
                                        ; =>      This Loop Header: Depth=4
                                        ;           Child Loop BB44_47 Depth 5
	v_lshl_add_u64 v[38:39], s[18:19], 2, v[70:71]
	s_mov_b64 s[22:23], 0
	s_mov_b32 s25, s24
	global_load_b32 v38, v[38:39], off
.LBB44_47:                              ;   Parent Loop BB44_5 Depth=1
                                        ;     Parent Loop BB44_39 Depth=2
                                        ;       Parent Loop BB44_42 Depth=3
                                        ;         Parent Loop BB44_46 Depth=4
                                        ; =>        This Inner Loop Header: Depth=5
	s_wait_xcnt 0x0
	v_mov_b32_e32 v39, s25
	s_mov_b32 m0, s22
	s_add_nc_u64 s[22:23], s[22:23], 1
	v_movrels_b32_e32 v40, v2
	s_add_co_i32 s25, s25, 4
	ds_load_b32 v39, v39
	s_cmp_eq_u32 s27, s22
	s_wait_loadcnt_dscnt 0x0
	v_fma_f32 v39, -v38, v39, v40
	s_delay_alu instid0(VALU_DEP_1)
	v_movreld_b32_e32 v2, v39
	s_cbranch_scc0 .LBB44_47
; %bb.48:                               ;   in Loop: Header=BB44_46 Depth=4
	s_add_co_i32 s18, s18, 1
	s_addk_co_i32 s24, 0x100
	s_cmp_eq_u32 s18, s12
	s_cbranch_scc0 .LBB44_46
.LBB44_49:                              ;   in Loop: Header=BB44_42 Depth=3
	s_mov_b64 s[22:23], 0
	s_mov_b32 s18, s41
	s_branch .LBB44_52
.LBB44_50:                              ;   in Loop: Header=BB44_52 Depth=4
	s_mov_b64 s[24:25], s[22:23]
.LBB44_51:                              ;   in Loop: Header=BB44_52 Depth=4
	s_delay_alu instid0(SALU_CYCLE_1)
	s_mov_b32 m0, s24
	s_add_co_i32 s24, s22, s12
	s_wait_xcnt 0x0
	v_movrels_b32_e32 v39, v2
	s_mul_i32 s25, s24, 0x104
	s_add_nc_u64 s[22:23], s[22:23], 1
	v_mov_b32_e32 v38, s25
	s_ashr_i32 s25, s24, 31
	s_add_co_i32 s18, s18, 4
	s_cmp_eq_u32 s22, s27
	ds_load_b32 v38, v38
	s_wait_dscnt 0x0
	v_mul_f32_e32 v40, v39, v38
	v_lshl_add_u64 v[38:39], s[24:25], 2, v[70:71]
	s_delay_alu instid0(VALU_DEP_2)
	v_movreld_b32_e32 v2, v40
	global_store_b32 v[38:39], v40, off
	s_cbranch_scc1 .LBB44_41
.LBB44_52:                              ;   Parent Loop BB44_5 Depth=1
                                        ;     Parent Loop BB44_39 Depth=2
                                        ;       Parent Loop BB44_42 Depth=3
                                        ; =>      This Loop Header: Depth=4
                                        ;           Child Loop BB44_54 Depth 5
	s_mov_b64 s[24:25], 0
	s_cmp_eq_u32 s22, 0
	s_cbranch_scc1 .LBB44_51
; %bb.53:                               ;   in Loop: Header=BB44_52 Depth=4
	s_mov_b32 s43, s18
.LBB44_54:                              ;   Parent Loop BB44_5 Depth=1
                                        ;     Parent Loop BB44_39 Depth=2
                                        ;       Parent Loop BB44_42 Depth=3
                                        ;         Parent Loop BB44_52 Depth=4
                                        ; =>        This Inner Loop Header: Depth=5
	s_wait_xcnt 0x0
	v_mov_b32_e32 v38, s43
	s_mov_b32 m0, s24
	s_add_nc_u64 s[24:25], s[24:25], 1
	v_movrels_b32_e32 v39, v2
	s_mov_b32 m0, s22
	ds_load_b32 v38, v38
	v_movrels_b32_e32 v40, v2
	s_addk_co_i32 s43, 0x100
	s_cmp_eq_u32 s22, s24
	s_wait_dscnt 0x0
	s_delay_alu instid0(VALU_DEP_1) | instskip(NEXT) | instid1(VALU_DEP_1)
	v_fma_f32 v38, -v39, v38, v40
	v_movreld_b32_e32 v2, v38
	s_cbranch_scc0 .LBB44_54
	s_branch .LBB44_50
.LBB44_55:                              ;   in Loop: Header=BB44_39 Depth=2
	s_cmp_lt_i32 s12, s30
	s_cselect_b32 s14, -1, 0
	s_add_co_i32 s13, s3, 1
	s_cmp_lt_u32 s3, 2
	s_wait_xcnt 0x0
	s_cselect_b32 s3, -1, 0
	s_delay_alu instid0(SALU_CYCLE_1) | instskip(NEXT) | instid1(SALU_CYCLE_1)
	s_and_b32 s3, s14, s3
	s_and_not1_b32 vcc_lo, exec_lo, s3
	s_cbranch_vccnz .LBB44_2
; %bb.56:                               ;   in Loop: Header=BB44_39 Depth=2
	s_mov_b32 s3, s13
	s_branch .LBB44_39
.LBB44_57:
	s_sendmsg sendmsg(MSG_DEALLOC_VGPRS)
	s_endpgm
	.section	.rodata,"a",@progbits
	.p2align	6, 0x0
	.amdhsa_kernel _ZL30rocblas_trsm_small_left_deviceILi64ELi32ELb1EffPKfPfEv13rocblas_fill_18rocblas_operation_17rocblas_diagonal_iiT3_T4_lilT5_lili
		.amdhsa_group_segment_fixed_size 16384
		.amdhsa_private_segment_fixed_size 0
		.amdhsa_kernarg_size 352
		.amdhsa_user_sgpr_count 2
		.amdhsa_user_sgpr_dispatch_ptr 0
		.amdhsa_user_sgpr_queue_ptr 0
		.amdhsa_user_sgpr_kernarg_segment_ptr 1
		.amdhsa_user_sgpr_dispatch_id 0
		.amdhsa_user_sgpr_kernarg_preload_length 0
		.amdhsa_user_sgpr_kernarg_preload_offset 0
		.amdhsa_user_sgpr_private_segment_size 0
		.amdhsa_wavefront_size32 1
		.amdhsa_uses_dynamic_stack 0
		.amdhsa_enable_private_segment 0
		.amdhsa_system_sgpr_workgroup_id_x 1
		.amdhsa_system_sgpr_workgroup_id_y 0
		.amdhsa_system_sgpr_workgroup_id_z 1
		.amdhsa_system_sgpr_workgroup_info 0
		.amdhsa_system_vgpr_workitem_id 0
		.amdhsa_next_free_vgpr 113
		.amdhsa_next_free_sgpr 48
		.amdhsa_named_barrier_count 0
		.amdhsa_reserve_vcc 1
		.amdhsa_float_round_mode_32 0
		.amdhsa_float_round_mode_16_64 0
		.amdhsa_float_denorm_mode_32 3
		.amdhsa_float_denorm_mode_16_64 3
		.amdhsa_fp16_overflow 0
		.amdhsa_memory_ordered 1
		.amdhsa_forward_progress 1
		.amdhsa_inst_pref_size 19
		.amdhsa_round_robin_scheduling 0
		.amdhsa_exception_fp_ieee_invalid_op 0
		.amdhsa_exception_fp_denorm_src 0
		.amdhsa_exception_fp_ieee_div_zero 0
		.amdhsa_exception_fp_ieee_overflow 0
		.amdhsa_exception_fp_ieee_underflow 0
		.amdhsa_exception_fp_ieee_inexact 0
		.amdhsa_exception_int_div_zero 0
	.end_amdhsa_kernel
	.section	.text._ZL30rocblas_trsm_small_left_deviceILi64ELi32ELb1EffPKfPfEv13rocblas_fill_18rocblas_operation_17rocblas_diagonal_iiT3_T4_lilT5_lili,"axG",@progbits,_ZL30rocblas_trsm_small_left_deviceILi64ELi32ELb1EffPKfPfEv13rocblas_fill_18rocblas_operation_17rocblas_diagonal_iiT3_T4_lilT5_lili,comdat
.Lfunc_end44:
	.size	_ZL30rocblas_trsm_small_left_deviceILi64ELi32ELb1EffPKfPfEv13rocblas_fill_18rocblas_operation_17rocblas_diagonal_iiT3_T4_lilT5_lili, .Lfunc_end44-_ZL30rocblas_trsm_small_left_deviceILi64ELi32ELb1EffPKfPfEv13rocblas_fill_18rocblas_operation_17rocblas_diagonal_iiT3_T4_lilT5_lili
                                        ; -- End function
	.set _ZL30rocblas_trsm_small_left_deviceILi64ELi32ELb1EffPKfPfEv13rocblas_fill_18rocblas_operation_17rocblas_diagonal_iiT3_T4_lilT5_lili.num_vgpr, 77
	.set _ZL30rocblas_trsm_small_left_deviceILi64ELi32ELb1EffPKfPfEv13rocblas_fill_18rocblas_operation_17rocblas_diagonal_iiT3_T4_lilT5_lili.num_agpr, 0
	.set _ZL30rocblas_trsm_small_left_deviceILi64ELi32ELb1EffPKfPfEv13rocblas_fill_18rocblas_operation_17rocblas_diagonal_iiT3_T4_lilT5_lili.numbered_sgpr, 48
	.set _ZL30rocblas_trsm_small_left_deviceILi64ELi32ELb1EffPKfPfEv13rocblas_fill_18rocblas_operation_17rocblas_diagonal_iiT3_T4_lilT5_lili.num_named_barrier, 0
	.set _ZL30rocblas_trsm_small_left_deviceILi64ELi32ELb1EffPKfPfEv13rocblas_fill_18rocblas_operation_17rocblas_diagonal_iiT3_T4_lilT5_lili.private_seg_size, 0
	.set _ZL30rocblas_trsm_small_left_deviceILi64ELi32ELb1EffPKfPfEv13rocblas_fill_18rocblas_operation_17rocblas_diagonal_iiT3_T4_lilT5_lili.uses_vcc, 1
	.set _ZL30rocblas_trsm_small_left_deviceILi64ELi32ELb1EffPKfPfEv13rocblas_fill_18rocblas_operation_17rocblas_diagonal_iiT3_T4_lilT5_lili.uses_flat_scratch, 0
	.set _ZL30rocblas_trsm_small_left_deviceILi64ELi32ELb1EffPKfPfEv13rocblas_fill_18rocblas_operation_17rocblas_diagonal_iiT3_T4_lilT5_lili.has_dyn_sized_stack, 0
	.set _ZL30rocblas_trsm_small_left_deviceILi64ELi32ELb1EffPKfPfEv13rocblas_fill_18rocblas_operation_17rocblas_diagonal_iiT3_T4_lilT5_lili.has_recursion, 0
	.set _ZL30rocblas_trsm_small_left_deviceILi64ELi32ELb1EffPKfPfEv13rocblas_fill_18rocblas_operation_17rocblas_diagonal_iiT3_T4_lilT5_lili.has_indirect_call, 0
	.section	.AMDGPU.csdata,"",@progbits
; Kernel info:
; codeLenInByte = 2352
; TotalNumSgprs: 50
; NumVgprs: 77
; ScratchSize: 0
; MemoryBound: 0
; FloatMode: 240
; IeeeMode: 1
; LDSByteSize: 16384 bytes/workgroup (compile time only)
; SGPRBlocks: 0
; VGPRBlocks: 7
; NumSGPRsForWavesPerEU: 50
; NumVGPRsForWavesPerEU: 113
; NamedBarCnt: 0
; Occupancy: 8
; WaveLimiterHint : 0
; COMPUTE_PGM_RSRC2:SCRATCH_EN: 0
; COMPUTE_PGM_RSRC2:USER_SGPR: 2
; COMPUTE_PGM_RSRC2:TRAP_HANDLER: 0
; COMPUTE_PGM_RSRC2:TGID_X_EN: 1
; COMPUTE_PGM_RSRC2:TGID_Y_EN: 0
; COMPUTE_PGM_RSRC2:TGID_Z_EN: 1
; COMPUTE_PGM_RSRC2:TIDIG_COMP_CNT: 0
	.section	.text._ZL31rocblas_trsm_small_right_deviceIffPKfPfLi64EEv13rocblas_fill_18rocblas_operation_17rocblas_diagonal_iiT0_T1_lilT2_lili,"axG",@progbits,_ZL31rocblas_trsm_small_right_deviceIffPKfPfLi64EEv13rocblas_fill_18rocblas_operation_17rocblas_diagonal_iiT0_T1_lilT2_lili,comdat
	.globl	_ZL31rocblas_trsm_small_right_deviceIffPKfPfLi64EEv13rocblas_fill_18rocblas_operation_17rocblas_diagonal_iiT0_T1_lilT2_lili ; -- Begin function _ZL31rocblas_trsm_small_right_deviceIffPKfPfLi64EEv13rocblas_fill_18rocblas_operation_17rocblas_diagonal_iiT0_T1_lilT2_lili
	.p2align	8
	.type	_ZL31rocblas_trsm_small_right_deviceIffPKfPfLi64EEv13rocblas_fill_18rocblas_operation_17rocblas_diagonal_iiT0_T1_lilT2_lili,@function
_ZL31rocblas_trsm_small_right_deviceIffPKfPfLi64EEv13rocblas_fill_18rocblas_operation_17rocblas_diagonal_iiT0_T1_lilT2_lili: ; @_ZL31rocblas_trsm_small_right_deviceIffPKfPfLi64EEv13rocblas_fill_18rocblas_operation_17rocblas_diagonal_iiT0_T1_lilT2_lili
; %bb.0:
	s_load_b32 s19, s[0:1], 0x58
	s_bfe_u32 s2, ttmp6, 0x40014
	s_lshr_b32 s3, ttmp7, 16
	s_add_co_i32 s2, s2, 1
	s_bfe_u32 s5, ttmp6, 0x40008
	s_mul_i32 s2, s3, s2
	s_getreg_b32 s4, hwreg(HW_REG_IB_STS2, 6, 4)
	s_add_co_i32 s5, s5, s2
	s_cmp_eq_u32 s4, 0
	s_cselect_b32 s2, s3, s5
	s_mov_b32 s3, 0
	s_wait_kmcnt 0x0
	s_cmp_ge_u32 s2, s19
	s_cbranch_scc1 .LBB45_98
; %bb.1:
	s_clause 0x6
	s_load_b32 s22, s[0:1], 0x28
	s_load_b96 s[16:18], s[0:1], 0x40
	s_load_b128 s[12:15], s[0:1], 0x0
	s_load_b64 s[20:21], s[0:1], 0x10
	s_load_b32 s5, s[0:1], 0x60
	s_load_b128 s[8:11], s[0:1], 0x18
	s_load_b64 s[38:39], s[0:1], 0x50
	v_dual_lshlrev_b32 v2, 2, v0 :: v_dual_lshlrev_b32 v6, 8, v0
	v_mov_b32_e32 v17, 1.0
	s_delay_alu instid0(VALU_DEP_2) | instskip(NEXT) | instid1(VALU_DEP_3)
	v_or_b32_e32 v15, 0x4000, v2
	v_add_nc_u32_e32 v16, v2, v6
	s_wait_kmcnt 0x0
	s_ashr_i32 s23, s22, 31
	s_mov_b32 s24, s18
	s_cmp_eq_u64 s[22:23], 1
	s_cselect_b32 s33, -1, 0
	s_ashr_i32 s25, s18, 31
	s_delay_alu instid0(SALU_CYCLE_1)
	s_cmp_eq_u64 s[24:25], 1
	s_cselect_b32 s36, -1, 0
	s_cmp_lg_u32 s12, 0x7a
	s_cselect_b32 s27, -1, 0
	s_bfe_u32 s6, ttmp6, 0x4000c
	s_min_i32 s18, s20, 64
	s_add_co_i32 s6, s6, 1
	s_and_b32 s7, ttmp6, 15
	s_mul_i32 s6, ttmp9, s6
	s_add_co_i32 s5, s5, -1
	s_add_co_i32 s26, s18, -1
	s_add_co_i32 s7, s7, s6
	s_cmp_eq_u32 s4, 0
	s_mul_i32 s46, s18, 0x104
	s_cselect_b32 s28, ttmp9, s7
	s_delay_alu instid0(SALU_CYCLE_1) | instskip(NEXT) | instid1(SALU_CYCLE_1)
	s_lshl_b32 s4, s28, 6
	s_sub_co_i32 s15, s15, s4
	s_cmp_ge_u32 s28, s5
	s_load_b128 s[4:7], s[0:1], 0x30
	s_cselect_b32 s15, s15, 64
	s_ashr_i32 s29, s28, 31
	v_cmp_gt_i32_e32 vcc_lo, s15, v0
	s_lshl_b64 s[40:41], s[28:29], 8
	s_cmp_eq_u32 s14, 0x84
	s_wait_xcnt 0x0
	s_cselect_b32 s1, -1, 0
	s_cmp_gt_i32 s20, 0
	s_cselect_b32 s0, -1, 0
	s_cmp_lg_u32 s13, 0x6f
	s_cselect_b32 s13, -1, 0
	s_cmp_lg_u32 s12, 0x79
	s_cselect_b32 s12, -1, 0
	s_or_b32 s27, s27, s13
	s_or_b32 s28, s12, s13
	s_cmp_gt_i32 s20, 3
	v_cndmask_b32_e64 v14, 0, 1, s12
	s_cselect_b32 s29, -1, 0
	s_and_b32 s30, vcc_lo, s0
	s_cmp_gt_u32 s18, 1
	s_mov_b32 s12, s21
	s_cselect_b32 s0, -1, 0
	s_and_b32 s31, s18, -2
	s_and_b32 s33, s0, s33
	s_cmp_lg_u32 s18, s31
	v_cmp_gt_i32_e64 s0, s18, v0
	s_cselect_b32 s34, -1, 0
	s_cmp_gt_u32 s20, 1
	s_mov_b32 s13, s21
	s_cselect_b32 s14, -1, 0
	s_and_b32 s35, s20, 0x7ffffffe
	s_and_b32 s36, s14, s36
	s_cmp_lg_u32 s20, s35
	s_cselect_b32 s37, -1, 0
	s_lshl_b64 s[44:45], s[16:17], 2
	s_lshl_b64 s[16:17], s[24:25], 2
	s_lshl_b32 s24, s18, 8
	s_delay_alu instid0(SALU_CYCLE_1)
	v_dual_mov_b32 v3, 0 :: v_dual_bitop2_b32 v7, s24, v2 bitop3:0x54
	s_lshl_b64 s[42:43], s[10:11], 2
	s_lshl_b64 s[14:15], s[38:39], 2
	s_add_nc_u64 s[38:39], s[40:41], s[44:45]
	s_add_nc_u64 s[8:9], s[8:9], s[42:43]
	s_wait_kmcnt 0x0
	s_add_nc_u64 s[6:7], s[6:7], s[38:39]
	v_add_nc_u64_e32 v[0:1], s[8:9], v[2:3]
	v_add_nc_u64_e32 v[4:5], s[6:7], v[2:3]
	v_add_nc_u32_e32 v3, 0x3f00, v7
	s_lshl_b32 s39, s18, 2
	s_lshl_b64 s[4:5], s[4:5], 2
	s_lshl_b64 s[10:11], s[22:23], 2
	s_add_co_i32 s22, s46, 0xfffffef0
	s_add_co_i32 s23, s24, 0xffffff00
	s_addk_co_i32 s24, 0xfefc
	s_add_co_i32 s25, s46, 0xfffffbfc
	s_add_co_i32 s38, s39, -4
	s_addk_co_i32 s39, 0xfefc
	s_branch .LBB45_3
.LBB45_2:                               ;   in Loop: Header=BB45_3 Depth=1
	s_or_b32 exec_lo, exec_lo, s40
	s_add_co_i32 s2, s2, 0x10000
	s_delay_alu instid0(SALU_CYCLE_1)
	s_cmp_lt_u32 s2, s19
	s_cbranch_scc0 .LBB45_98
.LBB45_3:                               ; =>This Loop Header: Depth=1
                                        ;     Child Loop BB45_6 Depth 2
                                        ;     Child Loop BB45_10 Depth 2
                                        ;     Child Loop BB45_16 Depth 2
                                        ;     Child Loop BB45_20 Depth 2
                                        ;     Child Loop BB45_26 Depth 2
                                        ;       Child Loop BB45_27 Depth 3
                                        ;     Child Loop BB45_34 Depth 2
                                        ;       Child Loop BB45_35 Depth 3
                                        ;     Child Loop BB45_39 Depth 2
	;; [unrolled: 2-line block ×3, first 2 shown]
                                        ;     Child Loop BB45_52 Depth 2
                                        ;       Child Loop BB45_53 Depth 3
                                        ;       Child Loop BB45_55 Depth 3
                                        ;     Child Loop BB45_59 Depth 2
                                        ;       Child Loop BB45_60 Depth 3
                                        ;     Child Loop BB45_68 Depth 2
                                        ;     Child Loop BB45_73 Depth 2
                                        ;       Child Loop BB45_74 Depth 3
                                        ;       Child Loop BB45_76 Depth 3
                                        ;     Child Loop BB45_81 Depth 2
                                        ;       Child Loop BB45_82 Depth 3
                                        ;     Child Loop BB45_88 Depth 2
	;; [unrolled: 2-line block ×3, first 2 shown]
                                        ;     Child Loop BB45_97 Depth 2
	s_and_saveexec_b32 s40, s0
	s_cbranch_execz .LBB45_13
; %bb.4:                                ;   in Loop: Header=BB45_3 Depth=1
	s_and_not1_b32 vcc_lo, exec_lo, s33
	s_mul_u64 s[6:7], s[4:5], s[2:3]
	s_cbranch_vccnz .LBB45_8
; %bb.5:                                ;   in Loop: Header=BB45_3 Depth=1
	v_add_nc_u64_e32 v[6:7], s[6:7], v[0:1]
	s_mov_b32 s9, 1
	s_mov_b32 s41, 0
	;; [unrolled: 1-line block ×3, first 2 shown]
.LBB45_6:                               ;   Parent Loop BB45_3 Depth=1
                                        ; =>  This Inner Loop Header: Depth=2
	global_load_b64 v[8:9], v[6:7], off
	s_wait_xcnt 0x0
	v_add_nc_u64_e32 v[6:7], 8, v[6:7]
	v_lshl_or_b32 v10, s41, 8, v2
	v_lshl_or_b32 v11, s9, 8, v2
	s_add_co_i32 s42, s42, -2
	s_add_co_i32 s41, s41, 2
	s_add_co_i32 s9, s9, 2
	s_mov_b32 s8, s31
	s_mov_b32 s43, s34
	s_cmp_lg_u32 s42, 0
	s_wait_loadcnt 0x0
	ds_store_b32 v10, v8
	ds_store_b32 v11, v9
	s_cbranch_scc1 .LBB45_6
; %bb.7:                                ;   in Loop: Header=BB45_3 Depth=1
	s_and_b32 vcc_lo, exec_lo, s43
	s_cbranch_vccnz .LBB45_9
	s_branch .LBB45_11
.LBB45_8:                               ;   in Loop: Header=BB45_3 Depth=1
	s_mov_b32 s8, 0
	s_cbranch_execz .LBB45_11
.LBB45_9:                               ;   in Loop: Header=BB45_3 Depth=1
	s_mov_b32 s9, s3
	v_lshl_or_b32 v8, s8, 8, v2
	s_mul_u64 s[42:43], s[10:11], s[8:9]
	s_delay_alu instid0(SALU_CYCLE_1) | instskip(NEXT) | instid1(SALU_CYCLE_1)
	s_add_nc_u64 s[6:7], s[42:43], s[6:7]
	v_add_nc_u64_e32 v[6:7], s[6:7], v[0:1]
	s_sub_co_i32 s6, s18, s8
.LBB45_10:                              ;   Parent Loop BB45_3 Depth=1
                                        ; =>  This Inner Loop Header: Depth=2
	global_load_b32 v9, v[6:7], off
	s_wait_xcnt 0x0
	v_add_nc_u64_e32 v[6:7], s[10:11], v[6:7]
	s_add_co_i32 s6, s6, -1
	s_delay_alu instid0(SALU_CYCLE_1)
	s_cmp_eq_u32 s6, 0
	s_wait_loadcnt 0x0
	ds_store_b32 v8, v9
	v_add_nc_u32_e32 v8, 0x100, v8
	s_cbranch_scc0 .LBB45_10
.LBB45_11:                              ;   in Loop: Header=BB45_3 Depth=1
	s_and_b32 vcc_lo, exec_lo, s1
	s_cbranch_vccz .LBB45_13
; %bb.12:                               ;   in Loop: Header=BB45_3 Depth=1
	ds_store_b32 v16, v17
.LBB45_13:                              ;   in Loop: Header=BB45_3 Depth=1
	s_or_b32 exec_lo, exec_lo, s40
	s_mul_u64 s[6:7], s[14:15], s[2:3]
	s_delay_alu instid0(SALU_CYCLE_1)
	v_add_nc_u64_e32 v[6:7], s[6:7], v[4:5]
	s_and_saveexec_b32 s40, s30
	s_cbranch_execz .LBB45_21
; %bb.14:                               ;   in Loop: Header=BB45_3 Depth=1
	s_and_not1_b32 vcc_lo, exec_lo, s36
	s_cbranch_vccnz .LBB45_18
; %bb.15:                               ;   in Loop: Header=BB45_3 Depth=1
	s_delay_alu instid0(VALU_DEP_1)
	v_mov_b64_e32 v[8:9], v[6:7]
	s_mov_b32 s9, 1
	s_mov_b32 s41, 0
	;; [unrolled: 1-line block ×3, first 2 shown]
.LBB45_16:                              ;   Parent Loop BB45_3 Depth=1
                                        ; =>  This Inner Loop Header: Depth=2
	global_load_b64 v[10:11], v[8:9], off
	v_mov_b64_e32 v[12:13], s[12:13]
	s_wait_xcnt 0x0
	v_add_nc_u64_e32 v[8:9], 8, v[8:9]
	v_lshl_add_u32 v18, s41, 8, v15
	v_lshl_add_u32 v19, s9, 8, v15
	s_add_co_i32 s42, s42, -2
	s_add_co_i32 s41, s41, 2
	s_add_co_i32 s9, s9, 2
	s_mov_b32 s8, s35
	s_mov_b32 s43, s37
	s_cmp_lg_u32 s42, 0
	s_wait_loadcnt 0x0
	v_pk_mul_f32 v[10:11], v[12:13], v[10:11]
	ds_store_b32 v18, v10
	ds_store_b32 v19, v11
	s_cbranch_scc1 .LBB45_16
; %bb.17:                               ;   in Loop: Header=BB45_3 Depth=1
	s_and_b32 vcc_lo, exec_lo, s43
	s_cbranch_vccnz .LBB45_19
	s_branch .LBB45_21
.LBB45_18:                              ;   in Loop: Header=BB45_3 Depth=1
	s_mov_b32 s8, 0
	s_cbranch_execz .LBB45_21
.LBB45_19:                              ;   in Loop: Header=BB45_3 Depth=1
	s_mov_b32 s9, s3
	v_lshl_add_u32 v10, s8, 8, v15
	s_mul_u64 s[42:43], s[16:17], s[8:9]
	s_sub_co_i32 s8, s20, s8
	s_add_nc_u64 s[42:43], s[42:43], s[6:7]
	s_delay_alu instid0(SALU_CYCLE_1)
	v_add_nc_u64_e32 v[8:9], s[42:43], v[4:5]
.LBB45_20:                              ;   Parent Loop BB45_3 Depth=1
                                        ; =>  This Inner Loop Header: Depth=2
	global_load_b32 v11, v[8:9], off
	s_wait_xcnt 0x0
	v_add_nc_u64_e32 v[8:9], s[16:17], v[8:9]
	s_add_co_i32 s8, s8, -1
	s_delay_alu instid0(SALU_CYCLE_1)
	s_cmp_lg_u32 s8, 0
	s_wait_loadcnt 0x0
	v_mul_f32_e32 v11, s21, v11
	ds_store_b32 v10, v11
	v_add_nc_u32_e32 v10, 0x100, v10
	s_cbranch_scc1 .LBB45_20
.LBB45_21:                              ;   in Loop: Header=BB45_3 Depth=1
	s_or_b32 exec_lo, exec_lo, s40
	s_delay_alu instid0(SALU_CYCLE_1)
	s_and_b32 vcc_lo, exec_lo, s28
	s_mov_b32 s8, -1
	s_wait_dscnt 0x0
	s_barrier_signal -1
	s_barrier_wait -1
	s_cbranch_vccz .LBB45_78
; %bb.22:                               ;   in Loop: Header=BB45_3 Depth=1
	s_and_b32 vcc_lo, exec_lo, s27
	s_cbranch_vccz .LBB45_57
; %bb.23:                               ;   in Loop: Header=BB45_3 Depth=1
	v_cmp_ne_u32_e32 vcc_lo, 1, v14
	s_cbranch_vccnz .LBB45_37
; %bb.24:                               ;   in Loop: Header=BB45_3 Depth=1
	s_and_not1_b32 vcc_lo, exec_lo, s29
	s_mov_b32 s40, 0
	s_cbranch_vccnz .LBB45_31
; %bb.25:                               ;   in Loop: Header=BB45_3 Depth=1
	s_mov_b32 s8, 0
	s_mov_b32 s9, 0
.LBB45_26:                              ;   Parent Loop BB45_3 Depth=1
                                        ; =>  This Loop Header: Depth=2
                                        ;       Child Loop BB45_27 Depth 3
	s_delay_alu instid0(SALU_CYCLE_1) | instskip(SKIP_2) | instid1(SALU_CYCLE_1)
	s_lshl_b32 s41, s9, 8
	s_or_b32 s40, s9, 1
	s_or_b32 s42, s41, 0x300
	v_dual_add_nc_u32 v18, s41, v15 :: v_dual_add_nc_u32 v20, s42, v15
	v_lshl_add_u32 v19, s40, 8, v15
	s_cmp_eq_u32 s9, 0
	s_mov_b32 s42, s8
	ds_load_2addr_stride64_b32 v[12:13], v18 offset1:2
	ds_load_b32 v11, v19
	ds_load_b32 v9, v20
	v_mov_b32_e32 v21, v15
	s_mov_b32 s43, s9
	s_wait_dscnt 0x2
	v_dual_mov_b32 v10, v12 :: v_dual_mov_b32 v8, v13
	s_cbranch_scc1 .LBB45_29
.LBB45_27:                              ;   Parent Loop BB45_3 Depth=1
                                        ;     Parent Loop BB45_26 Depth=2
                                        ; =>    This Inner Loop Header: Depth=3
	v_mov_b32_e32 v13, s42
	s_add_co_i32 s43, s43, -1
	s_addk_co_i32 s42, 0x100
	s_cmp_eq_u32 s43, 0
	ds_load_b32 v12, v21
	ds_load_b128 v[22:25], v13
	v_add_nc_u32_e32 v21, 0x100, v21
	s_wait_dscnt 0x0
	v_pk_fma_f32 v[10:11], v[12:13], v[22:23], v[10:11] op_sel_hi:[0,1,1] neg_lo:[1,0,0] neg_hi:[1,0,0]
	v_pk_fma_f32 v[8:9], v[12:13], v[24:25], v[8:9] op_sel_hi:[0,1,1] neg_lo:[1,0,0] neg_hi:[1,0,0]
	s_cbranch_scc0 .LBB45_27
; %bb.28:                               ;   in Loop: Header=BB45_26 Depth=2
	s_delay_alu instid0(VALU_DEP_1)
	v_dual_mov_b32 v13, v8 :: v_dual_mov_b32 v12, v10
.LBB45_29:                              ;   in Loop: Header=BB45_26 Depth=2
	s_lshl_b32 s42, s9, 2
	s_lshl_b32 s40, s40, 2
	s_add_co_i32 s41, s42, s41
	s_delay_alu instid0(SALU_CYCLE_1)
	v_dual_mov_b32 v21, s41 :: v_dual_add_nc_u32 v8, 0x200, v18
	s_addk_co_i32 s41, 0x104
	s_add_co_i32 s8, s8, 16
	s_sub_co_i32 s40, s41, s40
	ds_load_b128 v[22:25], v21
	ds_load_2addr_b32 v[26:27], v21 offset0:65 offset1:66
	s_add_co_i32 s40, s40, s42
	s_wait_dscnt 0x1
	v_div_scale_f32 v10, null, v22, v22, v12
	v_div_scale_f32 v30, vcc_lo, v12, v22, v12
	s_delay_alu instid0(VALU_DEP_2) | instskip(SKIP_1) | instid1(TRANS32_DEP_1)
	v_rcp_f32_e32 v28, v10
	v_nop
	v_fma_f32 v29, -v10, v28, 1.0
	s_delay_alu instid0(VALU_DEP_1) | instskip(NEXT) | instid1(VALU_DEP_1)
	v_fmac_f32_e32 v28, v29, v28
	v_mul_f32_e32 v29, v30, v28
	s_delay_alu instid0(VALU_DEP_1) | instskip(NEXT) | instid1(VALU_DEP_1)
	v_fma_f32 v31, -v10, v29, v30
	v_fmac_f32_e32 v29, v31, v28
	s_delay_alu instid0(VALU_DEP_1) | instskip(NEXT) | instid1(VALU_DEP_1)
	v_fma_f32 v10, -v10, v29, v30
	v_div_fmas_f32 v10, v10, v28, v29
	s_delay_alu instid0(VALU_DEP_1) | instskip(NEXT) | instid1(VALU_DEP_1)
	v_div_fixup_f32 v12, v10, v22, v12
	v_dual_fma_f32 v22, -v12, v23, v11 :: v_dual_fma_f32 v13, -v12, v24, v13
	v_fma_f32 v9, -v12, v25, v9
	s_wait_dscnt 0x0
	s_delay_alu instid0(VALU_DEP_2) | instskip(SKIP_1) | instid1(VALU_DEP_2)
	v_div_scale_f32 v23, null, v26, v26, v22
	v_div_scale_f32 v29, vcc_lo, v22, v26, v22
	v_rcp_f32_e32 v28, v23
	v_nop
	s_delay_alu instid0(TRANS32_DEP_1) | instskip(NEXT) | instid1(VALU_DEP_1)
	v_fma_f32 v10, -v23, v28, 1.0
	v_fmac_f32_e32 v28, v10, v28
	s_delay_alu instid0(VALU_DEP_1) | instskip(NEXT) | instid1(VALU_DEP_1)
	v_mul_f32_e32 v30, v29, v28
	v_fma_f32 v10, -v23, v30, v29
	s_delay_alu instid0(VALU_DEP_1) | instskip(SKIP_3) | instid1(VALU_DEP_1)
	v_fmac_f32_e32 v30, v10, v28
	ds_load_b64 v[10:11], v21 offset:520
	ds_load_b32 v21, v21 offset:780
	v_fma_f32 v23, -v23, v30, v29
	v_div_fmas_f32 v23, v23, v28, v30
	s_delay_alu instid0(VALU_DEP_1) | instskip(NEXT) | instid1(VALU_DEP_1)
	v_div_fixup_f32 v22, v23, v26, v22
	v_fma_f32 v13, -v22, v27, v13
	s_wait_dscnt 0x1
	s_delay_alu instid0(VALU_DEP_1) | instskip(SKIP_1) | instid1(VALU_DEP_2)
	v_div_scale_f32 v23, null, v10, v10, v13
	v_div_scale_f32 v27, vcc_lo, v13, v10, v13
	v_rcp_f32_e32 v24, v23
	v_nop
	s_delay_alu instid0(TRANS32_DEP_1) | instskip(NEXT) | instid1(VALU_DEP_1)
	v_fma_f32 v26, -v23, v24, 1.0
	v_dual_fmac_f32 v24, v26, v24 :: v_dual_mov_b32 v26, s40
	s_add_co_i32 s40, s9, 4
	s_add_co_i32 s9, s9, 7
	s_delay_alu instid0(VALU_DEP_1) | instskip(SKIP_3) | instid1(VALU_DEP_1)
	v_mul_f32_e32 v28, v27, v24
	ds_load_b32 v26, v26 offset:12
	s_cmp_ge_i32 s9, s18
	v_fma_f32 v29, -v23, v28, v27
	v_fmac_f32_e32 v28, v29, v24
	s_delay_alu instid0(VALU_DEP_1) | instskip(NEXT) | instid1(VALU_DEP_1)
	v_fma_f32 v23, -v23, v28, v27
	v_div_fmas_f32 v23, v23, v24, v28
	s_wait_dscnt 0x0
	v_fma_f32 v9, -v22, v26, v9
	s_delay_alu instid0(VALU_DEP_2) | instskip(NEXT) | instid1(VALU_DEP_1)
	v_div_fixup_f32 v10, v23, v10, v13
	v_fma_f32 v9, -v10, v11, v9
	s_delay_alu instid0(VALU_DEP_1) | instskip(SKIP_1) | instid1(VALU_DEP_2)
	v_div_scale_f32 v11, null, v21, v21, v9
	v_div_scale_f32 v24, vcc_lo, v9, v21, v9
	v_rcp_f32_e32 v13, v11
	v_nop
	s_delay_alu instid0(TRANS32_DEP_1) | instskip(NEXT) | instid1(VALU_DEP_1)
	v_fma_f32 v23, -v11, v13, 1.0
	v_fmac_f32_e32 v13, v23, v13
	s_delay_alu instid0(VALU_DEP_1) | instskip(NEXT) | instid1(VALU_DEP_1)
	v_mul_f32_e32 v23, v24, v13
	v_fma_f32 v25, -v11, v23, v24
	s_delay_alu instid0(VALU_DEP_1) | instskip(NEXT) | instid1(VALU_DEP_1)
	v_fmac_f32_e32 v23, v25, v13
	v_fma_f32 v11, -v11, v23, v24
	s_delay_alu instid0(VALU_DEP_1) | instskip(NEXT) | instid1(VALU_DEP_1)
	v_div_fmas_f32 v11, v11, v13, v23
	v_div_fixup_f32 v9, v11, v21, v9
	ds_store_b32 v18, v12
	ds_store_b32 v19, v22
	;; [unrolled: 1-line block ×4, first 2 shown]
	s_cbranch_scc1 .LBB45_31
; %bb.30:                               ;   in Loop: Header=BB45_26 Depth=2
	s_mov_b32 s9, s40
	s_branch .LBB45_26
.LBB45_31:                              ;   in Loop: Header=BB45_3 Depth=1
	s_cmp_ge_i32 s40, s18
	s_cbranch_scc1 .LBB45_36
; %bb.32:                               ;   in Loop: Header=BB45_3 Depth=1
	s_lshl_b32 s8, s40, 2
	s_branch .LBB45_34
.LBB45_33:                              ;   in Loop: Header=BB45_34 Depth=2
	s_lshl_b32 s41, s40, 2
	s_add_co_i32 s40, s40, 1
	s_add_co_i32 s9, s41, s9
	;; [unrolled: 1-line block ×3, first 2 shown]
	v_mov_b32_e32 v10, s9
	s_cmp_ge_i32 s40, s18
	ds_load_b32 v10, v10
	s_wait_dscnt 0x0
	v_div_scale_f32 v11, null, v10, v10, v9
	s_delay_alu instid0(VALU_DEP_1) | instskip(SKIP_1) | instid1(TRANS32_DEP_1)
	v_rcp_f32_e32 v12, v11
	v_nop
	v_fma_f32 v13, -v11, v12, 1.0
	s_delay_alu instid0(VALU_DEP_1) | instskip(SKIP_1) | instid1(VALU_DEP_1)
	v_fmac_f32_e32 v12, v13, v12
	v_div_scale_f32 v13, vcc_lo, v9, v10, v9
	v_mul_f32_e32 v18, v13, v12
	s_delay_alu instid0(VALU_DEP_1) | instskip(NEXT) | instid1(VALU_DEP_1)
	v_fma_f32 v19, -v11, v18, v13
	v_fmac_f32_e32 v18, v19, v12
	s_delay_alu instid0(VALU_DEP_1) | instskip(NEXT) | instid1(VALU_DEP_1)
	v_fma_f32 v11, -v11, v18, v13
	v_div_fmas_f32 v11, v11, v12, v18
	s_delay_alu instid0(VALU_DEP_1)
	v_div_fixup_f32 v9, v11, v10, v9
	ds_store_b32 v8, v9
	s_cbranch_scc1 .LBB45_36
.LBB45_34:                              ;   Parent Loop BB45_3 Depth=1
                                        ; =>  This Loop Header: Depth=2
                                        ;       Child Loop BB45_35 Depth 3
	s_lshl_b32 s9, s40, 8
	s_cmp_eq_u32 s40, 0
	v_dual_add_nc_u32 v8, s9, v15 :: v_dual_mov_b32 v10, v15
	s_mov_b32 s41, s8
	s_mov_b32 s42, s40
	ds_load_b32 v9, v8
	s_cbranch_scc1 .LBB45_33
.LBB45_35:                              ;   Parent Loop BB45_3 Depth=1
                                        ;     Parent Loop BB45_34 Depth=2
                                        ; =>    This Inner Loop Header: Depth=3
	v_mov_b32_e32 v11, s41
	s_add_co_i32 s42, s42, -1
	s_addk_co_i32 s41, 0x100
	s_cmp_eq_u32 s42, 0
	ds_load_b32 v12, v10
	ds_load_b32 v11, v11
	v_add_nc_u32_e32 v10, 0x100, v10
	s_wait_dscnt 0x0
	v_fma_f32 v9, -v12, v11, v9
	s_cbranch_scc0 .LBB45_35
	s_branch .LBB45_33
.LBB45_36:                              ;   in Loop: Header=BB45_3 Depth=1
	s_mov_b32 s8, 0
.LBB45_37:                              ;   in Loop: Header=BB45_3 Depth=1
	s_delay_alu instid0(SALU_CYCLE_1)
	s_and_b32 vcc_lo, exec_lo, s8
	s_cbranch_vccz .LBB45_56
; %bb.38:                               ;   in Loop: Header=BB45_3 Depth=1
	s_mov_b32 s40, s26
	s_and_not1_b32 vcc_lo, exec_lo, s29
	s_mov_b32 s8, s22
	s_mov_b32 s9, s26
	s_cbranch_vccnz .LBB45_43
.LBB45_39:                              ;   Parent Loop BB45_3 Depth=1
                                        ; =>  This Loop Header: Depth=2
                                        ;       Child Loop BB45_40 Depth 3
	s_add_co_i32 s42, s9, -1
	s_add_co_i32 s43, s9, -3
	v_lshl_add_u32 v12, s9, 8, v15
	s_add_co_i32 s41, s9, -2
	v_lshl_add_u32 v13, s42, 8, v15
	s_lshl_b32 s40, s43, 8
	v_lshl_add_u32 v18, s41, 8, v15
	v_dual_mov_b32 v20, v3 :: v_dual_add_nc_u32 v19, s40, v15
	ds_load_b32 v11, v12
	ds_load_b32 v10, v13
	;; [unrolled: 1-line block ×4, first 2 shown]
	s_cmp_le_i32 s26, s9
	s_mov_b32 s44, s8
	s_mov_b32 s45, s26
	s_cbranch_scc1 .LBB45_41
.LBB45_40:                              ;   Parent Loop BB45_3 Depth=1
                                        ;     Parent Loop BB45_39 Depth=2
                                        ; =>    This Inner Loop Header: Depth=3
	v_mov_b32_e32 v21, s44
	s_add_co_i32 s45, s45, -1
	s_addk_co_i32 s44, 0xff00
	s_cmp_le_i32 s45, s9
	ds_load_b32 v22, v20
	ds_load_2addr_b32 v[24:25], v21 offset0:2 offset1:3
	ds_load_2addr_b32 v[26:27], v21 offset1:1
	v_add_nc_u32_e32 v20, 0xffffff00, v20
	s_wait_dscnt 0x1
	v_pk_fma_f32 v[10:11], v[22:23], v[24:25], v[10:11] op_sel_hi:[0,1,1] neg_lo:[1,0,0] neg_hi:[1,0,0]
	s_wait_dscnt 0x0
	v_pk_fma_f32 v[8:9], v[22:23], v[26:27], v[8:9] op_sel_hi:[0,1,1] neg_lo:[1,0,0] neg_hi:[1,0,0]
	s_cbranch_scc0 .LBB45_40
.LBB45_41:                              ;   in Loop: Header=BB45_39 Depth=2
	s_mul_i32 s44, s9, 0x104
	s_lshl_b32 s41, s41, 2
	s_add_co_i32 s45, s44, -4
	s_lshl_b32 s43, s43, 2
	v_mov_b32_e32 v20, s45
	s_lshl_b32 s45, s42, 2
	s_lshl_b32 s42, s42, 8
	s_add_co_i32 s44, s44, -12
	s_add_co_i32 s45, s45, s42
	s_add_co_i32 s42, s43, s42
	v_mov_b32_e32 v22, s45
	ds_load_2addr_b32 v[20:21], v20 offset1:1
	s_sub_co_i32 s41, s45, s41
	v_dual_mov_b32 v23, s44 :: v_dual_mov_b32 v24, s42
	s_add_co_i32 s41, s41, s43
	ds_load_b32 v26, v22
	ds_load_2addr_b32 v[22:23], v23 offset1:1
	ds_load_2addr_b32 v[24:25], v24 offset1:1
	s_addk_co_i32 s41, 0xfefc
	s_add_co_i32 s40, s43, s40
	s_add_co_i32 s8, s8, -16
	s_wait_dscnt 0x3
	v_div_scale_f32 v27, null, v21, v21, v11
	v_div_scale_f32 v30, vcc_lo, v11, v21, v11
	s_delay_alu instid0(VALU_DEP_2) | instskip(SKIP_1) | instid1(TRANS32_DEP_1)
	v_rcp_f32_e32 v28, v27
	v_nop
	v_fma_f32 v29, -v27, v28, 1.0
	s_delay_alu instid0(VALU_DEP_1) | instskip(NEXT) | instid1(VALU_DEP_1)
	v_fmac_f32_e32 v28, v29, v28
	v_mul_f32_e32 v29, v30, v28
	s_delay_alu instid0(VALU_DEP_1) | instskip(NEXT) | instid1(VALU_DEP_1)
	v_fma_f32 v31, -v27, v29, v30
	v_fmac_f32_e32 v29, v31, v28
	s_delay_alu instid0(VALU_DEP_1) | instskip(NEXT) | instid1(VALU_DEP_1)
	v_fma_f32 v27, -v27, v29, v30
	v_div_fmas_f32 v27, v27, v28, v29
	s_delay_alu instid0(VALU_DEP_1) | instskip(NEXT) | instid1(VALU_DEP_1)
	v_div_fixup_f32 v21, v27, v21, v11
	v_dual_mov_b32 v11, s41 :: v_dual_fma_f32 v20, -v21, v20, v10
	s_wait_dscnt 0x1
	v_dual_fma_f32 v8, -v21, v22, v8 :: v_dual_fma_f32 v9, -v21, v23, v9
	v_mov_b32_e32 v23, s40
	s_add_co_i32 s40, s9, -4
	v_div_scale_f32 v27, null, v26, v26, v20
	v_div_scale_f32 v29, vcc_lo, v20, v26, v20
	s_cmp_lt_i32 s9, 7
	v_rcp_f32_e32 v28, v27
	ds_load_b32 v23, v23
	v_nop
	v_fma_f32 v10, -v27, v28, 1.0
	s_delay_alu instid0(VALU_DEP_1) | instskip(NEXT) | instid1(VALU_DEP_1)
	v_fmac_f32_e32 v28, v10, v28
	v_mul_f32_e32 v30, v29, v28
	s_delay_alu instid0(VALU_DEP_1) | instskip(NEXT) | instid1(VALU_DEP_1)
	v_fma_f32 v10, -v27, v30, v29
	v_fmac_f32_e32 v30, v10, v28
	ds_load_2addr_b32 v[10:11], v11 offset1:1
	v_fma_f32 v27, -v27, v30, v29
	s_delay_alu instid0(VALU_DEP_1) | instskip(NEXT) | instid1(VALU_DEP_1)
	v_div_fmas_f32 v27, v27, v28, v30
	v_div_fixup_f32 v20, v27, v26, v20
	s_wait_dscnt 0x2
	s_delay_alu instid0(VALU_DEP_1) | instskip(SKIP_1) | instid1(VALU_DEP_1)
	v_dual_fma_f32 v9, -v20, v25, v9 :: v_dual_fma_f32 v8, -v20, v24, v8
	s_wait_dscnt 0x0
	v_div_scale_f32 v25, null, v11, v11, v9
	s_delay_alu instid0(VALU_DEP_1) | instskip(SKIP_1) | instid1(TRANS32_DEP_1)
	v_rcp_f32_e32 v26, v25
	v_nop
	v_fma_f32 v27, -v25, v26, 1.0
	s_delay_alu instid0(VALU_DEP_1) | instskip(SKIP_1) | instid1(VALU_DEP_1)
	v_fmac_f32_e32 v26, v27, v26
	v_div_scale_f32 v28, vcc_lo, v9, v11, v9
	v_mul_f32_e32 v27, v28, v26
	s_delay_alu instid0(VALU_DEP_1) | instskip(NEXT) | instid1(VALU_DEP_1)
	v_fma_f32 v29, -v25, v27, v28
	v_fmac_f32_e32 v27, v29, v26
	s_delay_alu instid0(VALU_DEP_1) | instskip(NEXT) | instid1(VALU_DEP_1)
	v_fma_f32 v25, -v25, v27, v28
	v_div_fmas_f32 v22, v25, v26, v27
	s_delay_alu instid0(VALU_DEP_1) | instskip(NEXT) | instid1(VALU_DEP_1)
	v_div_fixup_f32 v9, v22, v11, v9
	v_fma_f32 v8, -v9, v10, v8
	s_delay_alu instid0(VALU_DEP_1) | instskip(SKIP_1) | instid1(VALU_DEP_2)
	v_div_scale_f32 v10, null, v23, v23, v8
	v_div_scale_f32 v24, vcc_lo, v8, v23, v8
	v_rcp_f32_e32 v11, v10
	v_nop
	s_delay_alu instid0(TRANS32_DEP_1) | instskip(NEXT) | instid1(VALU_DEP_1)
	v_fma_f32 v22, -v10, v11, 1.0
	v_fmac_f32_e32 v11, v22, v11
	s_delay_alu instid0(VALU_DEP_1) | instskip(NEXT) | instid1(VALU_DEP_1)
	v_mul_f32_e32 v22, v24, v11
	v_fma_f32 v25, -v10, v22, v24
	s_delay_alu instid0(VALU_DEP_1) | instskip(NEXT) | instid1(VALU_DEP_1)
	v_fmac_f32_e32 v22, v25, v11
	v_fma_f32 v10, -v10, v22, v24
	s_delay_alu instid0(VALU_DEP_1) | instskip(NEXT) | instid1(VALU_DEP_1)
	v_div_fmas_f32 v10, v10, v11, v22
	v_div_fixup_f32 v8, v10, v23, v8
	ds_store_b32 v12, v21
	ds_store_b32 v13, v20
	;; [unrolled: 1-line block ×4, first 2 shown]
	s_cbranch_scc1 .LBB45_43
; %bb.42:                               ;   in Loop: Header=BB45_39 Depth=2
	s_mov_b32 s9, s40
	s_branch .LBB45_39
.LBB45_43:                              ;   in Loop: Header=BB45_3 Depth=1
	s_cmp_lt_i32 s40, 0
	s_cbranch_scc1 .LBB45_56
; %bb.44:                               ;   in Loop: Header=BB45_3 Depth=1
	s_bitcmp1_b32 s40, 0
	s_cselect_b32 s8, -1, 0
	s_delay_alu instid0(SALU_CYCLE_1)
	s_and_b32 vcc_lo, exec_lo, s8
	s_mov_b32 s8, s40
	s_cbranch_vccnz .LBB45_49
; %bb.45:                               ;   in Loop: Header=BB45_3 Depth=1
	s_lshl_b32 s8, s40, 8
	s_cmp_le_i32 s26, s40
	v_add_nc_u32_e32 v8, s8, v15
	ds_load_b32 v9, v8
	s_cbranch_scc1 .LBB45_48
; %bb.46:                               ;   in Loop: Header=BB45_3 Depth=1
	v_mov_b32_e32 v10, v3
	s_lshl_b32 s9, s40, 2
	s_mov_b32 s41, s26
	s_add_co_i32 s9, s23, s9
.LBB45_47:                              ;   Parent Loop BB45_3 Depth=1
                                        ; =>  This Inner Loop Header: Depth=2
	s_delay_alu instid0(SALU_CYCLE_1)
	v_mov_b32_e32 v11, s9
	s_add_co_i32 s41, s41, -1
	s_addk_co_i32 s9, 0xff00
	s_cmp_gt_i32 s41, s40
	ds_load_b32 v12, v10
	ds_load_b32 v11, v11
	v_add_nc_u32_e32 v10, 0xffffff00, v10
	s_wait_dscnt 0x0
	v_fma_f32 v9, -v12, v11, v9
	s_cbranch_scc1 .LBB45_47
.LBB45_48:                              ;   in Loop: Header=BB45_3 Depth=1
	s_lshl_b32 s9, s40, 2
	s_delay_alu instid0(SALU_CYCLE_1) | instskip(NEXT) | instid1(SALU_CYCLE_1)
	s_add_co_i32 s8, s9, s8
	v_mov_b32_e32 v10, s8
	s_add_co_i32 s8, s40, -1
	ds_load_b32 v10, v10
	s_wait_dscnt 0x0
	v_div_scale_f32 v11, null, v10, v10, v9
	s_delay_alu instid0(VALU_DEP_1) | instskip(SKIP_1) | instid1(TRANS32_DEP_1)
	v_rcp_f32_e32 v12, v11
	v_nop
	v_fma_f32 v13, -v11, v12, 1.0
	s_delay_alu instid0(VALU_DEP_1) | instskip(SKIP_1) | instid1(VALU_DEP_1)
	v_fmac_f32_e32 v12, v13, v12
	v_div_scale_f32 v13, vcc_lo, v9, v10, v9
	v_mul_f32_e32 v18, v13, v12
	s_delay_alu instid0(VALU_DEP_1) | instskip(NEXT) | instid1(VALU_DEP_1)
	v_fma_f32 v19, -v11, v18, v13
	v_fmac_f32_e32 v18, v19, v12
	s_delay_alu instid0(VALU_DEP_1) | instskip(NEXT) | instid1(VALU_DEP_1)
	v_fma_f32 v11, -v11, v18, v13
	v_div_fmas_f32 v11, v11, v12, v18
	s_delay_alu instid0(VALU_DEP_1)
	v_div_fixup_f32 v9, v11, v10, v9
	ds_store_b32 v8, v9
.LBB45_49:                              ;   in Loop: Header=BB45_3 Depth=1
	s_cmp_eq_u32 s40, 0
	s_cbranch_scc1 .LBB45_56
; %bb.50:                               ;   in Loop: Header=BB45_3 Depth=1
	s_lshl_b32 s40, s8, 2
	s_delay_alu instid0(SALU_CYCLE_1)
	s_add_co_i32 s9, s23, s40
	s_add_co_i32 s40, s24, s40
	s_branch .LBB45_52
.LBB45_51:                              ;   in Loop: Header=BB45_52 Depth=2
	s_add_co_i32 s41, s41, s42
	s_add_co_i32 s9, s9, -8
	s_add_co_i32 s41, s41, -4
	;; [unrolled: 1-line block ×3, first 2 shown]
	v_mov_b32_e32 v8, s41
	s_add_co_i32 s41, s8, -2
	s_cmp_lt_i32 s8, 2
	s_mov_b32 s8, s41
	ds_load_b32 v8, v8
	s_wait_dscnt 0x0
	v_div_scale_f32 v10, null, v8, v8, v11
	v_div_scale_f32 v18, vcc_lo, v11, v8, v11
	s_delay_alu instid0(VALU_DEP_2) | instskip(SKIP_1) | instid1(TRANS32_DEP_1)
	v_rcp_f32_e32 v12, v10
	v_nop
	v_fma_f32 v13, -v10, v12, 1.0
	s_delay_alu instid0(VALU_DEP_1) | instskip(NEXT) | instid1(VALU_DEP_1)
	v_fmac_f32_e32 v12, v13, v12
	v_mul_f32_e32 v13, v18, v12
	s_delay_alu instid0(VALU_DEP_1) | instskip(NEXT) | instid1(VALU_DEP_1)
	v_fma_f32 v19, -v10, v13, v18
	v_fmac_f32_e32 v13, v19, v12
	s_delay_alu instid0(VALU_DEP_1) | instskip(NEXT) | instid1(VALU_DEP_1)
	v_fma_f32 v10, -v10, v13, v18
	v_div_fmas_f32 v10, v10, v12, v13
	s_delay_alu instid0(VALU_DEP_1)
	v_div_fixup_f32 v8, v10, v8, v11
	ds_store_b32 v9, v8
	s_cbranch_scc1 .LBB45_56
.LBB45_52:                              ;   Parent Loop BB45_3 Depth=1
                                        ; =>  This Loop Header: Depth=2
                                        ;       Child Loop BB45_53 Depth 3
                                        ;       Child Loop BB45_55 Depth 3
	s_lshl_b32 s42, s8, 8
	s_cmp_le_i32 s26, s8
	v_dual_mov_b32 v9, v3 :: v_dual_add_nc_u32 v8, s42, v15
	s_mov_b32 s41, s9
	s_mov_b32 s43, s26
	ds_load_b32 v10, v8
	s_cbranch_scc1 .LBB45_54
.LBB45_53:                              ;   Parent Loop BB45_3 Depth=1
                                        ;     Parent Loop BB45_52 Depth=2
                                        ; =>    This Inner Loop Header: Depth=3
	v_mov_b32_e32 v11, s41
	s_add_co_i32 s43, s43, -1
	s_addk_co_i32 s41, 0xff00
	s_cmp_le_i32 s43, s8
	ds_load_b32 v12, v9
	ds_load_b32 v11, v11
	v_add_nc_u32_e32 v9, 0xffffff00, v9
	s_wait_dscnt 0x0
	v_fma_f32 v10, -v12, v11, v10
	s_cbranch_scc0 .LBB45_53
.LBB45_54:                              ;   in Loop: Header=BB45_52 Depth=2
	s_lshl_b32 s41, s8, 2
	s_mov_b32 s44, s18
	s_add_co_i32 s43, s41, s42
	s_addk_co_i32 s42, 0xff00
	v_mov_b32_e32 v9, s43
	s_cmp_le_i32 s18, s8
	s_mov_b32 s43, s40
	ds_load_b32 v12, v9
	s_wait_dscnt 0x0
	v_div_scale_f32 v13, null, v12, v12, v10
	s_delay_alu instid0(VALU_DEP_1) | instskip(SKIP_1) | instid1(TRANS32_DEP_1)
	v_rcp_f32_e32 v18, v13
	v_nop
	v_fma_f32 v19, -v13, v18, 1.0
	s_delay_alu instid0(VALU_DEP_1) | instskip(SKIP_1) | instid1(VALU_DEP_1)
	v_fmac_f32_e32 v18, v19, v18
	v_div_scale_f32 v19, vcc_lo, v10, v12, v10
	v_dual_mul_f32 v20, v19, v18 :: v_dual_add_nc_u32 v9, s42, v15
	ds_load_b32 v11, v9
	v_fma_f32 v21, -v13, v20, v19
	s_delay_alu instid0(VALU_DEP_1) | instskip(NEXT) | instid1(VALU_DEP_1)
	v_fmac_f32_e32 v20, v21, v18
	v_fma_f32 v13, -v13, v20, v19
	s_delay_alu instid0(VALU_DEP_1) | instskip(NEXT) | instid1(VALU_DEP_1)
	v_div_fmas_f32 v13, v13, v18, v20
	v_div_fixup_f32 v12, v13, v12, v10
	v_mov_b32_e32 v10, v3
	ds_store_b32 v8, v12
	s_cbranch_scc1 .LBB45_51
.LBB45_55:                              ;   Parent Loop BB45_3 Depth=1
                                        ;     Parent Loop BB45_52 Depth=2
                                        ; =>    This Inner Loop Header: Depth=3
	v_mov_b32_e32 v8, s43
	s_add_co_i32 s44, s44, -1
	s_addk_co_i32 s43, 0xff00
	s_cmp_gt_i32 s44, s8
	ds_load_b32 v12, v10
	ds_load_b32 v8, v8
	v_add_nc_u32_e32 v10, 0xffffff00, v10
	s_wait_dscnt 0x0
	v_fma_f32 v11, -v12, v8, v11
	s_cbranch_scc1 .LBB45_55
	s_branch .LBB45_51
.LBB45_56:                              ;   in Loop: Header=BB45_3 Depth=1
	s_mov_b32 s8, 0
.LBB45_57:                              ;   in Loop: Header=BB45_3 Depth=1
	s_delay_alu instid0(SALU_CYCLE_1)
	s_and_not1_b32 vcc_lo, exec_lo, s8
	s_cbranch_vccnz .LBB45_77
; %bb.58:                               ;   in Loop: Header=BB45_3 Depth=1
	s_mov_b32 s40, s26
	s_and_not1_b32 vcc_lo, exec_lo, s29
	s_mov_b32 s8, s25
	s_mov_b32 s9, s26
	s_cbranch_vccnz .LBB45_64
.LBB45_59:                              ;   Parent Loop BB45_3 Depth=1
                                        ; =>  This Loop Header: Depth=2
                                        ;       Child Loop BB45_60 Depth 3
	s_add_co_i32 s42, s9, -1
	v_lshl_add_u32 v12, s9, 8, v15
	s_add_co_i32 s41, s9, -2
	v_lshl_add_u32 v13, s42, 8, v15
	;; [unrolled: 2-line block ×3, first 2 shown]
	v_lshl_add_u32 v19, s40, 8, v15
	ds_load_b32 v10, v12
	ds_load_b32 v11, v13
	;; [unrolled: 1-line block ×4, first 2 shown]
	v_mov_b32_e32 v20, v3
	s_cmp_le_i32 s26, s9
	s_mov_b32 s43, s8
	s_mov_b32 s44, s26
	s_cbranch_scc1 .LBB45_61
.LBB45_60:                              ;   Parent Loop BB45_3 Depth=1
                                        ;     Parent Loop BB45_59 Depth=2
                                        ; =>    This Inner Loop Header: Depth=3
	v_mov_b32_e32 v21, s43
	s_add_co_i32 s44, s44, -1
	s_add_co_i32 s43, s43, -4
	s_cmp_le_i32 s44, s9
	ds_load_2addr_stride64_b32 v[22:23], v21 offset0:2 offset1:3
	ds_load_2addr_stride64_b32 v[24:25], v21 offset1:1
	ds_load_b32 v26, v20
	v_add_nc_u32_e32 v20, 0xffffff00, v20
	s_wait_dscnt 0x2
	v_dual_mov_b32 v28, v23 :: v_dual_mov_b32 v29, v22
	s_wait_dscnt 0x1
	v_dual_mov_b32 v22, v25 :: v_dual_mov_b32 v23, v24
	s_wait_dscnt 0x0
	s_delay_alu instid0(VALU_DEP_2) | instskip(NEXT) | instid1(VALU_DEP_2)
	v_pk_fma_f32 v[10:11], v[26:27], v[28:29], v[10:11] op_sel_hi:[0,1,1] neg_lo:[1,0,0] neg_hi:[1,0,0]
	v_pk_fma_f32 v[8:9], v[26:27], v[22:23], v[8:9] op_sel_hi:[0,1,1] neg_lo:[1,0,0] neg_hi:[1,0,0]
	s_cbranch_scc0 .LBB45_60
.LBB45_61:                              ;   in Loop: Header=BB45_59 Depth=2
	s_lshl_b32 s45, s42, 6
	s_lshl_b32 s44, s41, 6
	;; [unrolled: 1-line block ×3, first 2 shown]
; %bb.62:                               ;   in Loop: Header=BB45_59 Depth=2
	s_mul_i32 s46, s9, 0x104
	s_lshl_b32 s45, s45, 2
	v_mov_b32_e32 v20, s46
	s_lshl_b32 s42, s42, 2
	s_lshl_b32 s44, s44, 2
	;; [unrolled: 1-line block ×3, first 2 shown]
	s_add_co_i32 s42, s45, s42
	s_add_co_i32 s45, s44, s46
	s_lshl_b32 s41, s41, 2
	v_mov_b32_e32 v22, s45
	ds_load_b32 v24, v20
	s_add_co_i32 s41, s44, s41
	s_delay_alu instid0(SALU_CYCLE_1)
	v_dual_mov_b32 v20, s42 :: v_dual_mov_b32 v23, s41
	ds_load_2addr_b32 v[20:21], v20 offset1:1
	ds_load_b32 v25, v22
	ds_load_2addr_b32 v[22:23], v23 offset1:1
	s_lshl_b32 s41, s43, 2
	s_lshl_b32 s40, s40, 2
	s_add_co_i32 s42, s41, s46
	s_add_co_i32 s40, s41, s40
	s_add_co_i32 s42, s42, -4
	s_addk_co_i32 s8, 0xfc00
	s_wait_dscnt 0x3
	v_div_scale_f32 v26, null, v24, v24, v10
	v_div_scale_f32 v29, vcc_lo, v10, v24, v10
	s_delay_alu instid0(VALU_DEP_2) | instskip(SKIP_1) | instid1(TRANS32_DEP_1)
	v_rcp_f32_e32 v27, v26
	v_nop
	v_fma_f32 v28, -v26, v27, 1.0
	s_delay_alu instid0(VALU_DEP_1) | instskip(NEXT) | instid1(VALU_DEP_1)
	v_fmac_f32_e32 v27, v28, v27
	v_mul_f32_e32 v28, v29, v27
	s_delay_alu instid0(VALU_DEP_1) | instskip(NEXT) | instid1(VALU_DEP_1)
	v_fma_f32 v30, -v26, v28, v29
	v_fmac_f32_e32 v28, v30, v27
	s_delay_alu instid0(VALU_DEP_1) | instskip(NEXT) | instid1(VALU_DEP_1)
	v_fma_f32 v26, -v26, v28, v29
	v_div_fmas_f32 v26, v26, v27, v28
	s_delay_alu instid0(VALU_DEP_1) | instskip(SKIP_1) | instid1(VALU_DEP_1)
	v_div_fixup_f32 v24, v26, v24, v10
	s_wait_dscnt 0x2
	v_fma_f32 v10, -v24, v21, v11
	s_wait_dscnt 0x1
	v_fma_f32 v8, -v24, v25, v8
	s_delay_alu instid0(VALU_DEP_2) | instskip(SKIP_1) | instid1(VALU_DEP_2)
	v_div_scale_f32 v11, null, v20, v20, v10
	v_div_scale_f32 v27, vcc_lo, v10, v20, v10
	v_rcp_f32_e32 v21, v11
	v_nop
	s_delay_alu instid0(TRANS32_DEP_1) | instskip(NEXT) | instid1(VALU_DEP_1)
	v_fma_f32 v26, -v11, v21, 1.0
	v_fmac_f32_e32 v21, v26, v21
	s_delay_alu instid0(VALU_DEP_1) | instskip(NEXT) | instid1(VALU_DEP_1)
	v_mul_f32_e32 v26, v27, v21
	v_fma_f32 v28, -v11, v26, v27
	s_delay_alu instid0(VALU_DEP_1) | instskip(NEXT) | instid1(VALU_DEP_1)
	v_fmac_f32_e32 v26, v28, v21
	v_fma_f32 v11, -v11, v26, v27
	s_delay_alu instid0(VALU_DEP_1) | instskip(NEXT) | instid1(VALU_DEP_1)
	v_div_fmas_f32 v11, v11, v21, v26
	v_div_fixup_f32 v25, v11, v20, v10
	s_wait_dscnt 0x0
	s_delay_alu instid0(VALU_DEP_1) | instskip(NEXT) | instid1(VALU_DEP_1)
	v_fma_f32 v8, -v25, v23, v8
	v_div_scale_f32 v23, null, v22, v22, v8
	v_div_scale_f32 v27, vcc_lo, v8, v22, v8
	s_delay_alu instid0(VALU_DEP_2) | instskip(SKIP_1) | instid1(TRANS32_DEP_1)
	v_rcp_f32_e32 v26, v23
	v_nop
	v_fma_f32 v10, -v23, v26, 1.0
	s_delay_alu instid0(VALU_DEP_1) | instskip(NEXT) | instid1(VALU_DEP_1)
	v_dual_fmac_f32 v26, v10, v26 :: v_dual_mov_b32 v11, s42
	v_mul_f32_e32 v28, v27, v26
	ds_load_2addr_b32 v[10:11], v11 offset1:1
	v_mov_b32_e32 v20, s40
	s_add_co_i32 s40, s9, -4
	s_cmp_lt_i32 s9, 7
	v_fma_f32 v29, -v23, v28, v27
	ds_load_2addr_b32 v[20:21], v20 offset1:1
	s_wait_dscnt 0x1
	v_dual_fmac_f32 v28, v29, v26 :: v_dual_fma_f32 v9, -v24, v11, v9
	s_delay_alu instid0(VALU_DEP_1) | instskip(NEXT) | instid1(VALU_DEP_1)
	v_dual_fma_f32 v23, -v23, v28, v27 :: v_dual_fma_f32 v9, -v25, v10, v9
	v_div_fmas_f32 v11, v23, v26, v28
	s_delay_alu instid0(VALU_DEP_1) | instskip(SKIP_1) | instid1(VALU_DEP_1)
	v_div_fixup_f32 v8, v11, v22, v8
	s_wait_dscnt 0x0
	v_fma_f32 v9, -v8, v21, v9
	s_delay_alu instid0(VALU_DEP_1) | instskip(NEXT) | instid1(VALU_DEP_1)
	v_div_scale_f32 v10, null, v20, v20, v9
	v_rcp_f32_e32 v11, v10
	v_nop
	s_delay_alu instid0(TRANS32_DEP_1) | instskip(NEXT) | instid1(VALU_DEP_1)
	v_fma_f32 v21, -v10, v11, 1.0
	v_fmac_f32_e32 v11, v21, v11
	v_div_scale_f32 v22, vcc_lo, v9, v20, v9
	s_delay_alu instid0(VALU_DEP_1) | instskip(NEXT) | instid1(VALU_DEP_1)
	v_mul_f32_e32 v21, v22, v11
	v_fma_f32 v23, -v10, v21, v22
	s_delay_alu instid0(VALU_DEP_1) | instskip(NEXT) | instid1(VALU_DEP_1)
	v_fmac_f32_e32 v21, v23, v11
	v_fma_f32 v10, -v10, v21, v22
	s_delay_alu instid0(VALU_DEP_1) | instskip(NEXT) | instid1(VALU_DEP_1)
	v_div_fmas_f32 v10, v10, v11, v21
	v_div_fixup_f32 v9, v10, v20, v9
	ds_store_b32 v12, v24
	ds_store_b32 v13, v25
	;; [unrolled: 1-line block ×4, first 2 shown]
	s_cbranch_scc1 .LBB45_64
; %bb.63:                               ;   in Loop: Header=BB45_59 Depth=2
	s_mov_b32 s9, s40
	s_branch .LBB45_59
.LBB45_64:                              ;   in Loop: Header=BB45_3 Depth=1
	s_cmp_lt_i32 s40, 0
	s_cbranch_scc1 .LBB45_77
; %bb.65:                               ;   in Loop: Header=BB45_3 Depth=1
	s_bitcmp1_b32 s40, 0
	s_cselect_b32 s8, -1, 0
	s_delay_alu instid0(SALU_CYCLE_1)
	s_and_b32 vcc_lo, exec_lo, s8
	s_mov_b32 s8, s40
	s_cbranch_vccnz .LBB45_70
; %bb.66:                               ;   in Loop: Header=BB45_3 Depth=1
	v_lshl_add_u32 v8, s40, 8, v15
	s_cmp_le_i32 s26, s40
	ds_load_b32 v9, v8
	s_cbranch_scc1 .LBB45_69
; %bb.67:                               ;   in Loop: Header=BB45_3 Depth=1
	v_mov_b32_e32 v10, v3
	s_lshl_b32 s8, s40, 8
	s_mov_b32 s9, s26
	s_add_co_i32 s8, s38, s8
.LBB45_68:                              ;   Parent Loop BB45_3 Depth=1
                                        ; =>  This Inner Loop Header: Depth=2
	s_delay_alu instid0(SALU_CYCLE_1)
	v_mov_b32_e32 v11, s8
	s_add_co_i32 s9, s9, -1
	s_add_co_i32 s8, s8, -4
	s_cmp_gt_u32 s9, s40
	ds_load_b32 v12, v10
	ds_load_b32 v11, v11
	v_add_nc_u32_e32 v10, 0xffffff00, v10
	s_wait_dscnt 0x0
	v_fma_f32 v9, -v12, v11, v9
	s_cbranch_scc1 .LBB45_68
.LBB45_69:                              ;   in Loop: Header=BB45_3 Depth=1
	s_mul_i32 s8, s40, 0x104
	s_delay_alu instid0(SALU_CYCLE_1) | instskip(SKIP_4) | instid1(VALU_DEP_1)
	v_mov_b32_e32 v10, s8
	s_add_co_i32 s8, s40, -1
	ds_load_b32 v10, v10
	s_wait_dscnt 0x0
	v_div_scale_f32 v11, null, v10, v10, v9
	v_rcp_f32_e32 v12, v11
	v_nop
	s_delay_alu instid0(TRANS32_DEP_1) | instskip(NEXT) | instid1(VALU_DEP_1)
	v_fma_f32 v13, -v11, v12, 1.0
	v_fmac_f32_e32 v12, v13, v12
	v_div_scale_f32 v13, vcc_lo, v9, v10, v9
	s_delay_alu instid0(VALU_DEP_1) | instskip(NEXT) | instid1(VALU_DEP_1)
	v_mul_f32_e32 v18, v13, v12
	v_fma_f32 v19, -v11, v18, v13
	s_delay_alu instid0(VALU_DEP_1) | instskip(NEXT) | instid1(VALU_DEP_1)
	v_fmac_f32_e32 v18, v19, v12
	v_fma_f32 v11, -v11, v18, v13
	s_delay_alu instid0(VALU_DEP_1) | instskip(NEXT) | instid1(VALU_DEP_1)
	v_div_fmas_f32 v11, v11, v12, v18
	v_div_fixup_f32 v9, v11, v10, v9
	ds_store_b32 v8, v9
.LBB45_70:                              ;   in Loop: Header=BB45_3 Depth=1
	s_cmp_eq_u32 s40, 0
	s_cbranch_scc1 .LBB45_77
; %bb.71:                               ;   in Loop: Header=BB45_3 Depth=1
	s_lshl_b32 s40, s8, 8
	s_delay_alu instid0(SALU_CYCLE_1)
	s_add_co_i32 s9, s38, s40
	s_add_co_i32 s40, s39, s40
	s_branch .LBB45_73
.LBB45_72:                              ;   in Loop: Header=BB45_73 Depth=2
	s_addk_co_i32 s42, 0xfefc
	s_add_co_i32 s8, s8, -2
	v_mov_b32_e32 v8, s42
	s_addk_co_i32 s9, 0xfe00
	s_addk_co_i32 s40, 0xfe00
	s_cmp_eq_u32 s41, 0
	ds_load_b32 v8, v8
	s_wait_dscnt 0x0
	v_div_scale_f32 v10, null, v8, v8, v11
	v_div_scale_f32 v18, vcc_lo, v11, v8, v11
	s_delay_alu instid0(VALU_DEP_2) | instskip(SKIP_1) | instid1(TRANS32_DEP_1)
	v_rcp_f32_e32 v12, v10
	v_nop
	v_fma_f32 v13, -v10, v12, 1.0
	s_delay_alu instid0(VALU_DEP_1) | instskip(NEXT) | instid1(VALU_DEP_1)
	v_fmac_f32_e32 v12, v13, v12
	v_mul_f32_e32 v13, v18, v12
	s_delay_alu instid0(VALU_DEP_1) | instskip(NEXT) | instid1(VALU_DEP_1)
	v_fma_f32 v19, -v10, v13, v18
	v_fmac_f32_e32 v13, v19, v12
	s_delay_alu instid0(VALU_DEP_1) | instskip(NEXT) | instid1(VALU_DEP_1)
	v_fma_f32 v10, -v10, v13, v18
	v_div_fmas_f32 v10, v10, v12, v13
	s_delay_alu instid0(VALU_DEP_1)
	v_div_fixup_f32 v8, v10, v8, v11
	ds_store_b32 v9, v8
	s_cbranch_scc1 .LBB45_77
.LBB45_73:                              ;   Parent Loop BB45_3 Depth=1
                                        ; =>  This Loop Header: Depth=2
                                        ;       Child Loop BB45_74 Depth 3
                                        ;       Child Loop BB45_76 Depth 3
	v_lshl_add_u32 v8, s8, 8, v15
	v_mov_b32_e32 v9, v3
	s_cmp_le_i32 s26, s8
	s_mov_b32 s41, s9
	s_mov_b32 s42, s26
	ds_load_b32 v10, v8
	s_cbranch_scc1 .LBB45_75
.LBB45_74:                              ;   Parent Loop BB45_3 Depth=1
                                        ;     Parent Loop BB45_73 Depth=2
                                        ; =>    This Inner Loop Header: Depth=3
	v_mov_b32_e32 v11, s41
	s_add_co_i32 s42, s42, -1
	s_add_co_i32 s41, s41, -4
	s_cmp_le_u32 s42, s8
	ds_load_b32 v12, v9
	ds_load_b32 v11, v11
	v_add_nc_u32_e32 v9, 0xffffff00, v9
	s_wait_dscnt 0x0
	v_fma_f32 v10, -v12, v11, v10
	s_cbranch_scc0 .LBB45_74
.LBB45_75:                              ;   in Loop: Header=BB45_73 Depth=2
	s_mul_i32 s42, s8, 0x104
	s_add_co_i32 s41, s8, -1
	v_mov_b32_e32 v9, s42
	s_cmp_le_i32 s18, s8
	s_mov_b32 s43, s40
	s_mov_b32 s44, s26
	ds_load_b32 v12, v9
	v_lshl_add_u32 v9, s41, 8, v15
	ds_load_b32 v11, v9
	s_wait_dscnt 0x1
	v_div_scale_f32 v13, null, v12, v12, v10
	s_delay_alu instid0(VALU_DEP_1) | instskip(SKIP_1) | instid1(TRANS32_DEP_1)
	v_rcp_f32_e32 v18, v13
	v_nop
	v_fma_f32 v19, -v13, v18, 1.0
	s_delay_alu instid0(VALU_DEP_1) | instskip(SKIP_1) | instid1(VALU_DEP_1)
	v_fmac_f32_e32 v18, v19, v18
	v_div_scale_f32 v19, vcc_lo, v10, v12, v10
	v_mul_f32_e32 v20, v19, v18
	s_delay_alu instid0(VALU_DEP_1) | instskip(NEXT) | instid1(VALU_DEP_1)
	v_fma_f32 v21, -v13, v20, v19
	v_fmac_f32_e32 v20, v21, v18
	s_delay_alu instid0(VALU_DEP_1) | instskip(NEXT) | instid1(VALU_DEP_1)
	v_fma_f32 v13, -v13, v20, v19
	v_div_fmas_f32 v13, v13, v18, v20
	s_delay_alu instid0(VALU_DEP_1)
	v_div_fixup_f32 v12, v13, v12, v10
	v_mov_b32_e32 v10, v3
	ds_store_b32 v8, v12
	s_cbranch_scc1 .LBB45_72
.LBB45_76:                              ;   Parent Loop BB45_3 Depth=1
                                        ;     Parent Loop BB45_73 Depth=2
                                        ; =>    This Inner Loop Header: Depth=3
	v_mov_b32_e32 v8, s43
	s_add_co_i32 s44, s44, -1
	s_add_co_i32 s43, s43, -4
	s_cmp_gt_u32 s44, s41
	ds_load_b32 v12, v10
	ds_load_b32 v8, v8
	v_add_nc_u32_e32 v10, 0xffffff00, v10
	s_wait_dscnt 0x0
	v_fma_f32 v11, -v12, v8, v11
	s_cbranch_scc1 .LBB45_76
	s_branch .LBB45_72
.LBB45_77:                              ;   in Loop: Header=BB45_3 Depth=1
	s_mov_b32 s8, 0
.LBB45_78:                              ;   in Loop: Header=BB45_3 Depth=1
	s_delay_alu instid0(SALU_CYCLE_1)
	s_and_not1_b32 vcc_lo, exec_lo, s8
	s_cbranch_vccnz .LBB45_90
; %bb.79:                               ;   in Loop: Header=BB45_3 Depth=1
	s_and_not1_b32 vcc_lo, exec_lo, s29
	s_mov_b32 s40, 0
	s_cbranch_vccnz .LBB45_85
; %bb.80:                               ;   in Loop: Header=BB45_3 Depth=1
	s_mov_b32 s8, 0
	s_mov_b32 s9, 0
.LBB45_81:                              ;   Parent Loop BB45_3 Depth=1
                                        ; =>  This Loop Header: Depth=2
                                        ;       Child Loop BB45_82 Depth 3
	s_delay_alu instid0(SALU_CYCLE_1)
	s_or_b32 s41, s9, 1
	v_lshl_add_u32 v12, s9, 8, v15
	s_or_b32 s42, s9, 2
	s_or_b32 s40, s9, 3
	v_lshl_add_u32 v13, s41, 8, v15
	v_lshl_add_u32 v18, s42, 8, v15
	;; [unrolled: 1-line block ×3, first 2 shown]
	ds_load_b32 v10, v12
	ds_load_b32 v11, v13
	;; [unrolled: 1-line block ×4, first 2 shown]
	v_mov_b32_e32 v20, v15
	s_cmp_eq_u32 s9, 0
	s_mov_b32 s43, s8
	s_mov_b32 s44, s9
	s_cbranch_scc1 .LBB45_83
.LBB45_82:                              ;   Parent Loop BB45_3 Depth=1
                                        ;     Parent Loop BB45_81 Depth=2
                                        ; =>    This Inner Loop Header: Depth=3
	v_mov_b32_e32 v21, s43
	s_add_co_i32 s44, s44, -1
	s_add_co_i32 s43, s43, 4
	s_cmp_eq_u32 s44, 0
	ds_load_b32 v22, v20
	ds_load_2addr_stride64_b32 v[24:25], v21 offset1:1
	ds_load_2addr_stride64_b32 v[26:27], v21 offset0:2 offset1:3
	v_add_nc_u32_e32 v20, 0x100, v20
	s_wait_dscnt 0x1
	v_pk_fma_f32 v[10:11], v[22:23], v[24:25], v[10:11] op_sel_hi:[0,1,1] neg_lo:[1,0,0] neg_hi:[1,0,0]
	s_wait_dscnt 0x0
	v_pk_fma_f32 v[8:9], v[22:23], v[26:27], v[8:9] op_sel_hi:[0,1,1] neg_lo:[1,0,0] neg_hi:[1,0,0]
	s_cbranch_scc0 .LBB45_82
.LBB45_83:                              ;   in Loop: Header=BB45_81 Depth=2
	s_lshl_b32 s43, s41, 6
	s_lshl_b32 s41, s42, 6
	s_mul_i32 s42, s9, 0x104
	s_lshl_b32 s41, s41, 2
	v_mov_b32_e32 v20, s42
	s_lshl_b32 s42, s43, 2
	s_lshl_b32 s43, s9, 2
	;; [unrolled: 1-line block ×3, first 2 shown]
	s_add_co_i32 s41, s41, s43
	s_add_co_i32 s42, s42, s43
	v_mov_b32_e32 v22, s41
	ds_load_b32 v25, v20
	s_lshl_b32 s40, s40, 2
	s_addk_co_i32 s8, 0x400
	s_add_co_i32 s40, s40, s43
	s_wait_dscnt 0x0
	v_div_scale_f32 v26, null, v25, v25, v10
	v_div_scale_f32 v29, vcc_lo, v10, v25, v10
	s_delay_alu instid0(VALU_DEP_2) | instskip(SKIP_1) | instid1(TRANS32_DEP_1)
	v_rcp_f32_e32 v27, v26
	v_nop
	v_fma_f32 v28, -v26, v27, 1.0
	s_delay_alu instid0(VALU_DEP_1) | instskip(SKIP_3) | instid1(VALU_DEP_1)
	v_dual_mov_b32 v20, s42 :: v_dual_fmac_f32 v27, v28, v27
	ds_load_b64 v[20:21], v20
	ds_load_b96 v[22:24], v22
	v_mul_f32_e32 v28, v29, v27
	v_fma_f32 v30, -v26, v28, v29
	s_delay_alu instid0(VALU_DEP_1) | instskip(NEXT) | instid1(VALU_DEP_1)
	v_fmac_f32_e32 v28, v30, v27
	v_fma_f32 v26, -v26, v28, v29
	s_delay_alu instid0(VALU_DEP_1) | instskip(NEXT) | instid1(VALU_DEP_1)
	v_div_fmas_f32 v26, v26, v27, v28
	v_div_fixup_f32 v10, v26, v25, v10
	s_wait_dscnt 0x0
	s_delay_alu instid0(VALU_DEP_1) | instskip(NEXT) | instid1(VALU_DEP_1)
	v_dual_fma_f32 v11, -v10, v20, v11 :: v_dual_fma_f32 v8, -v10, v22, v8
	v_div_scale_f32 v20, null, v21, v21, v11
	v_div_scale_f32 v27, vcc_lo, v11, v21, v11
	s_delay_alu instid0(VALU_DEP_2) | instskip(SKIP_1) | instid1(TRANS32_DEP_1)
	v_rcp_f32_e32 v25, v20
	v_nop
	v_fma_f32 v26, -v20, v25, 1.0
	s_delay_alu instid0(VALU_DEP_1) | instskip(NEXT) | instid1(VALU_DEP_1)
	v_fmac_f32_e32 v25, v26, v25
	v_mul_f32_e32 v26, v27, v25
	s_delay_alu instid0(VALU_DEP_1) | instskip(NEXT) | instid1(VALU_DEP_1)
	v_fma_f32 v28, -v20, v26, v27
	v_fmac_f32_e32 v26, v28, v25
	s_delay_alu instid0(VALU_DEP_1) | instskip(NEXT) | instid1(VALU_DEP_1)
	v_fma_f32 v20, -v20, v26, v27
	v_div_fmas_f32 v20, v20, v25, v26
	s_delay_alu instid0(VALU_DEP_1) | instskip(NEXT) | instid1(VALU_DEP_1)
	v_div_fixup_f32 v11, v20, v21, v11
	v_fma_f32 v8, -v11, v23, v8
	s_delay_alu instid0(VALU_DEP_1) | instskip(SKIP_1) | instid1(VALU_DEP_2)
	v_div_scale_f32 v25, null, v24, v24, v8
	v_div_scale_f32 v27, vcc_lo, v8, v24, v8
	v_rcp_f32_e32 v26, v25
	v_nop
	s_delay_alu instid0(TRANS32_DEP_1) | instskip(SKIP_3) | instid1(VALU_DEP_2)
	v_fma_f32 v20, -v25, v26, 1.0
	v_mov_b32_e32 v21, s40
	s_add_co_i32 s40, s9, 4
	s_add_co_i32 s9, s9, 7
	v_fmac_f32_e32 v26, v20, v26
	ds_load_b128 v[20:23], v21
	s_cmp_ge_i32 s9, s18
	s_wait_dscnt 0x0
	v_dual_mul_f32 v28, v27, v26 :: v_dual_fma_f32 v9, -v10, v20, v9
	s_delay_alu instid0(VALU_DEP_1) | instskip(NEXT) | instid1(VALU_DEP_1)
	v_dual_fma_f32 v29, -v25, v28, v27 :: v_dual_fma_f32 v9, -v11, v21, v9
	v_fmac_f32_e32 v28, v29, v26
	s_delay_alu instid0(VALU_DEP_1) | instskip(NEXT) | instid1(VALU_DEP_1)
	v_fma_f32 v25, -v25, v28, v27
	v_div_fmas_f32 v20, v25, v26, v28
	s_delay_alu instid0(VALU_DEP_1) | instskip(NEXT) | instid1(VALU_DEP_1)
	v_div_fixup_f32 v8, v20, v24, v8
	v_fma_f32 v9, -v8, v22, v9
	s_delay_alu instid0(VALU_DEP_1) | instskip(SKIP_1) | instid1(VALU_DEP_2)
	v_div_scale_f32 v20, null, v23, v23, v9
	v_div_scale_f32 v24, vcc_lo, v9, v23, v9
	v_rcp_f32_e32 v21, v20
	v_nop
	s_delay_alu instid0(TRANS32_DEP_1) | instskip(NEXT) | instid1(VALU_DEP_1)
	v_fma_f32 v22, -v20, v21, 1.0
	v_fmac_f32_e32 v21, v22, v21
	s_delay_alu instid0(VALU_DEP_1) | instskip(NEXT) | instid1(VALU_DEP_1)
	v_mul_f32_e32 v22, v24, v21
	v_fma_f32 v25, -v20, v22, v24
	s_delay_alu instid0(VALU_DEP_1) | instskip(NEXT) | instid1(VALU_DEP_1)
	v_fmac_f32_e32 v22, v25, v21
	v_fma_f32 v20, -v20, v22, v24
	s_delay_alu instid0(VALU_DEP_1) | instskip(NEXT) | instid1(VALU_DEP_1)
	v_div_fmas_f32 v20, v20, v21, v22
	v_div_fixup_f32 v9, v20, v23, v9
	ds_store_b32 v12, v10
	ds_store_b32 v13, v11
	;; [unrolled: 1-line block ×4, first 2 shown]
	s_cbranch_scc1 .LBB45_85
; %bb.84:                               ;   in Loop: Header=BB45_81 Depth=2
	s_mov_b32 s9, s40
	s_branch .LBB45_81
.LBB45_85:                              ;   in Loop: Header=BB45_3 Depth=1
	s_cmp_ge_i32 s40, s18
	s_cbranch_scc1 .LBB45_90
; %bb.86:                               ;   in Loop: Header=BB45_3 Depth=1
	s_lshl_b32 s8, s40, 8
	s_branch .LBB45_88
.LBB45_87:                              ;   in Loop: Header=BB45_88 Depth=2
	s_mul_i32 s9, s40, 0x104
	s_add_co_i32 s40, s40, 1
	v_mov_b32_e32 v10, s9
	s_addk_co_i32 s8, 0x100
	s_cmp_ge_i32 s40, s18
	ds_load_b32 v10, v10
	s_wait_dscnt 0x0
	v_div_scale_f32 v11, null, v10, v10, v9
	s_delay_alu instid0(VALU_DEP_1) | instskip(SKIP_1) | instid1(TRANS32_DEP_1)
	v_rcp_f32_e32 v12, v11
	v_nop
	v_fma_f32 v13, -v11, v12, 1.0
	s_delay_alu instid0(VALU_DEP_1) | instskip(SKIP_1) | instid1(VALU_DEP_1)
	v_fmac_f32_e32 v12, v13, v12
	v_div_scale_f32 v13, vcc_lo, v9, v10, v9
	v_mul_f32_e32 v18, v13, v12
	s_delay_alu instid0(VALU_DEP_1) | instskip(NEXT) | instid1(VALU_DEP_1)
	v_fma_f32 v19, -v11, v18, v13
	v_fmac_f32_e32 v18, v19, v12
	s_delay_alu instid0(VALU_DEP_1) | instskip(NEXT) | instid1(VALU_DEP_1)
	v_fma_f32 v11, -v11, v18, v13
	v_div_fmas_f32 v11, v11, v12, v18
	s_delay_alu instid0(VALU_DEP_1)
	v_div_fixup_f32 v9, v11, v10, v9
	ds_store_b32 v8, v9
	s_cbranch_scc1 .LBB45_90
.LBB45_88:                              ;   Parent Loop BB45_3 Depth=1
                                        ; =>  This Loop Header: Depth=2
                                        ;       Child Loop BB45_89 Depth 3
	v_lshl_add_u32 v8, s40, 8, v15
	v_mov_b32_e32 v10, v15
	s_cmp_eq_u32 s40, 0
	s_mov_b32 s9, s8
	s_mov_b32 s41, s40
	ds_load_b32 v9, v8
	s_cbranch_scc1 .LBB45_87
.LBB45_89:                              ;   Parent Loop BB45_3 Depth=1
                                        ;     Parent Loop BB45_88 Depth=2
                                        ; =>    This Inner Loop Header: Depth=3
	v_mov_b32_e32 v11, s9
	s_add_co_i32 s41, s41, -1
	s_add_co_i32 s9, s9, 4
	s_cmp_eq_u32 s41, 0
	ds_load_b32 v12, v10
	ds_load_b32 v11, v11
	v_add_nc_u32_e32 v10, 0x100, v10
	s_wait_dscnt 0x0
	v_fma_f32 v9, -v12, v11, v9
	s_cbranch_scc0 .LBB45_89
	s_branch .LBB45_87
.LBB45_90:                              ;   in Loop: Header=BB45_3 Depth=1
	s_and_saveexec_b32 s40, s30
	s_cbranch_execz .LBB45_2
; %bb.91:                               ;   in Loop: Header=BB45_3 Depth=1
	s_and_not1_b32 vcc_lo, exec_lo, s36
	s_cbranch_vccnz .LBB45_95
; %bb.92:                               ;   in Loop: Header=BB45_3 Depth=1
	s_mov_b32 s9, 1
	s_mov_b32 s41, 0
	;; [unrolled: 1-line block ×3, first 2 shown]
.LBB45_93:                              ;   Parent Loop BB45_3 Depth=1
                                        ; =>  This Inner Loop Header: Depth=2
	v_lshl_add_u32 v8, s41, 8, v15
	v_lshl_add_u32 v9, s9, 8, v15
	s_add_co_i32 s42, s42, -2
	s_add_co_i32 s41, s41, 2
	s_add_co_i32 s9, s9, 2
	ds_load_b32 v8, v8
	ds_load_b32 v9, v9
	s_mov_b32 s8, s35
	s_cmp_lg_u32 s42, 0
	s_mov_b32 s43, s37
	s_wait_dscnt 0x0
	global_store_b64 v[6:7], v[8:9], off
	s_wait_xcnt 0x0
	v_add_nc_u64_e32 v[6:7], 8, v[6:7]
	s_cbranch_scc1 .LBB45_93
; %bb.94:                               ;   in Loop: Header=BB45_3 Depth=1
	s_and_b32 vcc_lo, exec_lo, s43
	s_cbranch_vccz .LBB45_2
	s_branch .LBB45_96
.LBB45_95:                              ;   in Loop: Header=BB45_3 Depth=1
	s_mov_b32 s8, 0
	s_cbranch_execz .LBB45_2
.LBB45_96:                              ;   in Loop: Header=BB45_3 Depth=1
	s_mov_b32 s9, s3
	v_lshl_add_u32 v8, s8, 8, v15
	s_mul_u64 s[42:43], s[16:17], s[8:9]
	s_delay_alu instid0(SALU_CYCLE_1) | instskip(NEXT) | instid1(SALU_CYCLE_1)
	s_add_nc_u64 s[6:7], s[42:43], s[6:7]
	v_add_nc_u64_e32 v[6:7], s[6:7], v[4:5]
	s_sub_co_i32 s6, s20, s8
.LBB45_97:                              ;   Parent Loop BB45_3 Depth=1
                                        ; =>  This Inner Loop Header: Depth=2
	ds_load_b32 v9, v8
	v_add_nc_u32_e32 v8, 0x100, v8
	s_add_co_i32 s6, s6, -1
	s_delay_alu instid0(SALU_CYCLE_1)
	s_cmp_lg_u32 s6, 0
	s_wait_dscnt 0x0
	global_store_b32 v[6:7], v9, off
	s_wait_xcnt 0x0
	v_add_nc_u64_e32 v[6:7], s[16:17], v[6:7]
	s_cbranch_scc1 .LBB45_97
	s_branch .LBB45_2
.LBB45_98:
	s_endpgm
	.section	.rodata,"a",@progbits
	.p2align	6, 0x0
	.amdhsa_kernel _ZL31rocblas_trsm_small_right_deviceIffPKfPfLi64EEv13rocblas_fill_18rocblas_operation_17rocblas_diagonal_iiT0_T1_lilT2_lili
		.amdhsa_group_segment_fixed_size 32768
		.amdhsa_private_segment_fixed_size 0
		.amdhsa_kernarg_size 352
		.amdhsa_user_sgpr_count 2
		.amdhsa_user_sgpr_dispatch_ptr 0
		.amdhsa_user_sgpr_queue_ptr 0
		.amdhsa_user_sgpr_kernarg_segment_ptr 1
		.amdhsa_user_sgpr_dispatch_id 0
		.amdhsa_user_sgpr_kernarg_preload_length 0
		.amdhsa_user_sgpr_kernarg_preload_offset 0
		.amdhsa_user_sgpr_private_segment_size 0
		.amdhsa_wavefront_size32 1
		.amdhsa_uses_dynamic_stack 0
		.amdhsa_enable_private_segment 0
		.amdhsa_system_sgpr_workgroup_id_x 1
		.amdhsa_system_sgpr_workgroup_id_y 0
		.amdhsa_system_sgpr_workgroup_id_z 1
		.amdhsa_system_sgpr_workgroup_info 0
		.amdhsa_system_vgpr_workitem_id 0
		.amdhsa_next_free_vgpr 161
		.amdhsa_next_free_sgpr 47
		.amdhsa_named_barrier_count 0
		.amdhsa_reserve_vcc 1
		.amdhsa_float_round_mode_32 0
		.amdhsa_float_round_mode_16_64 0
		.amdhsa_float_denorm_mode_32 3
		.amdhsa_float_denorm_mode_16_64 3
		.amdhsa_fp16_overflow 0
		.amdhsa_memory_ordered 1
		.amdhsa_forward_progress 1
		.amdhsa_inst_pref_size 53
		.amdhsa_round_robin_scheduling 0
		.amdhsa_exception_fp_ieee_invalid_op 0
		.amdhsa_exception_fp_denorm_src 0
		.amdhsa_exception_fp_ieee_div_zero 0
		.amdhsa_exception_fp_ieee_overflow 0
		.amdhsa_exception_fp_ieee_underflow 0
		.amdhsa_exception_fp_ieee_inexact 0
		.amdhsa_exception_int_div_zero 0
	.end_amdhsa_kernel
	.section	.text._ZL31rocblas_trsm_small_right_deviceIffPKfPfLi64EEv13rocblas_fill_18rocblas_operation_17rocblas_diagonal_iiT0_T1_lilT2_lili,"axG",@progbits,_ZL31rocblas_trsm_small_right_deviceIffPKfPfLi64EEv13rocblas_fill_18rocblas_operation_17rocblas_diagonal_iiT0_T1_lilT2_lili,comdat
.Lfunc_end45:
	.size	_ZL31rocblas_trsm_small_right_deviceIffPKfPfLi64EEv13rocblas_fill_18rocblas_operation_17rocblas_diagonal_iiT0_T1_lilT2_lili, .Lfunc_end45-_ZL31rocblas_trsm_small_right_deviceIffPKfPfLi64EEv13rocblas_fill_18rocblas_operation_17rocblas_diagonal_iiT0_T1_lilT2_lili
                                        ; -- End function
	.set _ZL31rocblas_trsm_small_right_deviceIffPKfPfLi64EEv13rocblas_fill_18rocblas_operation_17rocblas_diagonal_iiT0_T1_lilT2_lili.num_vgpr, 32
	.set _ZL31rocblas_trsm_small_right_deviceIffPKfPfLi64EEv13rocblas_fill_18rocblas_operation_17rocblas_diagonal_iiT0_T1_lilT2_lili.num_agpr, 0
	.set _ZL31rocblas_trsm_small_right_deviceIffPKfPfLi64EEv13rocblas_fill_18rocblas_operation_17rocblas_diagonal_iiT0_T1_lilT2_lili.numbered_sgpr, 47
	.set _ZL31rocblas_trsm_small_right_deviceIffPKfPfLi64EEv13rocblas_fill_18rocblas_operation_17rocblas_diagonal_iiT0_T1_lilT2_lili.num_named_barrier, 0
	.set _ZL31rocblas_trsm_small_right_deviceIffPKfPfLi64EEv13rocblas_fill_18rocblas_operation_17rocblas_diagonal_iiT0_T1_lilT2_lili.private_seg_size, 0
	.set _ZL31rocblas_trsm_small_right_deviceIffPKfPfLi64EEv13rocblas_fill_18rocblas_operation_17rocblas_diagonal_iiT0_T1_lilT2_lili.uses_vcc, 1
	.set _ZL31rocblas_trsm_small_right_deviceIffPKfPfLi64EEv13rocblas_fill_18rocblas_operation_17rocblas_diagonal_iiT0_T1_lilT2_lili.uses_flat_scratch, 0
	.set _ZL31rocblas_trsm_small_right_deviceIffPKfPfLi64EEv13rocblas_fill_18rocblas_operation_17rocblas_diagonal_iiT0_T1_lilT2_lili.has_dyn_sized_stack, 0
	.set _ZL31rocblas_trsm_small_right_deviceIffPKfPfLi64EEv13rocblas_fill_18rocblas_operation_17rocblas_diagonal_iiT0_T1_lilT2_lili.has_recursion, 0
	.set _ZL31rocblas_trsm_small_right_deviceIffPKfPfLi64EEv13rocblas_fill_18rocblas_operation_17rocblas_diagonal_iiT0_T1_lilT2_lili.has_indirect_call, 0
	.section	.AMDGPU.csdata,"",@progbits
; Kernel info:
; codeLenInByte = 6708
; TotalNumSgprs: 49
; NumVgprs: 32
; ScratchSize: 0
; MemoryBound: 0
; FloatMode: 240
; IeeeMode: 1
; LDSByteSize: 32768 bytes/workgroup (compile time only)
; SGPRBlocks: 0
; VGPRBlocks: 10
; NumSGPRsForWavesPerEU: 49
; NumVGPRsForWavesPerEU: 161
; NamedBarCnt: 0
; Occupancy: 5
; WaveLimiterHint : 0
; COMPUTE_PGM_RSRC2:SCRATCH_EN: 0
; COMPUTE_PGM_RSRC2:USER_SGPR: 2
; COMPUTE_PGM_RSRC2:TRAP_HANDLER: 0
; COMPUTE_PGM_RSRC2:TGID_X_EN: 1
; COMPUTE_PGM_RSRC2:TGID_Y_EN: 0
; COMPUTE_PGM_RSRC2:TGID_Z_EN: 1
; COMPUTE_PGM_RSRC2:TIDIG_COMP_CNT: 0
	.section	.text._ZL39rocblas_trsm_block_forward_substitutionIffPKfPfLb0ELb0ELb0EEv18rocblas_operation_llT0_T1_lllT2_lllib,"axG",@progbits,_ZL39rocblas_trsm_block_forward_substitutionIffPKfPfLb0ELb0ELb0EEv18rocblas_operation_llT0_T1_lllT2_lllib,comdat
	.globl	_ZL39rocblas_trsm_block_forward_substitutionIffPKfPfLb0ELb0ELb0EEv18rocblas_operation_llT0_T1_lllT2_lllib ; -- Begin function _ZL39rocblas_trsm_block_forward_substitutionIffPKfPfLb0ELb0ELb0EEv18rocblas_operation_llT0_T1_lllT2_lllib
	.p2align	8
	.type	_ZL39rocblas_trsm_block_forward_substitutionIffPKfPfLb0ELb0ELb0EEv18rocblas_operation_llT0_T1_lllT2_lllib,@function
_ZL39rocblas_trsm_block_forward_substitutionIffPKfPfLb0ELb0ELb0EEv18rocblas_operation_llT0_T1_lllT2_lllib: ; @_ZL39rocblas_trsm_block_forward_substitutionIffPKfPfLb0ELb0ELb0EEv18rocblas_operation_llT0_T1_lllT2_lllib
; %bb.0:
	s_load_b64 s[24:25], s[0:1], 0x60
	s_bfe_u32 s2, ttmp6, 0x40014
	s_lshr_b32 s4, ttmp7, 16
	s_add_co_i32 s2, s2, 1
	s_bfe_u32 s5, ttmp6, 0x40008
	s_mul_i32 s2, s4, s2
	s_getreg_b32 s3, hwreg(HW_REG_IB_STS2, 6, 4)
	s_add_co_i32 s5, s5, s2
	s_cmp_eq_u32 s3, 0
	s_mov_b32 s27, 0
	s_cselect_b32 s26, s4, s5
	s_wait_kmcnt 0x0
	s_cmp_ge_u32 s26, s24
	s_cbranch_scc1 .LBB46_27
; %bb.1:
	s_clause 0x1
	s_load_b512 s[4:19], s[0:1], 0x20
	s_load_u16 s30, s[0:1], 0x76
	s_bitcmp1_b32 s25, 0
	v_bfe_u32 v12, v0, 10, 10
	s_cselect_b32 s2, -1, 0
	s_bfe_u32 s20, ttmp6, 0x40010
	s_and_b32 s21, ttmp7, 0xffff
	s_add_co_i32 s20, s20, 1
	s_bfe_u32 s22, ttmp6, 0x40004
	s_mul_i32 s20, s21, s20
	v_and_b32_e32 v0, 0x3ff, v0
	s_add_co_i32 s22, s22, s20
	v_mov_b32_e32 v3, 0
	v_lshl_add_u32 v13, v12, 2, 0
	s_mov_b64 s[28:29], src_shared_base
	s_load_b32 s25, s[0:1], 0x18
	s_wait_kmcnt 0x0
	s_lshl_b64 s[34:35], s[6:7], 2
	s_lshl_b64 s[36:37], s[14:15], 2
	s_cmp_eq_u32 s3, 0
	s_add_nc_u64 s[12:13], s[12:13], s[36:37]
	s_cselect_b32 s3, s21, s22
	s_load_b128 s[20:23], s[0:1], 0x8
	v_mad_u32 v2, s3, s30, v12
	s_add_nc_u64 s[6:7], s[0:1], 0x68
	s_wait_xcnt 0x0
	s_lshl_b32 s0, s30, 2
	s_add_nc_u64 s[4:5], s[4:5], s[34:35]
	s_delay_alu instid0(VALU_DEP_1)
	v_mul_u64_e32 v[4:5], s[16:17], v[2:3]
	s_wait_kmcnt 0x0
	v_cmp_gt_i64_e64 s3, s[22:23], v[2:3]
	v_dual_mov_b32 v1, v3 :: v_dual_lshlrev_b32 v2, 2, v0
	s_add_nc_u64 s[14:15], s[20:21], -1
	v_cmp_gt_i64_e64 s31, s[20:21], 0
	v_cmp_gt_i64_e64 s33, s[20:21], 1
	s_delay_alu instid0(VALU_DEP_3)
	v_cmp_le_i64_e32 vcc_lo, s[20:21], v[0:1]
	v_cmp_gt_i64_e64 s1, s[20:21], v[0:1]
	s_and_b32 s1, s3, s1
	s_xor_b32 s3, vcc_lo, -1
	v_lshl_add_u64 v[4:5], v[4:5], 2, s[12:13]
	s_add_co_i32 s12, s0, 0
	v_cmp_eq_u64_e64 s0, s[14:15], v[0:1]
	v_lshl_add_u32 v14, v0, 2, s12
	s_mov_b32 s13, s29
	v_lshl_add_u64 v[4:5], v[0:1], 2, v[4:5]
	s_branch .LBB46_4
.LBB46_2:                               ;   in Loop: Header=BB46_4 Depth=1
	s_or_b32 exec_lo, exec_lo, s22
	global_store_b32 v[6:7], v15, off
.LBB46_3:                               ;   in Loop: Header=BB46_4 Depth=1
	s_wait_xcnt 0x0
	s_or_b32 exec_lo, exec_lo, s34
	s_add_co_i32 s26, s26, 0x10000
	s_delay_alu instid0(SALU_CYCLE_1)
	s_cmp_lt_u32 s26, s24
	s_cbranch_scc0 .LBB46_27
.LBB46_4:                               ; =>This Loop Header: Depth=1
                                        ;     Child Loop BB46_9 Depth 2
                                        ;     Child Loop BB46_21 Depth 2
	s_mul_u64 s[16:17], s[10:11], s[26:27]
	s_and_not1_b32 vcc_lo, exec_lo, s2
	s_lshl_b64 s[16:17], s[16:17], 2
	s_delay_alu instid0(SALU_CYCLE_1)
	s_add_nc_u64 s[16:17], s[4:5], s[16:17]
	s_cbranch_vccz .LBB46_6
; %bb.5:                                ;   in Loop: Header=BB46_4 Depth=1
	s_and_saveexec_b32 s34, s1
	s_cbranch_execz .LBB46_3
	s_branch .LBB46_18
.LBB46_6:                               ;   in Loop: Header=BB46_4 Depth=1
	s_and_not1_b32 vcc_lo, exec_lo, s31
	s_cbranch_vccnz .LBB46_17
; %bb.7:                                ;   in Loop: Header=BB46_4 Depth=1
	v_mul_u64_e32 v[8:9], s[8:9], v[0:1]
	v_add_nc_u64_e32 v[6:7], s[16:17], v[2:3]
	v_mov_b32_e32 v10, v12
	s_mov_b32 s16, s30
	s_delay_alu instid0(VALU_DEP_2)
	v_lshl_add_u64 v[8:9], v[8:9], 2, v[6:7]
	s_branch .LBB46_9
.LBB46_8:                               ;   in Loop: Header=BB46_9 Depth=2
	s_or_b32 exec_lo, exec_lo, s22
	s_ashr_i32 s17, s16, 31
	v_add_nc_u32_e32 v10, s30, v10
	v_cmp_le_i64_e64 s17, s[20:21], s[16:17]
	s_add_co_i32 s16, s16, s30
	s_and_b32 vcc_lo, exec_lo, s17
	s_cbranch_vccnz .LBB46_17
.LBB46_9:                               ;   Parent Loop BB46_4 Depth=1
                                        ; =>  This Inner Loop Header: Depth=2
	s_delay_alu instid0(VALU_DEP_2) | instskip(SKIP_2) | instid1(SALU_CYCLE_1)
	v_cmp_gt_i32_e32 vcc_lo, v0, v10
	s_mov_b32 s17, 0
                                        ; implicit-def: $vgpr11
	s_and_b32 s22, s3, vcc_lo
	s_and_saveexec_b32 s23, s22
	s_delay_alu instid0(SALU_CYCLE_1)
	s_xor_b32 s22, exec_lo, s23
	s_cbranch_execnz .LBB46_12
; %bb.10:                               ;   in Loop: Header=BB46_9 Depth=2
	s_or_saveexec_b32 s22, s22
	v_mov_b32_e32 v15, v10
	s_xor_b32 exec_lo, exec_lo, s22
	s_cbranch_execnz .LBB46_13
.LBB46_11:                              ;   in Loop: Header=BB46_9 Depth=2
	s_or_b32 exec_lo, exec_lo, s22
	s_and_saveexec_b32 s22, s17
	s_cbranch_execz .LBB46_8
	s_branch .LBB46_16
.LBB46_12:                              ;   in Loop: Header=BB46_9 Depth=2
	s_wait_loadcnt 0x0
	v_ashrrev_i32_e32 v11, 31, v10
	s_mov_b32 s17, exec_lo
	s_delay_alu instid0(VALU_DEP_1) | instskip(NEXT) | instid1(VALU_DEP_1)
	v_mul_u64_e32 v[16:17], s[8:9], v[10:11]
	v_lshl_add_u64 v[16:17], v[16:17], 2, v[6:7]
	global_load_b32 v11, v[16:17], off
	s_wait_xcnt 0x0
	s_or_saveexec_b32 s22, s22
	v_mov_b32_e32 v15, v10
	s_xor_b32 exec_lo, exec_lo, s22
	s_cbranch_execz .LBB46_11
.LBB46_13:                              ;   in Loop: Header=BB46_9 Depth=2
	v_cmp_eq_u32_e32 vcc_lo, v0, v10
	s_mov_b32 s28, s17
                                        ; implicit-def: $vgpr11
	s_and_b32 s29, s3, vcc_lo
	s_delay_alu instid0(SALU_CYCLE_1)
	s_and_saveexec_b32 s23, s29
	s_cbranch_execz .LBB46_15
; %bb.14:                               ;   in Loop: Header=BB46_9 Depth=2
	s_wait_loadcnt 0x0
	global_load_b32 v11, v[8:9], off
	s_or_b32 s28, s17, exec_lo
	s_wait_loadcnt 0x0
	v_div_scale_f32 v15, null, v11, v11, 1.0
	s_delay_alu instid0(VALU_DEP_1) | instskip(SKIP_1) | instid1(TRANS32_DEP_1)
	v_rcp_f32_e32 v16, v15
	v_nop
	v_fma_f32 v17, -v15, v16, 1.0
	s_delay_alu instid0(VALU_DEP_1) | instskip(SKIP_1) | instid1(VALU_DEP_1)
	v_fmac_f32_e32 v16, v17, v16
	v_div_scale_f32 v17, vcc_lo, 1.0, v11, 1.0
	v_mul_f32_e32 v18, v17, v16
	s_delay_alu instid0(VALU_DEP_1) | instskip(NEXT) | instid1(VALU_DEP_1)
	v_fma_f32 v19, -v15, v18, v17
	v_fmac_f32_e32 v18, v19, v16
	s_delay_alu instid0(VALU_DEP_1) | instskip(NEXT) | instid1(VALU_DEP_1)
	v_fma_f32 v15, -v15, v18, v17
	v_div_fmas_f32 v15, v15, v16, v18
	s_delay_alu instid0(VALU_DEP_1)
	v_div_fixup_f32 v11, v15, v11, 1.0
.LBB46_15:                              ;   in Loop: Header=BB46_9 Depth=2
	s_wait_xcnt 0x0
	s_or_b32 exec_lo, exec_lo, s23
	v_mov_b32_e32 v15, v0
	s_and_not1_b32 s17, s17, exec_lo
	s_and_b32 s23, s28, exec_lo
	s_delay_alu instid0(SALU_CYCLE_1)
	s_or_b32 s17, s17, s23
	s_or_b32 exec_lo, exec_lo, s22
	s_and_saveexec_b32 s22, s17
	s_cbranch_execz .LBB46_8
.LBB46_16:                              ;   in Loop: Header=BB46_9 Depth=2
	s_load_b32 s17, s[6:7], 0xc
	s_wait_kmcnt 0x0
	s_and_b32 s17, s17, 0xffff
	s_delay_alu instid0(SALU_CYCLE_1) | instskip(NEXT) | instid1(VALU_DEP_1)
	v_mul_lo_u32 v15, v15, s17
	v_lshl_add_u32 v15, v15, 2, v14
	s_wait_loadcnt 0x0
	ds_store_b32 v15, v11
	s_branch .LBB46_8
.LBB46_17:                              ;   in Loop: Header=BB46_4 Depth=1
	s_load_b32 s8, s[6:7], 0xc
	s_mov_b32 s9, s27
	s_mov_b64 s[16:17], s[12:13]
	s_wait_kmcnt 0x0
	s_and_b32 s8, s8, 0xffff
	s_and_saveexec_b32 s34, s1
	s_cbranch_execz .LBB46_3
.LBB46_18:                              ;   in Loop: Header=BB46_4 Depth=1
	s_mul_u64 s[22:23], s[18:19], s[26:27]
	s_and_not1_b32 vcc_lo, exec_lo, s33
	v_lshl_add_u64 v[6:7], s[22:23], 2, v[4:5]
	global_load_b32 v8, v[6:7], off
	s_wait_loadcnt 0x0
	v_mul_f32_e32 v15, s25, v8
	s_cbranch_vccnz .LBB46_25
; %bb.19:                               ;   in Loop: Header=BB46_4 Depth=1
	v_mad_nc_u64_u32 v[10:11], v0, s8, v[0:1]
	v_add_nc_u64_e32 v[8:9], s[16:17], v[2:3]
	s_lshl_b64 s[22:23], s[8:9], 2
	s_mov_b64 s[28:29], 0
	s_delay_alu instid0(VALU_DEP_2) | instskip(NEXT) | instid1(VALU_DEP_1)
	v_mad_u32 v11, v0, s9, v11
	v_lshl_add_u64 v[10:11], v[10:11], 2, s[16:17]
	s_branch .LBB46_21
.LBB46_20:                              ;   in Loop: Header=BB46_21 Depth=2
	s_wait_xcnt 0x0
	s_or_b32 exec_lo, exec_lo, s35
	v_add_nc_u64_e32 v[8:9], s[22:23], v[8:9]
	s_add_nc_u64 s[28:29], s[28:29], 1
	s_delay_alu instid0(SALU_CYCLE_1)
	s_cmp_eq_u64 s[14:15], s[28:29]
	s_cbranch_scc1 .LBB46_25
.LBB46_21:                              ;   Parent Loop BB46_4 Depth=1
                                        ; =>  This Inner Loop Header: Depth=2
	s_mov_b32 s35, exec_lo
	s_wait_dscnt 0x0
	s_barrier_signal -1
	s_barrier_wait -1
	s_wait_xcnt 0x0
	v_cmpx_eq_u64_e64 s[28:29], v[0:1]
	s_cbranch_execz .LBB46_23
; %bb.22:                               ;   in Loop: Header=BB46_21 Depth=2
	flat_load_b32 v16, v[10:11]
	s_wait_loadcnt_dscnt 0x0
	v_div_scale_f32 v17, null, v16, v16, 1.0
	s_delay_alu instid0(VALU_DEP_1) | instskip(SKIP_1) | instid1(TRANS32_DEP_1)
	v_rcp_f32_e32 v18, v17
	v_nop
	v_fma_f32 v19, -v17, v18, 1.0
	s_delay_alu instid0(VALU_DEP_1) | instskip(SKIP_1) | instid1(VALU_DEP_1)
	v_fmac_f32_e32 v18, v19, v18
	v_div_scale_f32 v19, vcc_lo, 1.0, v16, 1.0
	v_mul_f32_e32 v20, v19, v18
	s_delay_alu instid0(VALU_DEP_1) | instskip(NEXT) | instid1(VALU_DEP_1)
	v_fma_f32 v21, -v17, v20, v19
	v_fmac_f32_e32 v20, v21, v18
	s_delay_alu instid0(VALU_DEP_1) | instskip(NEXT) | instid1(VALU_DEP_1)
	v_fma_f32 v17, -v17, v20, v19
	v_div_fmas_f32 v17, v17, v18, v20
	s_delay_alu instid0(VALU_DEP_1) | instskip(NEXT) | instid1(VALU_DEP_1)
	v_div_fixup_f32 v17, v17, v16, 1.0
	v_cndmask_b32_e64 v16, v17, v16, s2
	s_delay_alu instid0(VALU_DEP_1)
	v_mul_f32_e32 v15, v15, v16
	ds_store_b32 v13, v15
.LBB46_23:                              ;   in Loop: Header=BB46_21 Depth=2
	s_wait_xcnt 0x0
	s_or_b32 exec_lo, exec_lo, s35
	s_delay_alu instid0(SALU_CYCLE_1)
	s_mov_b32 s35, exec_lo
	s_wait_dscnt 0x0
	s_barrier_signal -1
	s_barrier_wait -1
	v_cmpx_lt_u64_e64 s[28:29], v[0:1]
	s_cbranch_execz .LBB46_20
; %bb.24:                               ;   in Loop: Header=BB46_21 Depth=2
	flat_load_b32 v16, v[8:9]
	ds_load_b32 v17, v13
	s_wait_loadcnt_dscnt 0x0
	v_fma_f32 v15, -v16, v17, v15
	s_branch .LBB46_20
.LBB46_25:                              ;   in Loop: Header=BB46_4 Depth=1
	s_wait_xcnt 0x0
	s_and_saveexec_b32 s22, s0
	s_cbranch_execz .LBB46_2
; %bb.26:                               ;   in Loop: Header=BB46_4 Depth=1
	v_mad_nc_u64_u32 v[8:9], v0, s8, v[0:1]
	s_delay_alu instid0(VALU_DEP_1) | instskip(NEXT) | instid1(VALU_DEP_1)
	v_mad_u32 v9, v0, s9, v9
	v_lshl_add_u64 v[8:9], v[8:9], 2, s[16:17]
	flat_load_b32 v8, v[8:9]
	s_wait_loadcnt_dscnt 0x0
	s_wait_xcnt 0x0
	v_div_scale_f32 v9, null, v8, v8, 1.0
	s_delay_alu instid0(VALU_DEP_1) | instskip(SKIP_1) | instid1(TRANS32_DEP_1)
	v_rcp_f32_e32 v10, v9
	v_nop
	v_fma_f32 v11, -v9, v10, 1.0
	s_delay_alu instid0(VALU_DEP_1) | instskip(SKIP_1) | instid1(VALU_DEP_1)
	v_fmac_f32_e32 v10, v11, v10
	v_div_scale_f32 v11, vcc_lo, 1.0, v8, 1.0
	v_mul_f32_e32 v16, v11, v10
	s_delay_alu instid0(VALU_DEP_1) | instskip(NEXT) | instid1(VALU_DEP_1)
	v_fma_f32 v17, -v9, v16, v11
	v_fmac_f32_e32 v16, v17, v10
	s_delay_alu instid0(VALU_DEP_1) | instskip(NEXT) | instid1(VALU_DEP_1)
	v_fma_f32 v9, -v9, v16, v11
	v_div_fmas_f32 v9, v9, v10, v16
	s_delay_alu instid0(VALU_DEP_1) | instskip(NEXT) | instid1(VALU_DEP_1)
	v_div_fixup_f32 v9, v9, v8, 1.0
	v_cndmask_b32_e64 v8, v9, v8, s2
	s_delay_alu instid0(VALU_DEP_1)
	v_mul_f32_e32 v15, v15, v8
	s_branch .LBB46_2
.LBB46_27:
	s_endpgm
	.section	.rodata,"a",@progbits
	.p2align	6, 0x0
	.amdhsa_kernel _ZL39rocblas_trsm_block_forward_substitutionIffPKfPfLb0ELb0ELb0EEv18rocblas_operation_llT0_T1_lllT2_lllib
		.amdhsa_group_segment_fixed_size 0
		.amdhsa_private_segment_fixed_size 0
		.amdhsa_kernarg_size 360
		.amdhsa_user_sgpr_count 2
		.amdhsa_user_sgpr_dispatch_ptr 0
		.amdhsa_user_sgpr_queue_ptr 0
		.amdhsa_user_sgpr_kernarg_segment_ptr 1
		.amdhsa_user_sgpr_dispatch_id 0
		.amdhsa_user_sgpr_kernarg_preload_length 0
		.amdhsa_user_sgpr_kernarg_preload_offset 0
		.amdhsa_user_sgpr_private_segment_size 0
		.amdhsa_wavefront_size32 1
		.amdhsa_uses_dynamic_stack 0
		.amdhsa_enable_private_segment 0
		.amdhsa_system_sgpr_workgroup_id_x 1
		.amdhsa_system_sgpr_workgroup_id_y 1
		.amdhsa_system_sgpr_workgroup_id_z 1
		.amdhsa_system_sgpr_workgroup_info 0
		.amdhsa_system_vgpr_workitem_id 1
		.amdhsa_next_free_vgpr 22
		.amdhsa_next_free_sgpr 38
		.amdhsa_named_barrier_count 0
		.amdhsa_reserve_vcc 1
		.amdhsa_float_round_mode_32 0
		.amdhsa_float_round_mode_16_64 0
		.amdhsa_float_denorm_mode_32 3
		.amdhsa_float_denorm_mode_16_64 3
		.amdhsa_fp16_overflow 0
		.amdhsa_memory_ordered 1
		.amdhsa_forward_progress 1
		.amdhsa_inst_pref_size 12
		.amdhsa_round_robin_scheduling 0
		.amdhsa_exception_fp_ieee_invalid_op 0
		.amdhsa_exception_fp_denorm_src 0
		.amdhsa_exception_fp_ieee_div_zero 0
		.amdhsa_exception_fp_ieee_overflow 0
		.amdhsa_exception_fp_ieee_underflow 0
		.amdhsa_exception_fp_ieee_inexact 0
		.amdhsa_exception_int_div_zero 0
	.end_amdhsa_kernel
	.section	.text._ZL39rocblas_trsm_block_forward_substitutionIffPKfPfLb0ELb0ELb0EEv18rocblas_operation_llT0_T1_lllT2_lllib,"axG",@progbits,_ZL39rocblas_trsm_block_forward_substitutionIffPKfPfLb0ELb0ELb0EEv18rocblas_operation_llT0_T1_lllT2_lllib,comdat
.Lfunc_end46:
	.size	_ZL39rocblas_trsm_block_forward_substitutionIffPKfPfLb0ELb0ELb0EEv18rocblas_operation_llT0_T1_lllT2_lllib, .Lfunc_end46-_ZL39rocblas_trsm_block_forward_substitutionIffPKfPfLb0ELb0ELb0EEv18rocblas_operation_llT0_T1_lllT2_lllib
                                        ; -- End function
	.set _ZL39rocblas_trsm_block_forward_substitutionIffPKfPfLb0ELb0ELb0EEv18rocblas_operation_llT0_T1_lllT2_lllib.num_vgpr, 22
	.set _ZL39rocblas_trsm_block_forward_substitutionIffPKfPfLb0ELb0ELb0EEv18rocblas_operation_llT0_T1_lllT2_lllib.num_agpr, 0
	.set _ZL39rocblas_trsm_block_forward_substitutionIffPKfPfLb0ELb0ELb0EEv18rocblas_operation_llT0_T1_lllT2_lllib.numbered_sgpr, 38
	.set _ZL39rocblas_trsm_block_forward_substitutionIffPKfPfLb0ELb0ELb0EEv18rocblas_operation_llT0_T1_lllT2_lllib.num_named_barrier, 0
	.set _ZL39rocblas_trsm_block_forward_substitutionIffPKfPfLb0ELb0ELb0EEv18rocblas_operation_llT0_T1_lllT2_lllib.private_seg_size, 0
	.set _ZL39rocblas_trsm_block_forward_substitutionIffPKfPfLb0ELb0ELb0EEv18rocblas_operation_llT0_T1_lllT2_lllib.uses_vcc, 1
	.set _ZL39rocblas_trsm_block_forward_substitutionIffPKfPfLb0ELb0ELb0EEv18rocblas_operation_llT0_T1_lllT2_lllib.uses_flat_scratch, 0
	.set _ZL39rocblas_trsm_block_forward_substitutionIffPKfPfLb0ELb0ELb0EEv18rocblas_operation_llT0_T1_lllT2_lllib.has_dyn_sized_stack, 0
	.set _ZL39rocblas_trsm_block_forward_substitutionIffPKfPfLb0ELb0ELb0EEv18rocblas_operation_llT0_T1_lllT2_lllib.has_recursion, 0
	.set _ZL39rocblas_trsm_block_forward_substitutionIffPKfPfLb0ELb0ELb0EEv18rocblas_operation_llT0_T1_lllT2_lllib.has_indirect_call, 0
	.section	.AMDGPU.csdata,"",@progbits
; Kernel info:
; codeLenInByte = 1436
; TotalNumSgprs: 40
; NumVgprs: 22
; ScratchSize: 0
; MemoryBound: 0
; FloatMode: 240
; IeeeMode: 1
; LDSByteSize: 0 bytes/workgroup (compile time only)
; SGPRBlocks: 0
; VGPRBlocks: 1
; NumSGPRsForWavesPerEU: 40
; NumVGPRsForWavesPerEU: 22
; NamedBarCnt: 0
; Occupancy: 16
; WaveLimiterHint : 0
; COMPUTE_PGM_RSRC2:SCRATCH_EN: 0
; COMPUTE_PGM_RSRC2:USER_SGPR: 2
; COMPUTE_PGM_RSRC2:TRAP_HANDLER: 0
; COMPUTE_PGM_RSRC2:TGID_X_EN: 1
; COMPUTE_PGM_RSRC2:TGID_Y_EN: 1
; COMPUTE_PGM_RSRC2:TGID_Z_EN: 1
; COMPUTE_PGM_RSRC2:TIDIG_COMP_CNT: 1
	.section	.text._ZL40rocblas_trsm_block_backward_substitutionIffPKfPfLb0ELb0ELb0EEv18rocblas_operation_llT0_T1_lllT2_lllib,"axG",@progbits,_ZL40rocblas_trsm_block_backward_substitutionIffPKfPfLb0ELb0ELb0EEv18rocblas_operation_llT0_T1_lllT2_lllib,comdat
	.globl	_ZL40rocblas_trsm_block_backward_substitutionIffPKfPfLb0ELb0ELb0EEv18rocblas_operation_llT0_T1_lllT2_lllib ; -- Begin function _ZL40rocblas_trsm_block_backward_substitutionIffPKfPfLb0ELb0ELb0EEv18rocblas_operation_llT0_T1_lllT2_lllib
	.p2align	8
	.type	_ZL40rocblas_trsm_block_backward_substitutionIffPKfPfLb0ELb0ELb0EEv18rocblas_operation_llT0_T1_lllT2_lllib,@function
_ZL40rocblas_trsm_block_backward_substitutionIffPKfPfLb0ELb0ELb0EEv18rocblas_operation_llT0_T1_lllT2_lllib: ; @_ZL40rocblas_trsm_block_backward_substitutionIffPKfPfLb0ELb0ELb0EEv18rocblas_operation_llT0_T1_lllT2_lllib
; %bb.0:
	s_load_b64 s[24:25], s[0:1], 0x60
	s_bfe_u32 s2, ttmp6, 0x40014
	s_lshr_b32 s3, ttmp7, 16
	s_add_co_i32 s2, s2, 1
	s_bfe_u32 s5, ttmp6, 0x40008
	s_mul_i32 s4, s3, s2
	s_getreg_b32 s2, hwreg(HW_REG_IB_STS2, 6, 4)
	s_add_co_i32 s5, s5, s4
	s_cmp_eq_u32 s2, 0
	s_mov_b32 s27, 0
	s_cselect_b32 s26, s3, s5
	s_wait_kmcnt 0x0
	s_cmp_ge_u32 s26, s24
	s_cbranch_scc1 .LBB47_29
; %bb.1:
	s_clause 0x1
	s_load_b512 s[4:19], s[0:1], 0x20
	s_load_u16 s33, s[0:1], 0x76
	v_and_b32_e32 v2, 0x3ff, v0
	v_mov_b32_e32 v1, 0
	s_bitcmp1_b32 s25, 0
	s_clause 0x1
	s_load_b128 s[20:23], s[0:1], 0x8
	s_load_b32 s38, s[0:1], 0x18
	v_bfe_u32 v7, v0, 10, 10
	v_dual_mov_b32 v3, v1 :: v_dual_lshlrev_b32 v6, 2, v2
	s_mov_b64 s[28:29], src_shared_base
	s_delay_alu instid0(VALU_DEP_2) | instskip(SKIP_1) | instid1(VALU_DEP_2)
	v_lshl_add_u32 v16, v7, 2, 0
	s_wait_kmcnt 0x0
	v_mul_u64_e32 v[8:9], s[16:17], v[2:3]
	s_add_nc_u64 s[16:17], s[0:1], 0x68
	s_cselect_b32 s0, -1, 0
	s_bfe_u32 s1, ttmp6, 0x40010
	s_and_b32 s3, ttmp7, 0xffff
	s_add_co_i32 s1, s1, 1
	s_bfe_u32 s25, ttmp6, 0x40004
	s_mul_i32 s1, s3, s1
	s_lshl_b64 s[30:31], s[6:7], 2
	s_add_co_i32 s25, s25, s1
	s_lshl_b64 s[34:35], s[14:15], 2
	s_cmp_eq_u32 s2, 0
	s_add_nc_u64 s[12:13], s[12:13], s[34:35]
	s_cselect_b32 s1, s3, s25
	s_lshl_b32 s3, s33, 2
	v_mad_u32 v0, s1, s33, v7
	s_add_co_i32 s6, s3, 0
	v_cmp_gt_i64_e64 s39, s[20:21], 0
	v_add_nc_u32_e32 v17, s6, v6
	v_mul_u64_e32 v[4:5], s[8:9], v[2:3]
	v_cmp_le_i64_e64 s25, s[20:21], v[2:3]
	v_cmp_gt_i64_e64 s2, s[20:21], v[2:3]
	v_cmp_gt_i64_e64 s40, s[20:21], 1
	v_cmp_eq_u32_e64 s1, 0, v2
	s_add_nc_u64 s[14:15], s[20:21], -1
	s_mov_b32 s7, s29
	v_cmp_gt_i64_e32 vcc_lo, s[22:23], v[0:1]
	s_add_nc_u64 s[4:5], s[4:5], s[30:31]
	s_xor_b32 s42, s25, -1
	v_lshl_add_u64 v[8:9], v[8:9], 2, s[12:13]
	s_and_b32 s41, vcc_lo, s2
	s_lshl_b64 s[12:13], s[14:15], 2
	s_delay_alu instid0(VALU_DEP_1)
	v_lshl_add_u64 v[8:9], v[0:1], 2, v[8:9]
	v_lshlrev_b32_e32 v0, 2, v2
	s_branch .LBB47_4
.LBB47_2:                               ;   in Loop: Header=BB47_4 Depth=1
	s_or_b32 exec_lo, exec_lo, s34
	global_store_b32 v[10:11], v18, off
.LBB47_3:                               ;   in Loop: Header=BB47_4 Depth=1
	s_wait_xcnt 0x0
	s_or_b32 exec_lo, exec_lo, s3
	s_add_co_i32 s26, s26, 0x10000
	s_delay_alu instid0(SALU_CYCLE_1)
	s_cmp_lt_u32 s26, s24
	s_cbranch_scc0 .LBB47_29
.LBB47_4:                               ; =>This Loop Header: Depth=1
                                        ;     Child Loop BB47_8 Depth 2
                                        ;     Child Loop BB47_23 Depth 2
	s_mul_u64 s[22:23], s[10:11], s[26:27]
	s_and_not1_b32 vcc_lo, exec_lo, s0
	s_lshl_b64 s[22:23], s[22:23], 2
	s_delay_alu instid0(SALU_CYCLE_1)
	s_add_nc_u64 s[22:23], s[4:5], s[22:23]
	s_cbranch_vccnz .LBB47_18
; %bb.5:                                ;   in Loop: Header=BB47_4 Depth=1
	s_and_not1_b32 vcc_lo, exec_lo, s39
	s_cbranch_vccnz .LBB47_19
; %bb.6:                                ;   in Loop: Header=BB47_4 Depth=1
	v_lshl_add_u64 v[10:11], v[4:5], 2, s[22:23]
	v_mov_b32_e32 v14, v7
	s_mov_b32 s22, s33
	s_delay_alu instid0(VALU_DEP_2)
	v_add_nc_u64_e32 v[12:13], v[10:11], v[0:1]
	s_branch .LBB47_8
.LBB47_7:                               ;   in Loop: Header=BB47_8 Depth=2
	s_or_b32 exec_lo, exec_lo, s23
	s_ashr_i32 s23, s22, 31
	v_add_nc_u32_e32 v14, s33, v14
	v_cmp_le_i64_e64 s3, s[20:21], s[22:23]
	s_add_co_i32 s22, s22, s33
	s_and_b32 vcc_lo, exec_lo, s3
	s_cbranch_vccnz .LBB47_19
.LBB47_8:                               ;   Parent Loop BB47_4 Depth=1
                                        ; =>  This Inner Loop Header: Depth=2
	s_mov_b32 s3, 0
	s_mov_b32 s28, s25
                                        ; implicit-def: $vgpr18
	s_and_saveexec_b32 s23, s2
	s_cbranch_execnz .LBB47_11
; %bb.9:                                ;   in Loop: Header=BB47_8 Depth=2
	s_or_b32 exec_lo, exec_lo, s23
	v_mov_b32_e32 v15, v14
	s_and_saveexec_b32 s23, s28
	s_cbranch_execnz .LBB47_14
.LBB47_10:                              ;   in Loop: Header=BB47_8 Depth=2
	s_or_b32 exec_lo, exec_lo, s23
	s_and_saveexec_b32 s23, s3
	s_cbranch_execz .LBB47_7
	s_branch .LBB47_17
.LBB47_11:                              ;   in Loop: Header=BB47_8 Depth=2
	v_ashrrev_i32_e32 v15, 31, v14
	v_cmp_lt_i32_e64 s3, v2, v14
	s_mov_b32 s28, -1
                                        ; implicit-def: $vgpr18
	v_cmp_gt_i64_e32 vcc_lo, s[20:21], v[14:15]
	s_and_b32 s30, s3, vcc_lo
	s_mov_b32 s3, 0
	s_and_saveexec_b32 s29, s30
	s_cbranch_execz .LBB47_13
; %bb.12:                               ;   in Loop: Header=BB47_8 Depth=2
	s_wait_loadcnt 0x0
	v_lshl_add_u64 v[18:19], v[14:15], 2, v[10:11]
	s_mov_b32 s3, exec_lo
	s_xor_b32 s28, exec_lo, -1
	global_load_b32 v18, v[18:19], off
.LBB47_13:                              ;   in Loop: Header=BB47_8 Depth=2
	s_wait_xcnt 0x0
	s_or_b32 exec_lo, exec_lo, s29
	s_delay_alu instid0(SALU_CYCLE_1)
	s_and_not1_b32 s29, s25, exec_lo
	s_and_b32 s28, s28, exec_lo
	s_and_b32 s3, s3, exec_lo
	s_or_b32 s28, s29, s28
	s_or_b32 exec_lo, exec_lo, s23
	v_mov_b32_e32 v15, v14
	s_and_saveexec_b32 s23, s28
	s_cbranch_execz .LBB47_10
.LBB47_14:                              ;   in Loop: Header=BB47_8 Depth=2
	v_cmp_eq_u32_e32 vcc_lo, v2, v14
	s_mov_b32 s29, s3
                                        ; implicit-def: $vgpr18
	s_and_b32 s30, s42, vcc_lo
	s_delay_alu instid0(SALU_CYCLE_1)
	s_and_saveexec_b32 s28, s30
	s_cbranch_execz .LBB47_16
; %bb.15:                               ;   in Loop: Header=BB47_8 Depth=2
	global_load_b32 v15, v[12:13], off
	s_or_b32 s29, s3, exec_lo
	s_wait_loadcnt 0x0
	v_div_scale_f32 v18, null, v15, v15, 1.0
	s_delay_alu instid0(VALU_DEP_1) | instskip(SKIP_1) | instid1(TRANS32_DEP_1)
	v_rcp_f32_e32 v19, v18
	v_nop
	v_fma_f32 v20, -v18, v19, 1.0
	s_delay_alu instid0(VALU_DEP_1) | instskip(SKIP_1) | instid1(VALU_DEP_1)
	v_fmac_f32_e32 v19, v20, v19
	v_div_scale_f32 v20, vcc_lo, 1.0, v15, 1.0
	v_mul_f32_e32 v21, v20, v19
	s_delay_alu instid0(VALU_DEP_1) | instskip(NEXT) | instid1(VALU_DEP_1)
	v_fma_f32 v22, -v18, v21, v20
	v_fmac_f32_e32 v21, v22, v19
	s_delay_alu instid0(VALU_DEP_1) | instskip(NEXT) | instid1(VALU_DEP_1)
	v_fma_f32 v18, -v18, v21, v20
	v_div_fmas_f32 v18, v18, v19, v21
	s_delay_alu instid0(VALU_DEP_1)
	v_div_fixup_f32 v18, v18, v15, 1.0
.LBB47_16:                              ;   in Loop: Header=BB47_8 Depth=2
	s_wait_xcnt 0x0
	s_or_b32 exec_lo, exec_lo, s28
	v_mov_b32_e32 v15, v2
	s_and_not1_b32 s3, s3, exec_lo
	s_and_b32 s28, s29, exec_lo
	s_delay_alu instid0(SALU_CYCLE_1)
	s_or_b32 s3, s3, s28
	s_or_b32 exec_lo, exec_lo, s23
	s_and_saveexec_b32 s23, s3
	s_cbranch_execz .LBB47_7
.LBB47_17:                              ;   in Loop: Header=BB47_8 Depth=2
	s_load_b32 s3, s[16:17], 0xc
	s_wait_kmcnt 0x0
	s_and_b32 s3, s3, 0xffff
	s_delay_alu instid0(SALU_CYCLE_1) | instskip(NEXT) | instid1(VALU_DEP_1)
	v_mul_lo_u32 v15, v15, s3
	v_lshl_add_u32 v15, v15, 2, v17
	s_wait_loadcnt 0x0
	ds_store_b32 v15, v18
	s_branch .LBB47_7
.LBB47_18:                              ;   in Loop: Header=BB47_4 Depth=1
	s_mov_b64 s[28:29], 1
	s_mov_b64 s[30:31], s[8:9]
	s_and_saveexec_b32 s3, s41
	s_cbranch_execz .LBB47_3
	s_branch .LBB47_20
.LBB47_19:                              ;   in Loop: Header=BB47_4 Depth=1
	s_load_b32 s3, s[16:17], 0xc
	s_mov_b32 s29, s27
	s_mov_b64 s[30:31], 1
	s_mov_b64 s[22:23], s[6:7]
	s_wait_kmcnt 0x0
	s_and_b32 s28, s3, 0xffff
	s_and_saveexec_b32 s3, s41
	s_cbranch_execz .LBB47_3
.LBB47_20:                              ;   in Loop: Header=BB47_4 Depth=1
	s_mul_u64 s[34:35], s[18:19], s[26:27]
	s_and_not1_b32 vcc_lo, exec_lo, s40
	v_lshl_add_u64 v[10:11], s[34:35], 2, v[8:9]
	global_load_b32 v12, v[10:11], off
	s_wait_loadcnt 0x0
	v_mul_f32_e32 v18, s38, v12
	s_cbranch_vccnz .LBB47_27
; %bb.21:                               ;   in Loop: Header=BB47_4 Depth=1
	s_add_nc_u64 s[34:35], s[28:29], s[30:31]
	s_mov_b64 s[36:37], s[14:15]
	v_mul_u64_e32 v[14:15], s[34:35], v[2:3]
	s_mul_u64 s[34:35], s[12:13], s[28:29]
	s_delay_alu instid0(SALU_CYCLE_1) | instskip(NEXT) | instid1(SALU_CYCLE_1)
	s_add_nc_u64 s[34:35], s[22:23], s[34:35]
	v_mad_nc_u64_u32 v[12:13], v6, s30, s[34:35]
	s_lshl_b32 s34, s28, 2
	s_mov_b32 s35, s27
	s_delay_alu instid0(SALU_CYCLE_1) | instskip(NEXT) | instid1(VALU_DEP_1)
	s_sub_nc_u64 s[34:35], 0, s[34:35]
	v_mad_u32 v13, v6, s31, v13
	s_delay_alu instid0(VALU_DEP_3)
	v_lshl_add_u64 v[14:15], v[14:15], 2, s[22:23]
	s_branch .LBB47_23
.LBB47_22:                              ;   in Loop: Header=BB47_23 Depth=2
	s_wait_xcnt 0x0
	s_or_b32 exec_lo, exec_lo, s43
	s_add_nc_u64 s[44:45], s[36:37], 1
	v_add_nc_u64_e32 v[12:13], s[34:35], v[12:13]
	v_cmp_lt_u64_e64 s43, s[44:45], 3
	s_add_nc_u64 s[36:37], s[36:37], -1
	s_and_b32 vcc_lo, exec_lo, s43
	s_cbranch_vccnz .LBB47_27
.LBB47_23:                              ;   Parent Loop BB47_4 Depth=1
                                        ; =>  This Inner Loop Header: Depth=2
	s_mov_b32 s43, exec_lo
	s_wait_dscnt 0x0
	s_barrier_signal -1
	s_barrier_wait -1
	s_wait_xcnt 0x0
	v_cmpx_eq_u64_e64 s[36:37], v[2:3]
	s_cbranch_execz .LBB47_25
; %bb.24:                               ;   in Loop: Header=BB47_23 Depth=2
	flat_load_b32 v19, v[14:15]
	s_wait_loadcnt_dscnt 0x0
	v_div_scale_f32 v20, null, v19, v19, 1.0
	s_delay_alu instid0(VALU_DEP_1) | instskip(SKIP_1) | instid1(TRANS32_DEP_1)
	v_rcp_f32_e32 v21, v20
	v_nop
	v_fma_f32 v22, -v20, v21, 1.0
	s_delay_alu instid0(VALU_DEP_1) | instskip(SKIP_1) | instid1(VALU_DEP_1)
	v_fmac_f32_e32 v21, v22, v21
	v_div_scale_f32 v22, vcc_lo, 1.0, v19, 1.0
	v_mul_f32_e32 v23, v22, v21
	s_delay_alu instid0(VALU_DEP_1) | instskip(NEXT) | instid1(VALU_DEP_1)
	v_fma_f32 v24, -v20, v23, v22
	v_fmac_f32_e32 v23, v24, v21
	s_delay_alu instid0(VALU_DEP_1) | instskip(NEXT) | instid1(VALU_DEP_1)
	v_fma_f32 v20, -v20, v23, v22
	v_div_fmas_f32 v20, v20, v21, v23
	s_delay_alu instid0(VALU_DEP_1) | instskip(NEXT) | instid1(VALU_DEP_1)
	v_div_fixup_f32 v20, v20, v19, 1.0
	v_cndmask_b32_e64 v19, v20, v19, s0
	s_delay_alu instid0(VALU_DEP_1)
	v_mul_f32_e32 v18, v18, v19
	ds_store_b32 v16, v18
.LBB47_25:                              ;   in Loop: Header=BB47_23 Depth=2
	s_wait_xcnt 0x0
	s_or_b32 exec_lo, exec_lo, s43
	s_delay_alu instid0(SALU_CYCLE_1)
	s_mov_b32 s43, exec_lo
	s_wait_dscnt 0x0
	s_barrier_signal -1
	s_barrier_wait -1
	v_cmpx_gt_i64_e64 s[36:37], v[2:3]
	s_cbranch_execz .LBB47_22
; %bb.26:                               ;   in Loop: Header=BB47_23 Depth=2
	flat_load_b32 v19, v[12:13]
	ds_load_b32 v20, v16
	s_wait_loadcnt_dscnt 0x0
	v_fma_f32 v18, -v19, v20, v18
	s_branch .LBB47_22
.LBB47_27:                              ;   in Loop: Header=BB47_4 Depth=1
	s_wait_xcnt 0x0
	s_and_saveexec_b32 s34, s1
	s_cbranch_execz .LBB47_2
; %bb.28:                               ;   in Loop: Header=BB47_4 Depth=1
	s_add_nc_u64 s[28:29], s[28:29], s[30:31]
	s_delay_alu instid0(SALU_CYCLE_1) | instskip(NEXT) | instid1(VALU_DEP_1)
	v_mul_u64_e32 v[12:13], s[28:29], v[2:3]
	v_lshl_add_u64 v[12:13], v[12:13], 2, s[22:23]
	flat_load_b32 v12, v[12:13]
	s_wait_loadcnt_dscnt 0x0
	s_wait_xcnt 0x0
	v_div_scale_f32 v13, null, v12, v12, 1.0
	s_delay_alu instid0(VALU_DEP_1) | instskip(SKIP_1) | instid1(TRANS32_DEP_1)
	v_rcp_f32_e32 v14, v13
	v_nop
	v_fma_f32 v15, -v13, v14, 1.0
	s_delay_alu instid0(VALU_DEP_1) | instskip(SKIP_1) | instid1(VALU_DEP_1)
	v_fmac_f32_e32 v14, v15, v14
	v_div_scale_f32 v15, vcc_lo, 1.0, v12, 1.0
	v_mul_f32_e32 v19, v15, v14
	s_delay_alu instid0(VALU_DEP_1) | instskip(NEXT) | instid1(VALU_DEP_1)
	v_fma_f32 v20, -v13, v19, v15
	v_fmac_f32_e32 v19, v20, v14
	s_delay_alu instid0(VALU_DEP_1) | instskip(NEXT) | instid1(VALU_DEP_1)
	v_fma_f32 v13, -v13, v19, v15
	v_div_fmas_f32 v13, v13, v14, v19
	s_delay_alu instid0(VALU_DEP_1) | instskip(NEXT) | instid1(VALU_DEP_1)
	v_div_fixup_f32 v13, v13, v12, 1.0
	v_cndmask_b32_e64 v12, v13, v12, s0
	s_delay_alu instid0(VALU_DEP_1)
	v_mul_f32_e32 v18, v18, v12
	s_branch .LBB47_2
.LBB47_29:
	s_endpgm
	.section	.rodata,"a",@progbits
	.p2align	6, 0x0
	.amdhsa_kernel _ZL40rocblas_trsm_block_backward_substitutionIffPKfPfLb0ELb0ELb0EEv18rocblas_operation_llT0_T1_lllT2_lllib
		.amdhsa_group_segment_fixed_size 0
		.amdhsa_private_segment_fixed_size 0
		.amdhsa_kernarg_size 360
		.amdhsa_user_sgpr_count 2
		.amdhsa_user_sgpr_dispatch_ptr 0
		.amdhsa_user_sgpr_queue_ptr 0
		.amdhsa_user_sgpr_kernarg_segment_ptr 1
		.amdhsa_user_sgpr_dispatch_id 0
		.amdhsa_user_sgpr_kernarg_preload_length 0
		.amdhsa_user_sgpr_kernarg_preload_offset 0
		.amdhsa_user_sgpr_private_segment_size 0
		.amdhsa_wavefront_size32 1
		.amdhsa_uses_dynamic_stack 0
		.amdhsa_enable_private_segment 0
		.amdhsa_system_sgpr_workgroup_id_x 1
		.amdhsa_system_sgpr_workgroup_id_y 1
		.amdhsa_system_sgpr_workgroup_id_z 1
		.amdhsa_system_sgpr_workgroup_info 0
		.amdhsa_system_vgpr_workitem_id 1
		.amdhsa_next_free_vgpr 25
		.amdhsa_next_free_sgpr 46
		.amdhsa_named_barrier_count 0
		.amdhsa_reserve_vcc 1
		.amdhsa_float_round_mode_32 0
		.amdhsa_float_round_mode_16_64 0
		.amdhsa_float_denorm_mode_32 3
		.amdhsa_float_denorm_mode_16_64 3
		.amdhsa_fp16_overflow 0
		.amdhsa_memory_ordered 1
		.amdhsa_forward_progress 1
		.amdhsa_inst_pref_size 12
		.amdhsa_round_robin_scheduling 0
		.amdhsa_exception_fp_ieee_invalid_op 0
		.amdhsa_exception_fp_denorm_src 0
		.amdhsa_exception_fp_ieee_div_zero 0
		.amdhsa_exception_fp_ieee_overflow 0
		.amdhsa_exception_fp_ieee_underflow 0
		.amdhsa_exception_fp_ieee_inexact 0
		.amdhsa_exception_int_div_zero 0
	.end_amdhsa_kernel
	.section	.text._ZL40rocblas_trsm_block_backward_substitutionIffPKfPfLb0ELb0ELb0EEv18rocblas_operation_llT0_T1_lllT2_lllib,"axG",@progbits,_ZL40rocblas_trsm_block_backward_substitutionIffPKfPfLb0ELb0ELb0EEv18rocblas_operation_llT0_T1_lllT2_lllib,comdat
.Lfunc_end47:
	.size	_ZL40rocblas_trsm_block_backward_substitutionIffPKfPfLb0ELb0ELb0EEv18rocblas_operation_llT0_T1_lllT2_lllib, .Lfunc_end47-_ZL40rocblas_trsm_block_backward_substitutionIffPKfPfLb0ELb0ELb0EEv18rocblas_operation_llT0_T1_lllT2_lllib
                                        ; -- End function
	.set _ZL40rocblas_trsm_block_backward_substitutionIffPKfPfLb0ELb0ELb0EEv18rocblas_operation_llT0_T1_lllT2_lllib.num_vgpr, 25
	.set _ZL40rocblas_trsm_block_backward_substitutionIffPKfPfLb0ELb0ELb0EEv18rocblas_operation_llT0_T1_lllT2_lllib.num_agpr, 0
	.set _ZL40rocblas_trsm_block_backward_substitutionIffPKfPfLb0ELb0ELb0EEv18rocblas_operation_llT0_T1_lllT2_lllib.numbered_sgpr, 46
	.set _ZL40rocblas_trsm_block_backward_substitutionIffPKfPfLb0ELb0ELb0EEv18rocblas_operation_llT0_T1_lllT2_lllib.num_named_barrier, 0
	.set _ZL40rocblas_trsm_block_backward_substitutionIffPKfPfLb0ELb0ELb0EEv18rocblas_operation_llT0_T1_lllT2_lllib.private_seg_size, 0
	.set _ZL40rocblas_trsm_block_backward_substitutionIffPKfPfLb0ELb0ELb0EEv18rocblas_operation_llT0_T1_lllT2_lllib.uses_vcc, 1
	.set _ZL40rocblas_trsm_block_backward_substitutionIffPKfPfLb0ELb0ELb0EEv18rocblas_operation_llT0_T1_lllT2_lllib.uses_flat_scratch, 0
	.set _ZL40rocblas_trsm_block_backward_substitutionIffPKfPfLb0ELb0ELb0EEv18rocblas_operation_llT0_T1_lllT2_lllib.has_dyn_sized_stack, 0
	.set _ZL40rocblas_trsm_block_backward_substitutionIffPKfPfLb0ELb0ELb0EEv18rocblas_operation_llT0_T1_lllT2_lllib.has_recursion, 0
	.set _ZL40rocblas_trsm_block_backward_substitutionIffPKfPfLb0ELb0ELb0EEv18rocblas_operation_llT0_T1_lllT2_lllib.has_indirect_call, 0
	.section	.AMDGPU.csdata,"",@progbits
; Kernel info:
; codeLenInByte = 1508
; TotalNumSgprs: 48
; NumVgprs: 25
; ScratchSize: 0
; MemoryBound: 0
; FloatMode: 240
; IeeeMode: 1
; LDSByteSize: 0 bytes/workgroup (compile time only)
; SGPRBlocks: 0
; VGPRBlocks: 1
; NumSGPRsForWavesPerEU: 48
; NumVGPRsForWavesPerEU: 25
; NamedBarCnt: 0
; Occupancy: 16
; WaveLimiterHint : 0
; COMPUTE_PGM_RSRC2:SCRATCH_EN: 0
; COMPUTE_PGM_RSRC2:USER_SGPR: 2
; COMPUTE_PGM_RSRC2:TRAP_HANDLER: 0
; COMPUTE_PGM_RSRC2:TGID_X_EN: 1
; COMPUTE_PGM_RSRC2:TGID_Y_EN: 1
; COMPUTE_PGM_RSRC2:TGID_Z_EN: 1
; COMPUTE_PGM_RSRC2:TIDIG_COMP_CNT: 1
	.section	.text._ZL39rocblas_trsm_block_forward_substitutionIffPKfPfLb0ELb0ELb1EEv18rocblas_operation_llT0_T1_lllT2_lllib,"axG",@progbits,_ZL39rocblas_trsm_block_forward_substitutionIffPKfPfLb0ELb0ELb1EEv18rocblas_operation_llT0_T1_lllT2_lllib,comdat
	.globl	_ZL39rocblas_trsm_block_forward_substitutionIffPKfPfLb0ELb0ELb1EEv18rocblas_operation_llT0_T1_lllT2_lllib ; -- Begin function _ZL39rocblas_trsm_block_forward_substitutionIffPKfPfLb0ELb0ELb1EEv18rocblas_operation_llT0_T1_lllT2_lllib
	.p2align	8
	.type	_ZL39rocblas_trsm_block_forward_substitutionIffPKfPfLb0ELb0ELb1EEv18rocblas_operation_llT0_T1_lllT2_lllib,@function
_ZL39rocblas_trsm_block_forward_substitutionIffPKfPfLb0ELb0ELb1EEv18rocblas_operation_llT0_T1_lllT2_lllib: ; @_ZL39rocblas_trsm_block_forward_substitutionIffPKfPfLb0ELb0ELb1EEv18rocblas_operation_llT0_T1_lllT2_lllib
; %bb.0:
	s_load_b64 s[2:3], s[0:1], 0x60
	s_bfe_u32 s4, ttmp6, 0x40014
	s_lshr_b32 s5, ttmp7, 16
	s_add_co_i32 s4, s4, 1
	s_bfe_u32 s6, ttmp6, 0x40008
	s_mul_i32 s4, s5, s4
	s_getreg_b32 s20, hwreg(HW_REG_IB_STS2, 6, 4)
	s_add_co_i32 s6, s6, s4
	s_cmp_eq_u32 s20, 0
	s_mov_b32 s25, 0
	s_cselect_b32 s24, s5, s6
	s_wait_kmcnt 0x0
	s_cmp_ge_u32 s24, s2
	s_cbranch_scc1 .LBB48_19
; %bb.1:
	s_clause 0x1
	s_load_b512 s[4:19], s[0:1], 0x20
	s_load_u16 s26, s[0:1], 0x76
	s_bitcmp1_b32 s3, 0
	v_bfe_u32 v10, v0, 10, 10
	s_cselect_b32 s3, -1, 0
	s_bfe_u32 s21, ttmp6, 0x40010
	s_and_b32 s22, ttmp7, 0xffff
	s_add_co_i32 s21, s21, 1
	s_bfe_u32 s23, ttmp6, 0x40004
	s_mul_i32 s21, s22, s21
	v_and_b32_e32 v0, 0x3ff, v0
	s_add_co_i32 s23, s23, s21
	v_mov_b32_e32 v3, 0
	s_mov_b64 s[28:29], src_shared_base
	v_lshl_add_u32 v11, v10, 2, 0
	s_load_b32 s27, s[0:1], 0x18
	s_wait_kmcnt 0x0
	s_lshl_b64 s[30:31], s[6:7], 2
	s_lshl_b64 s[14:15], s[14:15], 2
	s_cmp_eq_u32 s20, 0
	s_add_nc_u64 s[12:13], s[12:13], s[14:15]
	s_cselect_b32 s6, s22, s23
	s_load_b128 s[20:23], s[0:1], 0x8
	v_mad_u32 v2, s6, s26, v10
	s_add_nc_u64 s[6:7], s[0:1], 0x68
	s_lshl_b32 s14, s26, 2
	s_add_nc_u64 s[4:5], s[4:5], s[30:31]
	s_delay_alu instid0(VALU_DEP_1)
	v_mul_u64_e32 v[4:5], s[16:17], v[2:3]
	s_wait_kmcnt 0x0
	v_cmp_gt_i64_e32 vcc_lo, s[22:23], v[2:3]
	v_dual_mov_b32 v1, v3 :: v_dual_lshlrev_b32 v2, 2, v0
	v_cmp_gt_i64_e64 s1, s[20:21], 0
	v_cmp_gt_i64_e64 s28, s[20:21], 1
	s_delay_alu instid0(VALU_DEP_3)
	v_cmp_gt_i64_e64 s0, s[20:21], v[0:1]
	v_lshl_add_u64 v[4:5], v[4:5], 2, s[12:13]
	s_add_co_i32 s12, s14, 0
	s_mov_b32 s13, s29
	v_lshl_add_u32 v12, v0, 2, s12
	s_and_b32 s29, vcc_lo, s0
	v_lshl_add_u64 v[4:5], v[0:1], 2, v[4:5]
	s_add_nc_u64 s[14:15], s[20:21], -1
	s_branch .LBB48_4
.LBB48_2:                               ;   in Loop: Header=BB48_4 Depth=1
	global_store_b32 v[6:7], v13, off
.LBB48_3:                               ;   in Loop: Header=BB48_4 Depth=1
	s_wait_xcnt 0x0
	s_or_b32 exec_lo, exec_lo, s30
	s_add_co_i32 s24, s24, 0x10000
	s_delay_alu instid0(SALU_CYCLE_1)
	s_cmp_lt_u32 s24, s2
	s_cbranch_scc0 .LBB48_19
.LBB48_4:                               ; =>This Loop Header: Depth=1
                                        ;     Child Loop BB48_9 Depth 2
                                        ;     Child Loop BB48_15 Depth 2
	s_mul_u64 s[16:17], s[10:11], s[24:25]
	s_and_not1_b32 vcc_lo, exec_lo, s3
	s_lshl_b64 s[16:17], s[16:17], 2
	s_delay_alu instid0(SALU_CYCLE_1)
	s_add_nc_u64 s[16:17], s[4:5], s[16:17]
	s_cbranch_vccz .LBB48_6
; %bb.5:                                ;   in Loop: Header=BB48_4 Depth=1
	s_and_saveexec_b32 s30, s29
	s_cbranch_execz .LBB48_3
	s_branch .LBB48_12
.LBB48_6:                               ;   in Loop: Header=BB48_4 Depth=1
	s_and_not1_b32 vcc_lo, exec_lo, s1
	s_cbranch_vccnz .LBB48_11
; %bb.7:                                ;   in Loop: Header=BB48_4 Depth=1
	v_add_nc_u64_e32 v[6:7], s[16:17], v[2:3]
	s_mov_b32 s16, 0
	s_branch .LBB48_9
.LBB48_8:                               ;   in Loop: Header=BB48_9 Depth=2
	s_wait_xcnt 0x0
	s_or_b32 exec_lo, exec_lo, s17
	s_add_co_i32 s16, s16, s26
	s_delay_alu instid0(SALU_CYCLE_1) | instskip(NEXT) | instid1(SALU_CYCLE_1)
	s_ashr_i32 s17, s16, 31
	v_cmp_le_i64_e64 s17, s[20:21], s[16:17]
	s_and_b32 vcc_lo, exec_lo, s17
	s_cbranch_vccnz .LBB48_11
.LBB48_9:                               ;   Parent Loop BB48_4 Depth=1
                                        ; =>  This Inner Loop Header: Depth=2
	v_add_nc_u32_e32 v8, s16, v10
	s_delay_alu instid0(VALU_DEP_1) | instskip(SKIP_1) | instid1(SALU_CYCLE_1)
	v_cmp_gt_i32_e32 vcc_lo, v0, v8
	s_and_b32 s22, s0, vcc_lo
	s_and_saveexec_b32 s17, s22
	s_cbranch_execz .LBB48_8
; %bb.10:                               ;   in Loop: Header=BB48_9 Depth=2
	v_ashrrev_i32_e32 v9, 31, v8
	s_load_b32 s22, s[6:7], 0xc
	s_delay_alu instid0(VALU_DEP_1) | instskip(SKIP_2) | instid1(SALU_CYCLE_1)
	v_mul_u64_e32 v[14:15], s[8:9], v[8:9]
	s_wait_kmcnt 0x0
	s_and_b32 s22, s22, 0xffff
	v_mul_lo_u32 v8, v8, s22
	s_delay_alu instid0(VALU_DEP_1) | instskip(NEXT) | instid1(VALU_DEP_3)
	v_lshl_add_u32 v8, v8, 2, v12
	v_lshl_add_u64 v[14:15], v[14:15], 2, v[6:7]
	global_load_b32 v9, v[14:15], off
	s_wait_loadcnt 0x0
	ds_store_b32 v8, v9
	s_branch .LBB48_8
.LBB48_11:                              ;   in Loop: Header=BB48_4 Depth=1
	s_load_b32 s8, s[6:7], 0xc
	s_mov_b32 s9, s25
	s_mov_b64 s[16:17], s[12:13]
	s_wait_kmcnt 0x0
	s_and_b32 s8, s8, 0xffff
	s_and_saveexec_b32 s30, s29
	s_cbranch_execz .LBB48_3
.LBB48_12:                              ;   in Loop: Header=BB48_4 Depth=1
	s_mul_u64 s[22:23], s[18:19], s[24:25]
	s_and_not1_b32 vcc_lo, exec_lo, s28
	v_lshl_add_u64 v[6:7], s[22:23], 2, v[4:5]
	global_load_b32 v8, v[6:7], off
	s_wait_loadcnt 0x0
	v_mul_f32_e32 v13, s27, v8
	s_cbranch_vccnz .LBB48_2
; %bb.13:                               ;   in Loop: Header=BB48_4 Depth=1
	v_add_nc_u64_e32 v[8:9], s[16:17], v[2:3]
	s_lshl_b64 s[16:17], s[8:9], 2
	s_mov_b64 s[22:23], 0
	s_branch .LBB48_15
.LBB48_14:                              ;   in Loop: Header=BB48_15 Depth=2
	s_wait_xcnt 0x0
	s_or_b32 exec_lo, exec_lo, s31
	v_add_nc_u64_e32 v[8:9], s[16:17], v[8:9]
	s_add_nc_u64 s[22:23], s[22:23], 1
	s_delay_alu instid0(SALU_CYCLE_1)
	s_cmp_eq_u64 s[14:15], s[22:23]
	s_cbranch_scc1 .LBB48_2
.LBB48_15:                              ;   Parent Loop BB48_4 Depth=1
                                        ; =>  This Inner Loop Header: Depth=2
	s_mov_b32 s31, exec_lo
	s_wait_dscnt 0x0
	s_barrier_signal -1
	s_barrier_wait -1
	s_wait_xcnt 0x0
	v_cmpx_eq_u64_e64 s[22:23], v[0:1]
; %bb.16:                               ;   in Loop: Header=BB48_15 Depth=2
	ds_store_b32 v11, v13
; %bb.17:                               ;   in Loop: Header=BB48_15 Depth=2
	s_or_b32 exec_lo, exec_lo, s31
	s_delay_alu instid0(SALU_CYCLE_1)
	s_mov_b32 s31, exec_lo
	s_wait_dscnt 0x0
	s_barrier_signal -1
	s_barrier_wait -1
	v_cmpx_lt_u64_e64 s[22:23], v[0:1]
	s_cbranch_execz .LBB48_14
; %bb.18:                               ;   in Loop: Header=BB48_15 Depth=2
	flat_load_b32 v14, v[8:9]
	ds_load_b32 v15, v11
	s_wait_loadcnt_dscnt 0x0
	v_fma_f32 v13, -v14, v15, v13
	s_branch .LBB48_14
.LBB48_19:
	s_endpgm
	.section	.rodata,"a",@progbits
	.p2align	6, 0x0
	.amdhsa_kernel _ZL39rocblas_trsm_block_forward_substitutionIffPKfPfLb0ELb0ELb1EEv18rocblas_operation_llT0_T1_lllT2_lllib
		.amdhsa_group_segment_fixed_size 0
		.amdhsa_private_segment_fixed_size 0
		.amdhsa_kernarg_size 360
		.amdhsa_user_sgpr_count 2
		.amdhsa_user_sgpr_dispatch_ptr 0
		.amdhsa_user_sgpr_queue_ptr 0
		.amdhsa_user_sgpr_kernarg_segment_ptr 1
		.amdhsa_user_sgpr_dispatch_id 0
		.amdhsa_user_sgpr_kernarg_preload_length 0
		.amdhsa_user_sgpr_kernarg_preload_offset 0
		.amdhsa_user_sgpr_private_segment_size 0
		.amdhsa_wavefront_size32 1
		.amdhsa_uses_dynamic_stack 0
		.amdhsa_enable_private_segment 0
		.amdhsa_system_sgpr_workgroup_id_x 1
		.amdhsa_system_sgpr_workgroup_id_y 1
		.amdhsa_system_sgpr_workgroup_id_z 1
		.amdhsa_system_sgpr_workgroup_info 0
		.amdhsa_system_vgpr_workitem_id 1
		.amdhsa_next_free_vgpr 16
		.amdhsa_next_free_sgpr 32
		.amdhsa_named_barrier_count 0
		.amdhsa_reserve_vcc 1
		.amdhsa_float_round_mode_32 0
		.amdhsa_float_round_mode_16_64 0
		.amdhsa_float_denorm_mode_32 3
		.amdhsa_float_denorm_mode_16_64 3
		.amdhsa_fp16_overflow 0
		.amdhsa_memory_ordered 1
		.amdhsa_forward_progress 1
		.amdhsa_inst_pref_size 7
		.amdhsa_round_robin_scheduling 0
		.amdhsa_exception_fp_ieee_invalid_op 0
		.amdhsa_exception_fp_denorm_src 0
		.amdhsa_exception_fp_ieee_div_zero 0
		.amdhsa_exception_fp_ieee_overflow 0
		.amdhsa_exception_fp_ieee_underflow 0
		.amdhsa_exception_fp_ieee_inexact 0
		.amdhsa_exception_int_div_zero 0
	.end_amdhsa_kernel
	.section	.text._ZL39rocblas_trsm_block_forward_substitutionIffPKfPfLb0ELb0ELb1EEv18rocblas_operation_llT0_T1_lllT2_lllib,"axG",@progbits,_ZL39rocblas_trsm_block_forward_substitutionIffPKfPfLb0ELb0ELb1EEv18rocblas_operation_llT0_T1_lllT2_lllib,comdat
.Lfunc_end48:
	.size	_ZL39rocblas_trsm_block_forward_substitutionIffPKfPfLb0ELb0ELb1EEv18rocblas_operation_llT0_T1_lllT2_lllib, .Lfunc_end48-_ZL39rocblas_trsm_block_forward_substitutionIffPKfPfLb0ELb0ELb1EEv18rocblas_operation_llT0_T1_lllT2_lllib
                                        ; -- End function
	.set _ZL39rocblas_trsm_block_forward_substitutionIffPKfPfLb0ELb0ELb1EEv18rocblas_operation_llT0_T1_lllT2_lllib.num_vgpr, 16
	.set _ZL39rocblas_trsm_block_forward_substitutionIffPKfPfLb0ELb0ELb1EEv18rocblas_operation_llT0_T1_lllT2_lllib.num_agpr, 0
	.set _ZL39rocblas_trsm_block_forward_substitutionIffPKfPfLb0ELb0ELb1EEv18rocblas_operation_llT0_T1_lllT2_lllib.numbered_sgpr, 32
	.set _ZL39rocblas_trsm_block_forward_substitutionIffPKfPfLb0ELb0ELb1EEv18rocblas_operation_llT0_T1_lllT2_lllib.num_named_barrier, 0
	.set _ZL39rocblas_trsm_block_forward_substitutionIffPKfPfLb0ELb0ELb1EEv18rocblas_operation_llT0_T1_lllT2_lllib.private_seg_size, 0
	.set _ZL39rocblas_trsm_block_forward_substitutionIffPKfPfLb0ELb0ELb1EEv18rocblas_operation_llT0_T1_lllT2_lllib.uses_vcc, 1
	.set _ZL39rocblas_trsm_block_forward_substitutionIffPKfPfLb0ELb0ELb1EEv18rocblas_operation_llT0_T1_lllT2_lllib.uses_flat_scratch, 0
	.set _ZL39rocblas_trsm_block_forward_substitutionIffPKfPfLb0ELb0ELb1EEv18rocblas_operation_llT0_T1_lllT2_lllib.has_dyn_sized_stack, 0
	.set _ZL39rocblas_trsm_block_forward_substitutionIffPKfPfLb0ELb0ELb1EEv18rocblas_operation_llT0_T1_lllT2_lllib.has_recursion, 0
	.set _ZL39rocblas_trsm_block_forward_substitutionIffPKfPfLb0ELb0ELb1EEv18rocblas_operation_llT0_T1_lllT2_lllib.has_indirect_call, 0
	.section	.AMDGPU.csdata,"",@progbits
; Kernel info:
; codeLenInByte = 800
; TotalNumSgprs: 34
; NumVgprs: 16
; ScratchSize: 0
; MemoryBound: 0
; FloatMode: 240
; IeeeMode: 1
; LDSByteSize: 0 bytes/workgroup (compile time only)
; SGPRBlocks: 0
; VGPRBlocks: 0
; NumSGPRsForWavesPerEU: 34
; NumVGPRsForWavesPerEU: 16
; NamedBarCnt: 0
; Occupancy: 16
; WaveLimiterHint : 0
; COMPUTE_PGM_RSRC2:SCRATCH_EN: 0
; COMPUTE_PGM_RSRC2:USER_SGPR: 2
; COMPUTE_PGM_RSRC2:TRAP_HANDLER: 0
; COMPUTE_PGM_RSRC2:TGID_X_EN: 1
; COMPUTE_PGM_RSRC2:TGID_Y_EN: 1
; COMPUTE_PGM_RSRC2:TGID_Z_EN: 1
; COMPUTE_PGM_RSRC2:TIDIG_COMP_CNT: 1
	.section	.text._ZL40rocblas_trsm_block_backward_substitutionIffPKfPfLb0ELb0ELb1EEv18rocblas_operation_llT0_T1_lllT2_lllib,"axG",@progbits,_ZL40rocblas_trsm_block_backward_substitutionIffPKfPfLb0ELb0ELb1EEv18rocblas_operation_llT0_T1_lllT2_lllib,comdat
	.globl	_ZL40rocblas_trsm_block_backward_substitutionIffPKfPfLb0ELb0ELb1EEv18rocblas_operation_llT0_T1_lllT2_lllib ; -- Begin function _ZL40rocblas_trsm_block_backward_substitutionIffPKfPfLb0ELb0ELb1EEv18rocblas_operation_llT0_T1_lllT2_lllib
	.p2align	8
	.type	_ZL40rocblas_trsm_block_backward_substitutionIffPKfPfLb0ELb0ELb1EEv18rocblas_operation_llT0_T1_lllT2_lllib,@function
_ZL40rocblas_trsm_block_backward_substitutionIffPKfPfLb0ELb0ELb1EEv18rocblas_operation_llT0_T1_lllT2_lllib: ; @_ZL40rocblas_trsm_block_backward_substitutionIffPKfPfLb0ELb0ELb1EEv18rocblas_operation_llT0_T1_lllT2_lllib
; %bb.0:
	s_load_b64 s[2:3], s[0:1], 0x60
	s_bfe_u32 s4, ttmp6, 0x40014
	s_lshr_b32 s5, ttmp7, 16
	s_add_co_i32 s4, s4, 1
	s_bfe_u32 s6, ttmp6, 0x40008
	s_mul_i32 s4, s5, s4
	s_getreg_b32 s26, hwreg(HW_REG_IB_STS2, 6, 4)
	s_add_co_i32 s6, s6, s4
	s_cmp_eq_u32 s26, 0
	s_mov_b32 s25, 0
	s_cselect_b32 s24, s5, s6
	s_wait_kmcnt 0x0
	s_cmp_ge_u32 s24, s2
	s_cbranch_scc1 .LBB49_19
; %bb.1:
	s_clause 0x1
	s_load_b512 s[4:19], s[0:1], 0x20
	s_load_u16 s30, s[0:1], 0x76
	v_and_b32_e32 v2, 0x3ff, v0
	v_mov_b32_e32 v7, 0
	v_bfe_u32 v1, v0, 10, 10
	s_bitcmp1_b32 s3, 0
	s_mov_b64 s[28:29], src_shared_base
	s_delay_alu instid0(VALU_DEP_2)
	v_dual_mov_b32 v3, v7 :: v_dual_lshlrev_b32 v0, 2, v2
	s_cselect_b32 s31, -1, 0
	s_and_b32 s27, ttmp7, 0xffff
	s_clause 0x1
	s_load_b128 s[20:23], s[0:1], 0x8
	s_load_b32 s3, s[0:1], 0x18
	v_lshl_add_u32 v12, v1, 2, 0
	s_wait_kmcnt 0x0
	v_mul_u64_e32 v[8:9], s[16:17], v[2:3]
	s_bfe_u32 s16, ttmp6, 0x40010
	s_bfe_u32 s17, ttmp6, 0x40004
	s_add_co_i32 s16, s16, 1
	s_lshl_b64 s[34:35], s[14:15], 2
	s_mul_i32 s16, s27, s16
	s_add_nc_u64 s[12:13], s[12:13], s[34:35]
	s_add_co_i32 s28, s17, s16
	s_lshl_b64 s[16:17], s[6:7], 2
	s_cmp_eq_u32 s26, 0
	s_add_nc_u64 s[6:7], s[0:1], 0x68
	s_cselect_b32 s0, s27, s28
	s_lshl_b32 s1, s30, 2
	v_mad_u32 v6, s0, s30, v1
	s_add_co_i32 s14, s1, 0
	v_cmp_gt_i64_e64 s33, s[20:21], 0
	v_add_nc_u32_e32 v13, s14, v0
	v_mul_u64_e32 v[4:5], s[8:9], v[2:3]
	v_cmp_gt_i64_e64 s0, s[20:21], v[2:3]
	v_cmp_gt_i64_e64 s34, s[20:21], 1
	s_mov_b32 s15, s29
	s_add_nc_u64 s[4:5], s[4:5], s[16:17]
	v_cmp_gt_i64_e32 vcc_lo, s[22:23], v[6:7]
	s_and_b32 s35, vcc_lo, s0
	v_lshl_add_u64 v[8:9], v[8:9], 2, s[12:13]
	s_add_nc_u64 s[12:13], s[20:21], -1
	s_delay_alu instid0(SALU_CYCLE_1) | instskip(NEXT) | instid1(VALU_DEP_1)
	s_lshl_b64 s[16:17], s[12:13], 2
	v_lshl_add_u64 v[6:7], v[6:7], 2, v[8:9]
	s_branch .LBB49_4
.LBB49_2:                               ;   in Loop: Header=BB49_4 Depth=1
	global_store_b32 v[8:9], v14, off
.LBB49_3:                               ;   in Loop: Header=BB49_4 Depth=1
	s_wait_xcnt 0x0
	s_or_b32 exec_lo, exec_lo, s1
	s_add_co_i32 s24, s24, 0x10000
	s_delay_alu instid0(SALU_CYCLE_1)
	s_cmp_lt_u32 s24, s2
	s_cbranch_scc0 .LBB49_19
.LBB49_4:                               ; =>This Loop Header: Depth=1
                                        ;     Child Loop BB49_8 Depth 2
                                        ;     Child Loop BB49_15 Depth 2
	s_mul_u64 s[22:23], s[10:11], s[24:25]
	s_and_not1_b32 vcc_lo, exec_lo, s31
	s_lshl_b64 s[22:23], s[22:23], 2
	s_delay_alu instid0(SALU_CYCLE_1)
	s_add_nc_u64 s[26:27], s[4:5], s[22:23]
	s_cbranch_vccnz .LBB49_10
; %bb.5:                                ;   in Loop: Header=BB49_4 Depth=1
	s_and_not1_b32 vcc_lo, exec_lo, s33
	s_cbranch_vccnz .LBB49_11
; %bb.6:                                ;   in Loop: Header=BB49_4 Depth=1
	v_lshl_add_u64 v[8:9], v[4:5], 2, s[26:27]
	s_mov_b32 s22, 0
	s_branch .LBB49_8
.LBB49_7:                               ;   in Loop: Header=BB49_8 Depth=2
	s_wait_xcnt 0x0
	s_or_b32 exec_lo, exec_lo, s1
	s_add_co_i32 s22, s22, s30
	s_delay_alu instid0(SALU_CYCLE_1) | instskip(NEXT) | instid1(SALU_CYCLE_1)
	s_ashr_i32 s23, s22, 31
	v_cmp_le_i64_e64 s1, s[20:21], s[22:23]
	s_and_b32 vcc_lo, exec_lo, s1
	s_cbranch_vccnz .LBB49_11
.LBB49_8:                               ;   Parent Loop BB49_4 Depth=1
                                        ; =>  This Inner Loop Header: Depth=2
	v_add_nc_u32_e32 v10, s22, v1
	s_delay_alu instid0(VALU_DEP_1) | instskip(SKIP_1) | instid1(VALU_DEP_2)
	v_ashrrev_i32_e32 v11, 31, v10
	v_cmp_lt_i32_e64 s1, v2, v10
	v_cmp_gt_i64_e32 vcc_lo, s[20:21], v[10:11]
	s_and_b32 s1, s1, vcc_lo
	s_delay_alu instid0(SALU_CYCLE_1) | instskip(NEXT) | instid1(SALU_CYCLE_1)
	s_and_b32 s23, s0, s1
	s_and_saveexec_b32 s1, s23
	s_cbranch_execz .LBB49_7
; %bb.9:                                ;   in Loop: Header=BB49_8 Depth=2
	v_lshl_add_u64 v[14:15], v[10:11], 2, v[8:9]
	s_load_b32 s23, s[6:7], 0xc
	global_load_b32 v11, v[14:15], off
	s_wait_kmcnt 0x0
	s_and_b32 s23, s23, 0xffff
	s_delay_alu instid0(SALU_CYCLE_1) | instskip(NEXT) | instid1(VALU_DEP_1)
	v_mul_lo_u32 v10, v10, s23
	v_lshl_add_u32 v10, v10, 2, v13
	s_wait_loadcnt 0x0
	ds_store_b32 v10, v11
	s_branch .LBB49_7
.LBB49_10:                              ;   in Loop: Header=BB49_4 Depth=1
	s_mov_b64 s[22:23], 1
	s_mov_b64 s[28:29], s[8:9]
	s_and_saveexec_b32 s1, s35
	s_cbranch_execz .LBB49_3
	s_branch .LBB49_12
.LBB49_11:                              ;   in Loop: Header=BB49_4 Depth=1
	s_load_b32 s1, s[6:7], 0xc
	s_mov_b32 s23, s25
	s_mov_b64 s[28:29], 1
	s_mov_b64 s[26:27], s[14:15]
	s_wait_kmcnt 0x0
	s_and_b32 s22, s1, 0xffff
	s_and_saveexec_b32 s1, s35
	s_cbranch_execz .LBB49_3
.LBB49_12:                              ;   in Loop: Header=BB49_4 Depth=1
	s_mul_u64 s[36:37], s[18:19], s[24:25]
	s_and_not1_b32 vcc_lo, exec_lo, s34
	v_lshl_add_u64 v[8:9], s[36:37], 2, v[6:7]
	global_load_b32 v10, v[8:9], off
	s_wait_loadcnt 0x0
	v_mul_f32_e32 v14, s3, v10
	s_cbranch_vccnz .LBB49_2
; %bb.13:                               ;   in Loop: Header=BB49_4 Depth=1
	s_mul_u64 s[36:37], s[16:17], s[22:23]
	s_lshl_b32 s22, s22, 2
	s_add_nc_u64 s[26:27], s[26:27], s[36:37]
	s_mov_b32 s23, s25
	v_mad_nc_u64_u32 v[10:11], v0, s28, s[26:27]
	s_sub_nc_u64 s[22:23], 0, s[22:23]
	s_mov_b64 s[26:27], s[12:13]
	s_delay_alu instid0(VALU_DEP_1)
	v_mad_u32 v11, v0, s29, v11
	s_branch .LBB49_15
.LBB49_14:                              ;   in Loop: Header=BB49_15 Depth=2
	s_wait_xcnt 0x0
	s_or_b32 exec_lo, exec_lo, s28
	s_add_nc_u64 s[28:29], s[26:27], 1
	v_add_nc_u64_e32 v[10:11], s[22:23], v[10:11]
	v_cmp_lt_u64_e64 s28, s[28:29], 3
	s_add_nc_u64 s[26:27], s[26:27], -1
	s_and_b32 vcc_lo, exec_lo, s28
	s_cbranch_vccnz .LBB49_2
.LBB49_15:                              ;   Parent Loop BB49_4 Depth=1
                                        ; =>  This Inner Loop Header: Depth=2
	s_mov_b32 s28, exec_lo
	s_wait_dscnt 0x0
	s_barrier_signal -1
	s_barrier_wait -1
	s_wait_xcnt 0x0
	v_cmpx_eq_u64_e64 s[26:27], v[2:3]
; %bb.16:                               ;   in Loop: Header=BB49_15 Depth=2
	ds_store_b32 v12, v14
; %bb.17:                               ;   in Loop: Header=BB49_15 Depth=2
	s_or_b32 exec_lo, exec_lo, s28
	s_delay_alu instid0(SALU_CYCLE_1)
	s_mov_b32 s28, exec_lo
	s_wait_dscnt 0x0
	s_barrier_signal -1
	s_barrier_wait -1
	v_cmpx_gt_i64_e64 s[26:27], v[2:3]
	s_cbranch_execz .LBB49_14
; %bb.18:                               ;   in Loop: Header=BB49_15 Depth=2
	flat_load_b32 v15, v[10:11]
	ds_load_b32 v16, v12
	s_wait_loadcnt_dscnt 0x0
	v_fma_f32 v14, -v15, v16, v14
	s_branch .LBB49_14
.LBB49_19:
	s_endpgm
	.section	.rodata,"a",@progbits
	.p2align	6, 0x0
	.amdhsa_kernel _ZL40rocblas_trsm_block_backward_substitutionIffPKfPfLb0ELb0ELb1EEv18rocblas_operation_llT0_T1_lllT2_lllib
		.amdhsa_group_segment_fixed_size 0
		.amdhsa_private_segment_fixed_size 0
		.amdhsa_kernarg_size 360
		.amdhsa_user_sgpr_count 2
		.amdhsa_user_sgpr_dispatch_ptr 0
		.amdhsa_user_sgpr_queue_ptr 0
		.amdhsa_user_sgpr_kernarg_segment_ptr 1
		.amdhsa_user_sgpr_dispatch_id 0
		.amdhsa_user_sgpr_kernarg_preload_length 0
		.amdhsa_user_sgpr_kernarg_preload_offset 0
		.amdhsa_user_sgpr_private_segment_size 0
		.amdhsa_wavefront_size32 1
		.amdhsa_uses_dynamic_stack 0
		.amdhsa_enable_private_segment 0
		.amdhsa_system_sgpr_workgroup_id_x 1
		.amdhsa_system_sgpr_workgroup_id_y 1
		.amdhsa_system_sgpr_workgroup_id_z 1
		.amdhsa_system_sgpr_workgroup_info 0
		.amdhsa_system_vgpr_workitem_id 1
		.amdhsa_next_free_vgpr 17
		.amdhsa_next_free_sgpr 38
		.amdhsa_named_barrier_count 0
		.amdhsa_reserve_vcc 1
		.amdhsa_float_round_mode_32 0
		.amdhsa_float_round_mode_16_64 0
		.amdhsa_float_denorm_mode_32 3
		.amdhsa_float_denorm_mode_16_64 3
		.amdhsa_fp16_overflow 0
		.amdhsa_memory_ordered 1
		.amdhsa_forward_progress 1
		.amdhsa_inst_pref_size 7
		.amdhsa_round_robin_scheduling 0
		.amdhsa_exception_fp_ieee_invalid_op 0
		.amdhsa_exception_fp_denorm_src 0
		.amdhsa_exception_fp_ieee_div_zero 0
		.amdhsa_exception_fp_ieee_overflow 0
		.amdhsa_exception_fp_ieee_underflow 0
		.amdhsa_exception_fp_ieee_inexact 0
		.amdhsa_exception_int_div_zero 0
	.end_amdhsa_kernel
	.section	.text._ZL40rocblas_trsm_block_backward_substitutionIffPKfPfLb0ELb0ELb1EEv18rocblas_operation_llT0_T1_lllT2_lllib,"axG",@progbits,_ZL40rocblas_trsm_block_backward_substitutionIffPKfPfLb0ELb0ELb1EEv18rocblas_operation_llT0_T1_lllT2_lllib,comdat
.Lfunc_end49:
	.size	_ZL40rocblas_trsm_block_backward_substitutionIffPKfPfLb0ELb0ELb1EEv18rocblas_operation_llT0_T1_lllT2_lllib, .Lfunc_end49-_ZL40rocblas_trsm_block_backward_substitutionIffPKfPfLb0ELb0ELb1EEv18rocblas_operation_llT0_T1_lllT2_lllib
                                        ; -- End function
	.set _ZL40rocblas_trsm_block_backward_substitutionIffPKfPfLb0ELb0ELb1EEv18rocblas_operation_llT0_T1_lllT2_lllib.num_vgpr, 17
	.set _ZL40rocblas_trsm_block_backward_substitutionIffPKfPfLb0ELb0ELb1EEv18rocblas_operation_llT0_T1_lllT2_lllib.num_agpr, 0
	.set _ZL40rocblas_trsm_block_backward_substitutionIffPKfPfLb0ELb0ELb1EEv18rocblas_operation_llT0_T1_lllT2_lllib.numbered_sgpr, 38
	.set _ZL40rocblas_trsm_block_backward_substitutionIffPKfPfLb0ELb0ELb1EEv18rocblas_operation_llT0_T1_lllT2_lllib.num_named_barrier, 0
	.set _ZL40rocblas_trsm_block_backward_substitutionIffPKfPfLb0ELb0ELb1EEv18rocblas_operation_llT0_T1_lllT2_lllib.private_seg_size, 0
	.set _ZL40rocblas_trsm_block_backward_substitutionIffPKfPfLb0ELb0ELb1EEv18rocblas_operation_llT0_T1_lllT2_lllib.uses_vcc, 1
	.set _ZL40rocblas_trsm_block_backward_substitutionIffPKfPfLb0ELb0ELb1EEv18rocblas_operation_llT0_T1_lllT2_lllib.uses_flat_scratch, 0
	.set _ZL40rocblas_trsm_block_backward_substitutionIffPKfPfLb0ELb0ELb1EEv18rocblas_operation_llT0_T1_lllT2_lllib.has_dyn_sized_stack, 0
	.set _ZL40rocblas_trsm_block_backward_substitutionIffPKfPfLb0ELb0ELb1EEv18rocblas_operation_llT0_T1_lllT2_lllib.has_recursion, 0
	.set _ZL40rocblas_trsm_block_backward_substitutionIffPKfPfLb0ELb0ELb1EEv18rocblas_operation_llT0_T1_lllT2_lllib.has_indirect_call, 0
	.section	.AMDGPU.csdata,"",@progbits
; Kernel info:
; codeLenInByte = 868
; TotalNumSgprs: 40
; NumVgprs: 17
; ScratchSize: 0
; MemoryBound: 0
; FloatMode: 240
; IeeeMode: 1
; LDSByteSize: 0 bytes/workgroup (compile time only)
; SGPRBlocks: 0
; VGPRBlocks: 1
; NumSGPRsForWavesPerEU: 40
; NumVGPRsForWavesPerEU: 17
; NamedBarCnt: 0
; Occupancy: 16
; WaveLimiterHint : 0
; COMPUTE_PGM_RSRC2:SCRATCH_EN: 0
; COMPUTE_PGM_RSRC2:USER_SGPR: 2
; COMPUTE_PGM_RSRC2:TRAP_HANDLER: 0
; COMPUTE_PGM_RSRC2:TGID_X_EN: 1
; COMPUTE_PGM_RSRC2:TGID_Y_EN: 1
; COMPUTE_PGM_RSRC2:TGID_Z_EN: 1
; COMPUTE_PGM_RSRC2:TIDIG_COMP_CNT: 1
	.section	.text._ZL39rocblas_trsm_block_forward_substitutionIffPKfPfLb0ELb1ELb0EEv18rocblas_operation_llT0_T1_lllT2_lllib,"axG",@progbits,_ZL39rocblas_trsm_block_forward_substitutionIffPKfPfLb0ELb1ELb0EEv18rocblas_operation_llT0_T1_lllT2_lllib,comdat
	.globl	_ZL39rocblas_trsm_block_forward_substitutionIffPKfPfLb0ELb1ELb0EEv18rocblas_operation_llT0_T1_lllT2_lllib ; -- Begin function _ZL39rocblas_trsm_block_forward_substitutionIffPKfPfLb0ELb1ELb0EEv18rocblas_operation_llT0_T1_lllT2_lllib
	.p2align	8
	.type	_ZL39rocblas_trsm_block_forward_substitutionIffPKfPfLb0ELb1ELb0EEv18rocblas_operation_llT0_T1_lllT2_lllib,@function
_ZL39rocblas_trsm_block_forward_substitutionIffPKfPfLb0ELb1ELb0EEv18rocblas_operation_llT0_T1_lllT2_lllib: ; @_ZL39rocblas_trsm_block_forward_substitutionIffPKfPfLb0ELb1ELb0EEv18rocblas_operation_llT0_T1_lllT2_lllib
; %bb.0:
	s_load_b64 s[24:25], s[0:1], 0x60
	s_bfe_u32 s2, ttmp6, 0x40014
	s_lshr_b32 s3, ttmp7, 16
	s_add_co_i32 s2, s2, 1
	s_bfe_u32 s5, ttmp6, 0x40008
	s_mul_i32 s4, s3, s2
	s_getreg_b32 s2, hwreg(HW_REG_IB_STS2, 6, 4)
	s_add_co_i32 s5, s5, s4
	s_cmp_eq_u32 s2, 0
	s_mov_b32 s27, 0
	s_cselect_b32 s26, s3, s5
	s_wait_kmcnt 0x0
	s_cmp_ge_u32 s26, s24
	s_cbranch_scc1 .LBB50_27
; %bb.1:
	s_load_b512 s[4:19], s[0:1], 0x20
	v_and_b32_e32 v2, 0x3ff, v0
	v_mov_b32_e32 v1, 0
	s_mov_b64 s[28:29], src_shared_base
	s_clause 0x2
	s_load_b128 s[20:23], s[0:1], 0x8
	s_load_u16 s28, s[0:1], 0x76
	s_load_b32 s30, s[0:1], 0x18
	s_bitcmp1_b32 s25, 0
	v_bfe_u32 v12, v0, 10, 10
	v_mov_b32_e32 v3, v1
	s_delay_alu instid0(VALU_DEP_2) | instskip(SKIP_1) | instid1(VALU_DEP_2)
	v_lshl_add_u32 v13, v12, 2, 0
	s_wait_kmcnt 0x0
	v_mul_u64_e32 v[4:5], s[16:17], v[2:3]
	s_add_nc_u64 s[16:17], s[0:1], 0x68
	s_cselect_b32 s0, -1, 0
	s_bfe_u32 s1, ttmp6, 0x40010
	s_and_b32 s3, ttmp7, 0xffff
	s_add_co_i32 s1, s1, 1
	s_bfe_u32 s25, ttmp6, 0x40004
	s_mul_i32 s1, s3, s1
	s_lshl_b64 s[34:35], s[6:7], 2
	s_add_co_i32 s25, s25, s1
	s_lshl_b64 s[14:15], s[14:15], 2
	s_cmp_eq_u32 s2, 0
	s_add_nc_u64 s[12:13], s[12:13], s[14:15]
	s_cselect_b32 s1, s3, s25
	v_cmp_le_i64_e32 vcc_lo, s[20:21], v[2:3]
	v_mad_u32 v0, s1, s28, v12
	v_cmp_gt_i64_e64 s2, s[20:21], v[2:3]
	s_add_nc_u64 s[6:7], s[20:21], -1
	s_lshl_b32 s1, s28, 2
	v_cmp_gt_i64_e64 s25, s[20:21], 0
	v_cmp_gt_i64_e64 s31, s[20:21], 1
	s_add_nc_u64 s[4:5], s[4:5], s[34:35]
	s_xor_b32 s33, vcc_lo, -1
	v_cmp_gt_i64_e64 s3, s[22:23], v[0:1]
	v_lshl_add_u64 v[4:5], v[4:5], 2, s[12:13]
	s_add_co_i32 s12, s1, 0
	v_cmp_eq_u64_e64 s1, s[6:7], v[2:3]
	v_lshl_add_u32 v14, v2, 2, s12
	s_mov_b32 s13, s29
	v_lshl_add_u64 v[4:5], v[0:1], 2, v[4:5]
	v_lshlrev_b32_e32 v0, 2, v2
	s_and_b32 s29, s3, s2
	s_branch .LBB50_4
.LBB50_2:                               ;   in Loop: Header=BB50_4 Depth=1
	s_or_b32 exec_lo, exec_lo, s14
	global_store_b32 v[6:7], v15, off
.LBB50_3:                               ;   in Loop: Header=BB50_4 Depth=1
	s_wait_xcnt 0x0
	s_or_b32 exec_lo, exec_lo, s34
	s_add_co_i32 s26, s26, 0x10000
	s_delay_alu instid0(SALU_CYCLE_1)
	s_cmp_lt_u32 s26, s24
	s_cbranch_scc0 .LBB50_27
.LBB50_4:                               ; =>This Loop Header: Depth=1
                                        ;     Child Loop BB50_9 Depth 2
                                        ;     Child Loop BB50_21 Depth 2
	s_mul_u64 s[2:3], s[10:11], s[26:27]
	s_and_not1_b32 vcc_lo, exec_lo, s0
	s_lshl_b64 s[2:3], s[2:3], 2
	s_delay_alu instid0(SALU_CYCLE_1)
	s_add_nc_u64 s[2:3], s[4:5], s[2:3]
	s_cbranch_vccz .LBB50_6
; %bb.5:                                ;   in Loop: Header=BB50_4 Depth=1
	s_and_saveexec_b32 s34, s29
	s_cbranch_execz .LBB50_3
	s_branch .LBB50_18
.LBB50_6:                               ;   in Loop: Header=BB50_4 Depth=1
	s_and_not1_b32 vcc_lo, exec_lo, s25
	s_cbranch_vccnz .LBB50_17
; %bb.7:                                ;   in Loop: Header=BB50_4 Depth=1
	v_mul_u64_e32 v[8:9], s[8:9], v[2:3]
	v_add_nc_u64_e32 v[6:7], s[2:3], v[0:1]
	v_mov_b32_e32 v10, v12
	s_mov_b32 s2, s28
	s_delay_alu instid0(VALU_DEP_2)
	v_lshl_add_u64 v[8:9], v[8:9], 2, v[6:7]
	s_branch .LBB50_9
.LBB50_8:                               ;   in Loop: Header=BB50_9 Depth=2
	s_or_b32 exec_lo, exec_lo, s14
	s_ashr_i32 s3, s2, 31
	v_add_nc_u32_e32 v10, s28, v10
	v_cmp_le_i64_e64 s3, s[20:21], s[2:3]
	s_add_co_i32 s2, s2, s28
	s_and_b32 vcc_lo, exec_lo, s3
	s_cbranch_vccnz .LBB50_17
.LBB50_9:                               ;   Parent Loop BB50_4 Depth=1
                                        ; =>  This Inner Loop Header: Depth=2
	s_delay_alu instid0(VALU_DEP_2) | instskip(SKIP_2) | instid1(SALU_CYCLE_1)
	v_cmp_gt_i32_e32 vcc_lo, v2, v10
	s_mov_b32 s3, 0
                                        ; implicit-def: $vgpr11
	s_and_b32 s14, s33, vcc_lo
	s_and_saveexec_b32 s15, s14
	s_delay_alu instid0(SALU_CYCLE_1)
	s_xor_b32 s14, exec_lo, s15
	s_cbranch_execnz .LBB50_12
; %bb.10:                               ;   in Loop: Header=BB50_9 Depth=2
	s_or_saveexec_b32 s14, s14
	v_mov_b32_e32 v15, v10
	s_xor_b32 exec_lo, exec_lo, s14
	s_cbranch_execnz .LBB50_13
.LBB50_11:                              ;   in Loop: Header=BB50_9 Depth=2
	s_or_b32 exec_lo, exec_lo, s14
	s_and_saveexec_b32 s14, s3
	s_cbranch_execz .LBB50_8
	s_branch .LBB50_16
.LBB50_12:                              ;   in Loop: Header=BB50_9 Depth=2
	s_wait_loadcnt 0x0
	v_ashrrev_i32_e32 v11, 31, v10
	s_mov_b32 s3, exec_lo
	s_delay_alu instid0(VALU_DEP_1) | instskip(NEXT) | instid1(VALU_DEP_1)
	v_mul_u64_e32 v[16:17], s[8:9], v[10:11]
	v_lshl_add_u64 v[16:17], v[16:17], 2, v[6:7]
	global_load_b32 v11, v[16:17], off
	s_wait_xcnt 0x0
	s_or_saveexec_b32 s14, s14
	v_mov_b32_e32 v15, v10
	s_xor_b32 exec_lo, exec_lo, s14
	s_cbranch_execz .LBB50_11
.LBB50_13:                              ;   in Loop: Header=BB50_9 Depth=2
	v_cmp_eq_u32_e32 vcc_lo, v2, v10
	s_mov_b32 s22, s3
                                        ; implicit-def: $vgpr11
	s_and_b32 s23, s33, vcc_lo
	s_delay_alu instid0(SALU_CYCLE_1)
	s_and_saveexec_b32 s15, s23
	s_cbranch_execz .LBB50_15
; %bb.14:                               ;   in Loop: Header=BB50_9 Depth=2
	s_wait_loadcnt 0x0
	global_load_b32 v11, v[8:9], off
	s_or_b32 s22, s3, exec_lo
	s_wait_loadcnt 0x0
	v_div_scale_f32 v15, null, v11, v11, 1.0
	s_delay_alu instid0(VALU_DEP_1) | instskip(SKIP_1) | instid1(TRANS32_DEP_1)
	v_rcp_f32_e32 v16, v15
	v_nop
	v_fma_f32 v17, -v15, v16, 1.0
	s_delay_alu instid0(VALU_DEP_1) | instskip(SKIP_1) | instid1(VALU_DEP_1)
	v_fmac_f32_e32 v16, v17, v16
	v_div_scale_f32 v17, vcc_lo, 1.0, v11, 1.0
	v_mul_f32_e32 v18, v17, v16
	s_delay_alu instid0(VALU_DEP_1) | instskip(NEXT) | instid1(VALU_DEP_1)
	v_fma_f32 v19, -v15, v18, v17
	v_fmac_f32_e32 v18, v19, v16
	s_delay_alu instid0(VALU_DEP_1) | instskip(NEXT) | instid1(VALU_DEP_1)
	v_fma_f32 v15, -v15, v18, v17
	v_div_fmas_f32 v15, v15, v16, v18
	s_delay_alu instid0(VALU_DEP_1)
	v_div_fixup_f32 v11, v15, v11, 1.0
.LBB50_15:                              ;   in Loop: Header=BB50_9 Depth=2
	s_wait_xcnt 0x0
	s_or_b32 exec_lo, exec_lo, s15
	v_mov_b32_e32 v15, v2
	s_and_not1_b32 s3, s3, exec_lo
	s_and_b32 s15, s22, exec_lo
	s_delay_alu instid0(SALU_CYCLE_1)
	s_or_b32 s3, s3, s15
	s_or_b32 exec_lo, exec_lo, s14
	s_and_saveexec_b32 s14, s3
	s_cbranch_execz .LBB50_8
.LBB50_16:                              ;   in Loop: Header=BB50_9 Depth=2
	s_load_b32 s3, s[16:17], 0xc
	s_wait_kmcnt 0x0
	s_and_b32 s3, s3, 0xffff
	s_delay_alu instid0(SALU_CYCLE_1) | instskip(NEXT) | instid1(VALU_DEP_1)
	v_mul_lo_u32 v15, v15, s3
	v_lshl_add_u32 v15, v15, 2, v14
	s_wait_loadcnt 0x0
	ds_store_b32 v15, v11
	s_branch .LBB50_8
.LBB50_17:                              ;   in Loop: Header=BB50_4 Depth=1
	s_load_b32 s2, s[16:17], 0xc
	s_mov_b32 s9, s27
	s_wait_kmcnt 0x0
	s_and_b32 s8, s2, 0xffff
	s_mov_b64 s[2:3], s[12:13]
	s_and_saveexec_b32 s34, s29
	s_cbranch_execz .LBB50_3
.LBB50_18:                              ;   in Loop: Header=BB50_4 Depth=1
	s_mul_u64 s[14:15], s[18:19], s[26:27]
	s_and_not1_b32 vcc_lo, exec_lo, s31
	v_lshl_add_u64 v[6:7], s[14:15], 2, v[4:5]
	global_load_b32 v8, v[6:7], off
	s_wait_loadcnt 0x0
	v_mul_f32_e32 v15, s30, v8
	s_cbranch_vccnz .LBB50_25
; %bb.19:                               ;   in Loop: Header=BB50_4 Depth=1
	v_mad_nc_u64_u32 v[10:11], v2, s8, v[2:3]
	v_add_nc_u64_e32 v[8:9], s[2:3], v[0:1]
	s_lshl_b64 s[14:15], s[8:9], 2
	s_mov_b64 s[22:23], 0
	s_delay_alu instid0(VALU_DEP_2) | instskip(NEXT) | instid1(VALU_DEP_1)
	v_mad_u32 v11, v2, s9, v11
	v_lshl_add_u64 v[10:11], v[10:11], 2, s[2:3]
	s_branch .LBB50_21
.LBB50_20:                              ;   in Loop: Header=BB50_21 Depth=2
	s_wait_xcnt 0x0
	s_or_b32 exec_lo, exec_lo, s35
	v_add_nc_u64_e32 v[8:9], s[14:15], v[8:9]
	s_add_nc_u64 s[22:23], s[22:23], 1
	s_delay_alu instid0(SALU_CYCLE_1)
	s_cmp_eq_u64 s[6:7], s[22:23]
	s_cbranch_scc1 .LBB50_25
.LBB50_21:                              ;   Parent Loop BB50_4 Depth=1
                                        ; =>  This Inner Loop Header: Depth=2
	s_mov_b32 s35, exec_lo
	s_wait_dscnt 0x0
	s_barrier_signal -1
	s_barrier_wait -1
	s_wait_xcnt 0x0
	v_cmpx_eq_u64_e64 s[22:23], v[2:3]
	s_cbranch_execz .LBB50_23
; %bb.22:                               ;   in Loop: Header=BB50_21 Depth=2
	flat_load_b32 v16, v[10:11]
	s_wait_loadcnt_dscnt 0x0
	v_div_scale_f32 v17, null, v16, v16, 1.0
	s_delay_alu instid0(VALU_DEP_1) | instskip(SKIP_1) | instid1(TRANS32_DEP_1)
	v_rcp_f32_e32 v18, v17
	v_nop
	v_fma_f32 v19, -v17, v18, 1.0
	s_delay_alu instid0(VALU_DEP_1) | instskip(SKIP_1) | instid1(VALU_DEP_1)
	v_fmac_f32_e32 v18, v19, v18
	v_div_scale_f32 v19, vcc_lo, 1.0, v16, 1.0
	v_mul_f32_e32 v20, v19, v18
	s_delay_alu instid0(VALU_DEP_1) | instskip(NEXT) | instid1(VALU_DEP_1)
	v_fma_f32 v21, -v17, v20, v19
	v_fmac_f32_e32 v20, v21, v18
	s_delay_alu instid0(VALU_DEP_1) | instskip(NEXT) | instid1(VALU_DEP_1)
	v_fma_f32 v17, -v17, v20, v19
	v_div_fmas_f32 v17, v17, v18, v20
	s_delay_alu instid0(VALU_DEP_1) | instskip(NEXT) | instid1(VALU_DEP_1)
	v_div_fixup_f32 v17, v17, v16, 1.0
	v_cndmask_b32_e64 v16, v17, v16, s0
	s_delay_alu instid0(VALU_DEP_1)
	v_mul_f32_e32 v15, v15, v16
	ds_store_b32 v13, v15
.LBB50_23:                              ;   in Loop: Header=BB50_21 Depth=2
	s_wait_xcnt 0x0
	s_or_b32 exec_lo, exec_lo, s35
	s_delay_alu instid0(SALU_CYCLE_1)
	s_mov_b32 s35, exec_lo
	s_wait_dscnt 0x0
	s_barrier_signal -1
	s_barrier_wait -1
	v_cmpx_lt_u64_e64 s[22:23], v[2:3]
	s_cbranch_execz .LBB50_20
; %bb.24:                               ;   in Loop: Header=BB50_21 Depth=2
	flat_load_b32 v16, v[8:9]
	ds_load_b32 v17, v13
	s_wait_loadcnt_dscnt 0x0
	v_fma_f32 v15, -v16, v17, v15
	s_branch .LBB50_20
.LBB50_25:                              ;   in Loop: Header=BB50_4 Depth=1
	s_wait_xcnt 0x0
	s_and_saveexec_b32 s14, s1
	s_cbranch_execz .LBB50_2
; %bb.26:                               ;   in Loop: Header=BB50_4 Depth=1
	v_mad_nc_u64_u32 v[8:9], v2, s8, v[2:3]
	s_delay_alu instid0(VALU_DEP_1) | instskip(NEXT) | instid1(VALU_DEP_1)
	v_mad_u32 v9, v2, s9, v9
	v_lshl_add_u64 v[8:9], v[8:9], 2, s[2:3]
	flat_load_b32 v8, v[8:9]
	s_wait_loadcnt_dscnt 0x0
	s_wait_xcnt 0x0
	v_div_scale_f32 v9, null, v8, v8, 1.0
	s_delay_alu instid0(VALU_DEP_1) | instskip(SKIP_1) | instid1(TRANS32_DEP_1)
	v_rcp_f32_e32 v10, v9
	v_nop
	v_fma_f32 v11, -v9, v10, 1.0
	s_delay_alu instid0(VALU_DEP_1) | instskip(SKIP_1) | instid1(VALU_DEP_1)
	v_fmac_f32_e32 v10, v11, v10
	v_div_scale_f32 v11, vcc_lo, 1.0, v8, 1.0
	v_mul_f32_e32 v16, v11, v10
	s_delay_alu instid0(VALU_DEP_1) | instskip(NEXT) | instid1(VALU_DEP_1)
	v_fma_f32 v17, -v9, v16, v11
	v_fmac_f32_e32 v16, v17, v10
	s_delay_alu instid0(VALU_DEP_1) | instskip(NEXT) | instid1(VALU_DEP_1)
	v_fma_f32 v9, -v9, v16, v11
	v_div_fmas_f32 v9, v9, v10, v16
	s_delay_alu instid0(VALU_DEP_1) | instskip(NEXT) | instid1(VALU_DEP_1)
	v_div_fixup_f32 v9, v9, v8, 1.0
	v_cndmask_b32_e64 v8, v9, v8, s0
	s_delay_alu instid0(VALU_DEP_1)
	v_mul_f32_e32 v15, v15, v8
	s_branch .LBB50_2
.LBB50_27:
	s_endpgm
	.section	.rodata,"a",@progbits
	.p2align	6, 0x0
	.amdhsa_kernel _ZL39rocblas_trsm_block_forward_substitutionIffPKfPfLb0ELb1ELb0EEv18rocblas_operation_llT0_T1_lllT2_lllib
		.amdhsa_group_segment_fixed_size 0
		.amdhsa_private_segment_fixed_size 0
		.amdhsa_kernarg_size 360
		.amdhsa_user_sgpr_count 2
		.amdhsa_user_sgpr_dispatch_ptr 0
		.amdhsa_user_sgpr_queue_ptr 0
		.amdhsa_user_sgpr_kernarg_segment_ptr 1
		.amdhsa_user_sgpr_dispatch_id 0
		.amdhsa_user_sgpr_kernarg_preload_length 0
		.amdhsa_user_sgpr_kernarg_preload_offset 0
		.amdhsa_user_sgpr_private_segment_size 0
		.amdhsa_wavefront_size32 1
		.amdhsa_uses_dynamic_stack 0
		.amdhsa_enable_private_segment 0
		.amdhsa_system_sgpr_workgroup_id_x 1
		.amdhsa_system_sgpr_workgroup_id_y 1
		.amdhsa_system_sgpr_workgroup_id_z 1
		.amdhsa_system_sgpr_workgroup_info 0
		.amdhsa_system_vgpr_workitem_id 1
		.amdhsa_next_free_vgpr 22
		.amdhsa_next_free_sgpr 36
		.amdhsa_named_barrier_count 0
		.amdhsa_reserve_vcc 1
		.amdhsa_float_round_mode_32 0
		.amdhsa_float_round_mode_16_64 0
		.amdhsa_float_denorm_mode_32 3
		.amdhsa_float_denorm_mode_16_64 3
		.amdhsa_fp16_overflow 0
		.amdhsa_memory_ordered 1
		.amdhsa_forward_progress 1
		.amdhsa_inst_pref_size 12
		.amdhsa_round_robin_scheduling 0
		.amdhsa_exception_fp_ieee_invalid_op 0
		.amdhsa_exception_fp_denorm_src 0
		.amdhsa_exception_fp_ieee_div_zero 0
		.amdhsa_exception_fp_ieee_overflow 0
		.amdhsa_exception_fp_ieee_underflow 0
		.amdhsa_exception_fp_ieee_inexact 0
		.amdhsa_exception_int_div_zero 0
	.end_amdhsa_kernel
	.section	.text._ZL39rocblas_trsm_block_forward_substitutionIffPKfPfLb0ELb1ELb0EEv18rocblas_operation_llT0_T1_lllT2_lllib,"axG",@progbits,_ZL39rocblas_trsm_block_forward_substitutionIffPKfPfLb0ELb1ELb0EEv18rocblas_operation_llT0_T1_lllT2_lllib,comdat
.Lfunc_end50:
	.size	_ZL39rocblas_trsm_block_forward_substitutionIffPKfPfLb0ELb1ELb0EEv18rocblas_operation_llT0_T1_lllT2_lllib, .Lfunc_end50-_ZL39rocblas_trsm_block_forward_substitutionIffPKfPfLb0ELb1ELb0EEv18rocblas_operation_llT0_T1_lllT2_lllib
                                        ; -- End function
	.set _ZL39rocblas_trsm_block_forward_substitutionIffPKfPfLb0ELb1ELb0EEv18rocblas_operation_llT0_T1_lllT2_lllib.num_vgpr, 22
	.set _ZL39rocblas_trsm_block_forward_substitutionIffPKfPfLb0ELb1ELb0EEv18rocblas_operation_llT0_T1_lllT2_lllib.num_agpr, 0
	.set _ZL39rocblas_trsm_block_forward_substitutionIffPKfPfLb0ELb1ELb0EEv18rocblas_operation_llT0_T1_lllT2_lllib.numbered_sgpr, 36
	.set _ZL39rocblas_trsm_block_forward_substitutionIffPKfPfLb0ELb1ELb0EEv18rocblas_operation_llT0_T1_lllT2_lllib.num_named_barrier, 0
	.set _ZL39rocblas_trsm_block_forward_substitutionIffPKfPfLb0ELb1ELb0EEv18rocblas_operation_llT0_T1_lllT2_lllib.private_seg_size, 0
	.set _ZL39rocblas_trsm_block_forward_substitutionIffPKfPfLb0ELb1ELb0EEv18rocblas_operation_llT0_T1_lllT2_lllib.uses_vcc, 1
	.set _ZL39rocblas_trsm_block_forward_substitutionIffPKfPfLb0ELb1ELb0EEv18rocblas_operation_llT0_T1_lllT2_lllib.uses_flat_scratch, 0
	.set _ZL39rocblas_trsm_block_forward_substitutionIffPKfPfLb0ELb1ELb0EEv18rocblas_operation_llT0_T1_lllT2_lllib.has_dyn_sized_stack, 0
	.set _ZL39rocblas_trsm_block_forward_substitutionIffPKfPfLb0ELb1ELb0EEv18rocblas_operation_llT0_T1_lllT2_lllib.has_recursion, 0
	.set _ZL39rocblas_trsm_block_forward_substitutionIffPKfPfLb0ELb1ELb0EEv18rocblas_operation_llT0_T1_lllT2_lllib.has_indirect_call, 0
	.section	.AMDGPU.csdata,"",@progbits
; Kernel info:
; codeLenInByte = 1424
; TotalNumSgprs: 38
; NumVgprs: 22
; ScratchSize: 0
; MemoryBound: 0
; FloatMode: 240
; IeeeMode: 1
; LDSByteSize: 0 bytes/workgroup (compile time only)
; SGPRBlocks: 0
; VGPRBlocks: 1
; NumSGPRsForWavesPerEU: 38
; NumVGPRsForWavesPerEU: 22
; NamedBarCnt: 0
; Occupancy: 16
; WaveLimiterHint : 0
; COMPUTE_PGM_RSRC2:SCRATCH_EN: 0
; COMPUTE_PGM_RSRC2:USER_SGPR: 2
; COMPUTE_PGM_RSRC2:TRAP_HANDLER: 0
; COMPUTE_PGM_RSRC2:TGID_X_EN: 1
; COMPUTE_PGM_RSRC2:TGID_Y_EN: 1
; COMPUTE_PGM_RSRC2:TGID_Z_EN: 1
; COMPUTE_PGM_RSRC2:TIDIG_COMP_CNT: 1
	.section	.text._ZL40rocblas_trsm_block_backward_substitutionIffPKfPfLb0ELb1ELb0EEv18rocblas_operation_llT0_T1_lllT2_lllib,"axG",@progbits,_ZL40rocblas_trsm_block_backward_substitutionIffPKfPfLb0ELb1ELb0EEv18rocblas_operation_llT0_T1_lllT2_lllib,comdat
	.globl	_ZL40rocblas_trsm_block_backward_substitutionIffPKfPfLb0ELb1ELb0EEv18rocblas_operation_llT0_T1_lllT2_lllib ; -- Begin function _ZL40rocblas_trsm_block_backward_substitutionIffPKfPfLb0ELb1ELb0EEv18rocblas_operation_llT0_T1_lllT2_lllib
	.p2align	8
	.type	_ZL40rocblas_trsm_block_backward_substitutionIffPKfPfLb0ELb1ELb0EEv18rocblas_operation_llT0_T1_lllT2_lllib,@function
_ZL40rocblas_trsm_block_backward_substitutionIffPKfPfLb0ELb1ELb0EEv18rocblas_operation_llT0_T1_lllT2_lllib: ; @_ZL40rocblas_trsm_block_backward_substitutionIffPKfPfLb0ELb1ELb0EEv18rocblas_operation_llT0_T1_lllT2_lllib
; %bb.0:
	s_load_b64 s[24:25], s[0:1], 0x60
	s_bfe_u32 s2, ttmp6, 0x40014
	s_lshr_b32 s4, ttmp7, 16
	s_add_co_i32 s2, s2, 1
	s_bfe_u32 s5, ttmp6, 0x40008
	s_mul_i32 s2, s4, s2
	s_getreg_b32 s3, hwreg(HW_REG_IB_STS2, 6, 4)
	s_add_co_i32 s5, s5, s2
	s_cmp_eq_u32 s3, 0
	s_mov_b32 s27, 0
	s_cselect_b32 s26, s4, s5
	s_wait_kmcnt 0x0
	s_cmp_ge_u32 s26, s24
	s_cbranch_scc1 .LBB51_29
; %bb.1:
	s_clause 0x1
	s_load_b512 s[4:19], s[0:1], 0x20
	s_load_u16 s33, s[0:1], 0x76
	s_bitcmp1_b32 s25, 0
	v_bfe_u32 v16, v0, 10, 10
	s_cselect_b32 s2, -1, 0
	s_bfe_u32 s20, ttmp6, 0x40010
	s_and_b32 s21, ttmp7, 0xffff
	s_add_co_i32 s20, s20, 1
	s_bfe_u32 s22, ttmp6, 0x40004
	s_mul_i32 s20, s21, s20
	v_and_b32_e32 v0, 0x3ff, v0
	s_add_co_i32 s22, s22, s20
	v_mov_b32_e32 v3, 0
	v_lshl_add_u32 v17, v16, 2, 0
	s_mov_b64 s[28:29], src_shared_base
	s_load_b32 s25, s[0:1], 0x18
	s_wait_kmcnt 0x0
	s_lshl_b64 s[30:31], s[6:7], 2
	s_lshl_b64 s[34:35], s[14:15], 2
	s_cmp_eq_u32 s3, 0
	s_add_nc_u64 s[12:13], s[12:13], s[34:35]
	s_cselect_b32 s3, s21, s22
	s_load_b128 s[20:23], s[0:1], 0x8
	v_mad_u32 v2, s3, s33, v16
	s_add_nc_u64 s[6:7], s[0:1], 0x68
	s_lshl_b32 s3, s33, 2
	s_wait_xcnt 0x0
	v_cmp_eq_u32_e64 s0, 0, v0
	s_add_co_i32 s14, s3, 0
	s_mov_b32 s15, s29
	v_lshl_add_u32 v18, v0, 2, s14
	s_add_nc_u64 s[4:5], s[4:5], s[30:31]
	v_mul_u64_e32 v[8:9], s[16:17], v[2:3]
	s_wait_kmcnt 0x0
	v_cmp_gt_i64_e32 vcc_lo, s[22:23], v[2:3]
	v_dual_mov_b32 v1, v3 :: v_dual_lshlrev_b32 v2, 2, v0
	v_cmp_gt_i64_e64 s39, s[20:21], 0
	v_cmp_gt_i64_e64 s40, s[20:21], 1
	s_add_nc_u64 s[16:17], s[20:21], -1
	v_mul_u64_e32 v[4:5], s[8:9], v[0:1]
	v_lshlrev_b64_e32 v[6:7], 2, v[0:1]
	v_cmp_le_i64_e64 s38, s[20:21], v[0:1]
	v_cmp_gt_i64_e64 s1, s[20:21], v[0:1]
	s_xor_b32 s42, s38, -1
	s_and_b32 s41, vcc_lo, s1
	v_lshl_add_u64 v[8:9], v[8:9], 2, s[12:13]
	s_lshl_b64 s[12:13], s[16:17], 2
	s_delay_alu instid0(VALU_DEP_1)
	v_add_nc_u64_e32 v[8:9], v[8:9], v[6:7]
	s_branch .LBB51_4
.LBB51_2:                               ;   in Loop: Header=BB51_4 Depth=1
	s_or_b32 exec_lo, exec_lo, s34
	global_store_b32 v[10:11], v7, off
.LBB51_3:                               ;   in Loop: Header=BB51_4 Depth=1
	s_wait_xcnt 0x0
	s_or_b32 exec_lo, exec_lo, s3
	s_add_co_i32 s26, s26, 0x10000
	s_delay_alu instid0(SALU_CYCLE_1)
	s_cmp_lt_u32 s26, s24
	s_cbranch_scc0 .LBB51_29
.LBB51_4:                               ; =>This Loop Header: Depth=1
                                        ;     Child Loop BB51_8 Depth 2
                                        ;     Child Loop BB51_23 Depth 2
	s_mul_u64 s[22:23], s[10:11], s[26:27]
	s_and_not1_b32 vcc_lo, exec_lo, s2
	s_lshl_b64 s[22:23], s[22:23], 2
	s_delay_alu instid0(SALU_CYCLE_1)
	s_add_nc_u64 s[22:23], s[4:5], s[22:23]
	s_cbranch_vccnz .LBB51_18
; %bb.5:                                ;   in Loop: Header=BB51_4 Depth=1
	s_and_not1_b32 vcc_lo, exec_lo, s39
	s_cbranch_vccnz .LBB51_19
; %bb.6:                                ;   in Loop: Header=BB51_4 Depth=1
	v_lshl_add_u64 v[10:11], v[4:5], 2, s[22:23]
	v_mov_b32_e32 v14, v16
	s_mov_b32 s22, s33
	s_delay_alu instid0(VALU_DEP_2)
	v_add_nc_u64_e32 v[12:13], v[10:11], v[2:3]
	s_branch .LBB51_8
.LBB51_7:                               ;   in Loop: Header=BB51_8 Depth=2
	s_or_b32 exec_lo, exec_lo, s23
	s_ashr_i32 s23, s22, 31
	v_add_nc_u32_e32 v14, s33, v14
	v_cmp_le_i64_e64 s3, s[20:21], s[22:23]
	s_add_co_i32 s22, s22, s33
	s_and_b32 vcc_lo, exec_lo, s3
	s_cbranch_vccnz .LBB51_19
.LBB51_8:                               ;   Parent Loop BB51_4 Depth=1
                                        ; =>  This Inner Loop Header: Depth=2
	s_mov_b32 s3, 0
	s_mov_b32 s28, s38
                                        ; implicit-def: $vgpr7
	s_and_saveexec_b32 s23, s1
	s_cbranch_execnz .LBB51_11
; %bb.9:                                ;   in Loop: Header=BB51_8 Depth=2
	s_or_b32 exec_lo, exec_lo, s23
	v_mov_b32_e32 v15, v14
	s_and_saveexec_b32 s23, s28
	s_cbranch_execnz .LBB51_14
.LBB51_10:                              ;   in Loop: Header=BB51_8 Depth=2
	s_or_b32 exec_lo, exec_lo, s23
	s_and_saveexec_b32 s23, s3
	s_cbranch_execz .LBB51_7
	s_branch .LBB51_17
.LBB51_11:                              ;   in Loop: Header=BB51_8 Depth=2
	v_ashrrev_i32_e32 v15, 31, v14
	v_cmp_lt_i32_e64 s3, v0, v14
	s_mov_b32 s28, -1
                                        ; implicit-def: $vgpr7
	v_cmp_gt_i64_e32 vcc_lo, s[20:21], v[14:15]
	s_and_b32 s30, s3, vcc_lo
	s_mov_b32 s3, 0
	s_and_saveexec_b32 s29, s30
	s_cbranch_execz .LBB51_13
; %bb.12:                               ;   in Loop: Header=BB51_8 Depth=2
	v_lshl_add_u64 v[20:21], v[14:15], 2, v[10:11]
	s_mov_b32 s3, exec_lo
	s_xor_b32 s28, exec_lo, -1
	s_wait_loadcnt 0x0
	global_load_b32 v7, v[20:21], off
.LBB51_13:                              ;   in Loop: Header=BB51_8 Depth=2
	s_wait_xcnt 0x0
	s_or_b32 exec_lo, exec_lo, s29
	s_delay_alu instid0(SALU_CYCLE_1)
	s_and_not1_b32 s29, s38, exec_lo
	s_and_b32 s28, s28, exec_lo
	s_and_b32 s3, s3, exec_lo
	s_or_b32 s28, s29, s28
	s_or_b32 exec_lo, exec_lo, s23
	v_mov_b32_e32 v15, v14
	s_and_saveexec_b32 s23, s28
	s_cbranch_execz .LBB51_10
.LBB51_14:                              ;   in Loop: Header=BB51_8 Depth=2
	v_cmp_eq_u32_e32 vcc_lo, v0, v14
	s_mov_b32 s29, s3
                                        ; implicit-def: $vgpr7
	s_and_b32 s30, s42, vcc_lo
	s_delay_alu instid0(SALU_CYCLE_1)
	s_and_saveexec_b32 s28, s30
	s_cbranch_execz .LBB51_16
; %bb.15:                               ;   in Loop: Header=BB51_8 Depth=2
	s_wait_loadcnt 0x0
	global_load_b32 v7, v[12:13], off
	s_or_b32 s29, s3, exec_lo
	s_wait_loadcnt 0x0
	v_div_scale_f32 v15, null, v7, v7, 1.0
	s_delay_alu instid0(VALU_DEP_1) | instskip(SKIP_1) | instid1(TRANS32_DEP_1)
	v_rcp_f32_e32 v19, v15
	v_nop
	v_fma_f32 v20, -v15, v19, 1.0
	s_delay_alu instid0(VALU_DEP_1) | instskip(SKIP_1) | instid1(VALU_DEP_1)
	v_fmac_f32_e32 v19, v20, v19
	v_div_scale_f32 v20, vcc_lo, 1.0, v7, 1.0
	v_mul_f32_e32 v21, v20, v19
	s_delay_alu instid0(VALU_DEP_1) | instskip(NEXT) | instid1(VALU_DEP_1)
	v_fma_f32 v22, -v15, v21, v20
	v_fmac_f32_e32 v21, v22, v19
	s_delay_alu instid0(VALU_DEP_1) | instskip(NEXT) | instid1(VALU_DEP_1)
	v_fma_f32 v15, -v15, v21, v20
	v_div_fmas_f32 v15, v15, v19, v21
	s_delay_alu instid0(VALU_DEP_1)
	v_div_fixup_f32 v7, v15, v7, 1.0
.LBB51_16:                              ;   in Loop: Header=BB51_8 Depth=2
	s_wait_xcnt 0x0
	s_or_b32 exec_lo, exec_lo, s28
	v_mov_b32_e32 v15, v0
	s_and_not1_b32 s3, s3, exec_lo
	s_and_b32 s28, s29, exec_lo
	s_delay_alu instid0(SALU_CYCLE_1)
	s_or_b32 s3, s3, s28
	s_or_b32 exec_lo, exec_lo, s23
	s_and_saveexec_b32 s23, s3
	s_cbranch_execz .LBB51_7
.LBB51_17:                              ;   in Loop: Header=BB51_8 Depth=2
	s_load_b32 s3, s[6:7], 0xc
	s_wait_kmcnt 0x0
	s_and_b32 s3, s3, 0xffff
	s_delay_alu instid0(SALU_CYCLE_1) | instskip(NEXT) | instid1(VALU_DEP_1)
	v_mul_lo_u32 v15, v15, s3
	v_lshl_add_u32 v15, v15, 2, v18
	s_wait_loadcnt 0x0
	ds_store_b32 v15, v7
	s_branch .LBB51_7
.LBB51_18:                              ;   in Loop: Header=BB51_4 Depth=1
	s_mov_b64 s[28:29], 1
	s_mov_b64 s[30:31], s[8:9]
	s_and_saveexec_b32 s3, s41
	s_cbranch_execz .LBB51_3
	s_branch .LBB51_20
.LBB51_19:                              ;   in Loop: Header=BB51_4 Depth=1
	s_load_b32 s3, s[6:7], 0xc
	s_mov_b32 s29, s27
	s_mov_b64 s[30:31], 1
	s_mov_b64 s[22:23], s[14:15]
	s_wait_kmcnt 0x0
	s_and_b32 s28, s3, 0xffff
	s_and_saveexec_b32 s3, s41
	s_cbranch_execz .LBB51_3
.LBB51_20:                              ;   in Loop: Header=BB51_4 Depth=1
	s_mul_u64 s[34:35], s[18:19], s[26:27]
	s_and_not1_b32 vcc_lo, exec_lo, s40
	v_lshl_add_u64 v[10:11], s[34:35], 2, v[8:9]
	s_wait_loadcnt 0x0
	global_load_b32 v7, v[10:11], off
	s_wait_loadcnt 0x0
	v_mul_f32_e32 v7, s25, v7
	s_cbranch_vccnz .LBB51_27
; %bb.21:                               ;   in Loop: Header=BB51_4 Depth=1
	s_add_nc_u64 s[34:35], s[28:29], s[30:31]
	s_mov_b64 s[36:37], s[16:17]
	v_mul_u64_e32 v[14:15], s[34:35], v[0:1]
	s_mul_u64 s[34:35], s[12:13], s[28:29]
	s_delay_alu instid0(SALU_CYCLE_1) | instskip(NEXT) | instid1(SALU_CYCLE_1)
	s_add_nc_u64 s[34:35], s[22:23], s[34:35]
	v_mad_nc_u64_u32 v[12:13], v6, s30, s[34:35]
	s_lshl_b32 s34, s28, 2
	s_mov_b32 s35, s27
	s_delay_alu instid0(SALU_CYCLE_1) | instskip(NEXT) | instid1(VALU_DEP_1)
	s_sub_nc_u64 s[34:35], 0, s[34:35]
	v_mad_u32 v13, v6, s31, v13
	s_delay_alu instid0(VALU_DEP_3)
	v_lshl_add_u64 v[14:15], v[14:15], 2, s[22:23]
	s_branch .LBB51_23
.LBB51_22:                              ;   in Loop: Header=BB51_23 Depth=2
	s_wait_xcnt 0x0
	s_or_b32 exec_lo, exec_lo, s43
	s_add_nc_u64 s[44:45], s[36:37], 1
	v_add_nc_u64_e32 v[12:13], s[34:35], v[12:13]
	v_cmp_lt_u64_e64 s43, s[44:45], 3
	s_add_nc_u64 s[36:37], s[36:37], -1
	s_and_b32 vcc_lo, exec_lo, s43
	s_cbranch_vccnz .LBB51_27
.LBB51_23:                              ;   Parent Loop BB51_4 Depth=1
                                        ; =>  This Inner Loop Header: Depth=2
	s_mov_b32 s43, exec_lo
	s_wait_dscnt 0x0
	s_barrier_signal -1
	s_barrier_wait -1
	s_wait_xcnt 0x0
	v_cmpx_eq_u64_e64 s[36:37], v[0:1]
	s_cbranch_execz .LBB51_25
; %bb.24:                               ;   in Loop: Header=BB51_23 Depth=2
	flat_load_b32 v19, v[14:15]
	s_wait_loadcnt_dscnt 0x0
	v_div_scale_f32 v20, null, v19, v19, 1.0
	s_delay_alu instid0(VALU_DEP_1) | instskip(SKIP_1) | instid1(TRANS32_DEP_1)
	v_rcp_f32_e32 v21, v20
	v_nop
	v_fma_f32 v22, -v20, v21, 1.0
	s_delay_alu instid0(VALU_DEP_1) | instskip(SKIP_1) | instid1(VALU_DEP_1)
	v_fmac_f32_e32 v21, v22, v21
	v_div_scale_f32 v22, vcc_lo, 1.0, v19, 1.0
	v_mul_f32_e32 v23, v22, v21
	s_delay_alu instid0(VALU_DEP_1) | instskip(NEXT) | instid1(VALU_DEP_1)
	v_fma_f32 v24, -v20, v23, v22
	v_fmac_f32_e32 v23, v24, v21
	s_delay_alu instid0(VALU_DEP_1) | instskip(NEXT) | instid1(VALU_DEP_1)
	v_fma_f32 v20, -v20, v23, v22
	v_div_fmas_f32 v20, v20, v21, v23
	s_delay_alu instid0(VALU_DEP_1) | instskip(NEXT) | instid1(VALU_DEP_1)
	v_div_fixup_f32 v20, v20, v19, 1.0
	v_cndmask_b32_e64 v19, v20, v19, s2
	s_delay_alu instid0(VALU_DEP_1)
	v_mul_f32_e32 v7, v7, v19
	ds_store_b32 v17, v7
.LBB51_25:                              ;   in Loop: Header=BB51_23 Depth=2
	s_wait_xcnt 0x0
	s_or_b32 exec_lo, exec_lo, s43
	s_delay_alu instid0(SALU_CYCLE_1)
	s_mov_b32 s43, exec_lo
	s_wait_dscnt 0x0
	s_barrier_signal -1
	s_barrier_wait -1
	v_cmpx_gt_i64_e64 s[36:37], v[0:1]
	s_cbranch_execz .LBB51_22
; %bb.26:                               ;   in Loop: Header=BB51_23 Depth=2
	flat_load_b32 v19, v[12:13]
	ds_load_b32 v20, v17
	s_wait_loadcnt_dscnt 0x0
	v_fma_f32 v7, -v19, v20, v7
	s_branch .LBB51_22
.LBB51_27:                              ;   in Loop: Header=BB51_4 Depth=1
	s_wait_xcnt 0x0
	s_and_saveexec_b32 s34, s0
	s_cbranch_execz .LBB51_2
; %bb.28:                               ;   in Loop: Header=BB51_4 Depth=1
	s_add_nc_u64 s[28:29], s[28:29], s[30:31]
	s_delay_alu instid0(SALU_CYCLE_1) | instskip(NEXT) | instid1(VALU_DEP_1)
	v_mul_u64_e32 v[12:13], s[28:29], v[0:1]
	v_lshl_add_u64 v[12:13], v[12:13], 2, s[22:23]
	flat_load_b32 v12, v[12:13]
	s_wait_loadcnt_dscnt 0x0
	s_wait_xcnt 0x0
	v_div_scale_f32 v13, null, v12, v12, 1.0
	s_delay_alu instid0(VALU_DEP_1) | instskip(SKIP_1) | instid1(TRANS32_DEP_1)
	v_rcp_f32_e32 v14, v13
	v_nop
	v_fma_f32 v15, -v13, v14, 1.0
	s_delay_alu instid0(VALU_DEP_1) | instskip(SKIP_1) | instid1(VALU_DEP_1)
	v_fmac_f32_e32 v14, v15, v14
	v_div_scale_f32 v15, vcc_lo, 1.0, v12, 1.0
	v_mul_f32_e32 v19, v15, v14
	s_delay_alu instid0(VALU_DEP_1) | instskip(NEXT) | instid1(VALU_DEP_1)
	v_fma_f32 v20, -v13, v19, v15
	v_fmac_f32_e32 v19, v20, v14
	s_delay_alu instid0(VALU_DEP_1) | instskip(NEXT) | instid1(VALU_DEP_1)
	v_fma_f32 v13, -v13, v19, v15
	v_div_fmas_f32 v13, v13, v14, v19
	s_delay_alu instid0(VALU_DEP_1) | instskip(NEXT) | instid1(VALU_DEP_1)
	v_div_fixup_f32 v13, v13, v12, 1.0
	v_cndmask_b32_e64 v12, v13, v12, s2
	s_delay_alu instid0(VALU_DEP_1)
	v_mul_f32_e32 v7, v7, v12
	s_branch .LBB51_2
.LBB51_29:
	s_endpgm
	.section	.rodata,"a",@progbits
	.p2align	6, 0x0
	.amdhsa_kernel _ZL40rocblas_trsm_block_backward_substitutionIffPKfPfLb0ELb1ELb0EEv18rocblas_operation_llT0_T1_lllT2_lllib
		.amdhsa_group_segment_fixed_size 0
		.amdhsa_private_segment_fixed_size 0
		.amdhsa_kernarg_size 360
		.amdhsa_user_sgpr_count 2
		.amdhsa_user_sgpr_dispatch_ptr 0
		.amdhsa_user_sgpr_queue_ptr 0
		.amdhsa_user_sgpr_kernarg_segment_ptr 1
		.amdhsa_user_sgpr_dispatch_id 0
		.amdhsa_user_sgpr_kernarg_preload_length 0
		.amdhsa_user_sgpr_kernarg_preload_offset 0
		.amdhsa_user_sgpr_private_segment_size 0
		.amdhsa_wavefront_size32 1
		.amdhsa_uses_dynamic_stack 0
		.amdhsa_enable_private_segment 0
		.amdhsa_system_sgpr_workgroup_id_x 1
		.amdhsa_system_sgpr_workgroup_id_y 1
		.amdhsa_system_sgpr_workgroup_id_z 1
		.amdhsa_system_sgpr_workgroup_info 0
		.amdhsa_system_vgpr_workitem_id 1
		.amdhsa_next_free_vgpr 25
		.amdhsa_next_free_sgpr 46
		.amdhsa_named_barrier_count 0
		.amdhsa_reserve_vcc 1
		.amdhsa_float_round_mode_32 0
		.amdhsa_float_round_mode_16_64 0
		.amdhsa_float_denorm_mode_32 3
		.amdhsa_float_denorm_mode_16_64 3
		.amdhsa_fp16_overflow 0
		.amdhsa_memory_ordered 1
		.amdhsa_forward_progress 1
		.amdhsa_inst_pref_size 12
		.amdhsa_round_robin_scheduling 0
		.amdhsa_exception_fp_ieee_invalid_op 0
		.amdhsa_exception_fp_denorm_src 0
		.amdhsa_exception_fp_ieee_div_zero 0
		.amdhsa_exception_fp_ieee_overflow 0
		.amdhsa_exception_fp_ieee_underflow 0
		.amdhsa_exception_fp_ieee_inexact 0
		.amdhsa_exception_int_div_zero 0
	.end_amdhsa_kernel
	.section	.text._ZL40rocblas_trsm_block_backward_substitutionIffPKfPfLb0ELb1ELb0EEv18rocblas_operation_llT0_T1_lllT2_lllib,"axG",@progbits,_ZL40rocblas_trsm_block_backward_substitutionIffPKfPfLb0ELb1ELb0EEv18rocblas_operation_llT0_T1_lllT2_lllib,comdat
.Lfunc_end51:
	.size	_ZL40rocblas_trsm_block_backward_substitutionIffPKfPfLb0ELb1ELb0EEv18rocblas_operation_llT0_T1_lllT2_lllib, .Lfunc_end51-_ZL40rocblas_trsm_block_backward_substitutionIffPKfPfLb0ELb1ELb0EEv18rocblas_operation_llT0_T1_lllT2_lllib
                                        ; -- End function
	.set _ZL40rocblas_trsm_block_backward_substitutionIffPKfPfLb0ELb1ELb0EEv18rocblas_operation_llT0_T1_lllT2_lllib.num_vgpr, 25
	.set _ZL40rocblas_trsm_block_backward_substitutionIffPKfPfLb0ELb1ELb0EEv18rocblas_operation_llT0_T1_lllT2_lllib.num_agpr, 0
	.set _ZL40rocblas_trsm_block_backward_substitutionIffPKfPfLb0ELb1ELb0EEv18rocblas_operation_llT0_T1_lllT2_lllib.numbered_sgpr, 46
	.set _ZL40rocblas_trsm_block_backward_substitutionIffPKfPfLb0ELb1ELb0EEv18rocblas_operation_llT0_T1_lllT2_lllib.num_named_barrier, 0
	.set _ZL40rocblas_trsm_block_backward_substitutionIffPKfPfLb0ELb1ELb0EEv18rocblas_operation_llT0_T1_lllT2_lllib.private_seg_size, 0
	.set _ZL40rocblas_trsm_block_backward_substitutionIffPKfPfLb0ELb1ELb0EEv18rocblas_operation_llT0_T1_lllT2_lllib.uses_vcc, 1
	.set _ZL40rocblas_trsm_block_backward_substitutionIffPKfPfLb0ELb1ELb0EEv18rocblas_operation_llT0_T1_lllT2_lllib.uses_flat_scratch, 0
	.set _ZL40rocblas_trsm_block_backward_substitutionIffPKfPfLb0ELb1ELb0EEv18rocblas_operation_llT0_T1_lllT2_lllib.has_dyn_sized_stack, 0
	.set _ZL40rocblas_trsm_block_backward_substitutionIffPKfPfLb0ELb1ELb0EEv18rocblas_operation_llT0_T1_lllT2_lllib.has_recursion, 0
	.set _ZL40rocblas_trsm_block_backward_substitutionIffPKfPfLb0ELb1ELb0EEv18rocblas_operation_llT0_T1_lllT2_lllib.has_indirect_call, 0
	.section	.AMDGPU.csdata,"",@progbits
; Kernel info:
; codeLenInByte = 1516
; TotalNumSgprs: 48
; NumVgprs: 25
; ScratchSize: 0
; MemoryBound: 0
; FloatMode: 240
; IeeeMode: 1
; LDSByteSize: 0 bytes/workgroup (compile time only)
; SGPRBlocks: 0
; VGPRBlocks: 1
; NumSGPRsForWavesPerEU: 48
; NumVGPRsForWavesPerEU: 25
; NamedBarCnt: 0
; Occupancy: 16
; WaveLimiterHint : 0
; COMPUTE_PGM_RSRC2:SCRATCH_EN: 0
; COMPUTE_PGM_RSRC2:USER_SGPR: 2
; COMPUTE_PGM_RSRC2:TRAP_HANDLER: 0
; COMPUTE_PGM_RSRC2:TGID_X_EN: 1
; COMPUTE_PGM_RSRC2:TGID_Y_EN: 1
; COMPUTE_PGM_RSRC2:TGID_Z_EN: 1
; COMPUTE_PGM_RSRC2:TIDIG_COMP_CNT: 1
	.section	.text._ZL39rocblas_trsm_block_forward_substitutionIffPKfPfLb0ELb1ELb1EEv18rocblas_operation_llT0_T1_lllT2_lllib,"axG",@progbits,_ZL39rocblas_trsm_block_forward_substitutionIffPKfPfLb0ELb1ELb1EEv18rocblas_operation_llT0_T1_lllT2_lllib,comdat
	.globl	_ZL39rocblas_trsm_block_forward_substitutionIffPKfPfLb0ELb1ELb1EEv18rocblas_operation_llT0_T1_lllT2_lllib ; -- Begin function _ZL39rocblas_trsm_block_forward_substitutionIffPKfPfLb0ELb1ELb1EEv18rocblas_operation_llT0_T1_lllT2_lllib
	.p2align	8
	.type	_ZL39rocblas_trsm_block_forward_substitutionIffPKfPfLb0ELb1ELb1EEv18rocblas_operation_llT0_T1_lllT2_lllib,@function
_ZL39rocblas_trsm_block_forward_substitutionIffPKfPfLb0ELb1ELb1EEv18rocblas_operation_llT0_T1_lllT2_lllib: ; @_ZL39rocblas_trsm_block_forward_substitutionIffPKfPfLb0ELb1ELb1EEv18rocblas_operation_llT0_T1_lllT2_lllib
; %bb.0:
	s_load_b64 s[2:3], s[0:1], 0x60
	s_bfe_u32 s4, ttmp6, 0x40014
	s_lshr_b32 s5, ttmp7, 16
	s_add_co_i32 s4, s4, 1
	s_bfe_u32 s6, ttmp6, 0x40008
	s_mul_i32 s4, s5, s4
	s_getreg_b32 s27, hwreg(HW_REG_IB_STS2, 6, 4)
	s_add_co_i32 s6, s6, s4
	s_cmp_eq_u32 s27, 0
	s_mov_b32 s25, 0
	s_cselect_b32 s24, s5, s6
	s_wait_kmcnt 0x0
	s_cmp_ge_u32 s24, s2
	s_cbranch_scc1 .LBB52_19
; %bb.1:
	s_load_b512 s[4:19], s[0:1], 0x20
	v_and_b32_e32 v2, 0x3ff, v0
	v_mov_b32_e32 v1, 0
	s_clause 0x1
	s_load_u16 s26, s[0:1], 0x76
	s_load_b128 s[20:23], s[0:1], 0x8
	s_bitcmp1_b32 s3, 0
	s_mov_b64 s[28:29], src_shared_base
	s_cselect_b32 s3, -1, 0
	v_mov_b32_e32 v3, v1
	s_and_b32 s28, ttmp7, 0xffff
	v_bfe_u32 v10, v0, 10, 10
	s_delay_alu instid0(VALU_DEP_1)
	v_lshl_add_u32 v11, v10, 2, 0
	s_wait_kmcnt 0x0
	v_mul_u64_e32 v[4:5], s[16:17], v[2:3]
	s_bfe_u32 s16, ttmp6, 0x40010
	s_bfe_u32 s17, ttmp6, 0x40004
	s_add_co_i32 s16, s16, 1
	s_lshl_b64 s[14:15], s[14:15], 2
	s_mul_i32 s16, s28, s16
	s_add_nc_u64 s[12:13], s[12:13], s[14:15]
	s_add_co_i32 s30, s17, s16
	s_lshl_b64 s[16:17], s[6:7], 2
	s_cmp_eq_u32 s27, 0
	s_load_b32 s27, s[0:1], 0x18
	s_cselect_b32 s28, s28, s30
	s_add_nc_u64 s[6:7], s[0:1], 0x68
	v_mad_u32 v0, s28, s26, v10
	s_wait_xcnt 0x0
	v_cmp_gt_i64_e64 s0, s[20:21], v[2:3]
	s_lshl_b32 s14, s26, 2
	v_cmp_gt_i64_e64 s1, s[20:21], 0
	v_cmp_gt_i64_e64 s28, s[20:21], 1
	s_add_nc_u64 s[4:5], s[4:5], s[16:17]
	v_cmp_gt_i64_e32 vcc_lo, s[22:23], v[0:1]
	v_lshl_add_u64 v[4:5], v[4:5], 2, s[12:13]
	s_add_co_i32 s12, s14, 0
	s_mov_b32 s13, s29
	v_lshl_add_u32 v12, v2, 2, s12
	s_and_b32 s29, vcc_lo, s0
	v_lshl_add_u64 v[4:5], v[0:1], 2, v[4:5]
	v_lshlrev_b32_e32 v0, 2, v2
	s_add_nc_u64 s[14:15], s[20:21], -1
	s_branch .LBB52_4
.LBB52_2:                               ;   in Loop: Header=BB52_4 Depth=1
	global_store_b32 v[6:7], v13, off
.LBB52_3:                               ;   in Loop: Header=BB52_4 Depth=1
	s_wait_xcnt 0x0
	s_or_b32 exec_lo, exec_lo, s30
	s_add_co_i32 s24, s24, 0x10000
	s_delay_alu instid0(SALU_CYCLE_1)
	s_cmp_lt_u32 s24, s2
	s_cbranch_scc0 .LBB52_19
.LBB52_4:                               ; =>This Loop Header: Depth=1
                                        ;     Child Loop BB52_9 Depth 2
                                        ;     Child Loop BB52_15 Depth 2
	s_mul_u64 s[16:17], s[10:11], s[24:25]
	s_and_not1_b32 vcc_lo, exec_lo, s3
	s_lshl_b64 s[16:17], s[16:17], 2
	s_delay_alu instid0(SALU_CYCLE_1)
	s_add_nc_u64 s[16:17], s[4:5], s[16:17]
	s_cbranch_vccz .LBB52_6
; %bb.5:                                ;   in Loop: Header=BB52_4 Depth=1
	s_and_saveexec_b32 s30, s29
	s_cbranch_execz .LBB52_3
	s_branch .LBB52_12
.LBB52_6:                               ;   in Loop: Header=BB52_4 Depth=1
	s_and_not1_b32 vcc_lo, exec_lo, s1
	s_cbranch_vccnz .LBB52_11
; %bb.7:                                ;   in Loop: Header=BB52_4 Depth=1
	v_add_nc_u64_e32 v[6:7], s[16:17], v[0:1]
	s_mov_b32 s16, 0
	s_branch .LBB52_9
.LBB52_8:                               ;   in Loop: Header=BB52_9 Depth=2
	s_wait_xcnt 0x0
	s_or_b32 exec_lo, exec_lo, s17
	s_add_co_i32 s16, s16, s26
	s_delay_alu instid0(SALU_CYCLE_1) | instskip(NEXT) | instid1(SALU_CYCLE_1)
	s_ashr_i32 s17, s16, 31
	v_cmp_le_i64_e64 s17, s[20:21], s[16:17]
	s_and_b32 vcc_lo, exec_lo, s17
	s_cbranch_vccnz .LBB52_11
.LBB52_9:                               ;   Parent Loop BB52_4 Depth=1
                                        ; =>  This Inner Loop Header: Depth=2
	v_add_nc_u32_e32 v8, s16, v10
	s_delay_alu instid0(VALU_DEP_1) | instskip(SKIP_1) | instid1(SALU_CYCLE_1)
	v_cmp_gt_i32_e32 vcc_lo, v2, v8
	s_and_b32 s22, s0, vcc_lo
	s_and_saveexec_b32 s17, s22
	s_cbranch_execz .LBB52_8
; %bb.10:                               ;   in Loop: Header=BB52_9 Depth=2
	v_ashrrev_i32_e32 v9, 31, v8
	s_load_b32 s22, s[6:7], 0xc
	s_delay_alu instid0(VALU_DEP_1) | instskip(SKIP_2) | instid1(SALU_CYCLE_1)
	v_mul_u64_e32 v[14:15], s[8:9], v[8:9]
	s_wait_kmcnt 0x0
	s_and_b32 s22, s22, 0xffff
	v_mul_lo_u32 v8, v8, s22
	s_delay_alu instid0(VALU_DEP_1) | instskip(NEXT) | instid1(VALU_DEP_3)
	v_lshl_add_u32 v8, v8, 2, v12
	v_lshl_add_u64 v[14:15], v[14:15], 2, v[6:7]
	global_load_b32 v9, v[14:15], off
	s_wait_loadcnt 0x0
	ds_store_b32 v8, v9
	s_branch .LBB52_8
.LBB52_11:                              ;   in Loop: Header=BB52_4 Depth=1
	s_load_b32 s8, s[6:7], 0xc
	s_mov_b32 s9, s25
	s_mov_b64 s[16:17], s[12:13]
	s_wait_kmcnt 0x0
	s_and_b32 s8, s8, 0xffff
	s_and_saveexec_b32 s30, s29
	s_cbranch_execz .LBB52_3
.LBB52_12:                              ;   in Loop: Header=BB52_4 Depth=1
	s_mul_u64 s[22:23], s[18:19], s[24:25]
	s_and_not1_b32 vcc_lo, exec_lo, s28
	v_lshl_add_u64 v[6:7], s[22:23], 2, v[4:5]
	global_load_b32 v8, v[6:7], off
	s_wait_loadcnt 0x0
	s_wait_kmcnt 0x0
	v_mul_f32_e32 v13, s27, v8
	s_cbranch_vccnz .LBB52_2
; %bb.13:                               ;   in Loop: Header=BB52_4 Depth=1
	v_add_nc_u64_e32 v[8:9], s[16:17], v[0:1]
	s_lshl_b64 s[16:17], s[8:9], 2
	s_mov_b64 s[22:23], 0
	s_branch .LBB52_15
.LBB52_14:                              ;   in Loop: Header=BB52_15 Depth=2
	s_wait_xcnt 0x0
	s_or_b32 exec_lo, exec_lo, s31
	v_add_nc_u64_e32 v[8:9], s[16:17], v[8:9]
	s_add_nc_u64 s[22:23], s[22:23], 1
	s_delay_alu instid0(SALU_CYCLE_1)
	s_cmp_eq_u64 s[14:15], s[22:23]
	s_cbranch_scc1 .LBB52_2
.LBB52_15:                              ;   Parent Loop BB52_4 Depth=1
                                        ; =>  This Inner Loop Header: Depth=2
	s_mov_b32 s31, exec_lo
	s_wait_dscnt 0x0
	s_barrier_signal -1
	s_barrier_wait -1
	s_wait_xcnt 0x0
	v_cmpx_eq_u64_e64 s[22:23], v[2:3]
; %bb.16:                               ;   in Loop: Header=BB52_15 Depth=2
	ds_store_b32 v11, v13
; %bb.17:                               ;   in Loop: Header=BB52_15 Depth=2
	s_or_b32 exec_lo, exec_lo, s31
	s_delay_alu instid0(SALU_CYCLE_1)
	s_mov_b32 s31, exec_lo
	s_wait_dscnt 0x0
	s_barrier_signal -1
	s_barrier_wait -1
	v_cmpx_lt_u64_e64 s[22:23], v[2:3]
	s_cbranch_execz .LBB52_14
; %bb.18:                               ;   in Loop: Header=BB52_15 Depth=2
	flat_load_b32 v14, v[8:9]
	ds_load_b32 v15, v11
	s_wait_loadcnt_dscnt 0x0
	v_fma_f32 v13, -v14, v15, v13
	s_branch .LBB52_14
.LBB52_19:
	s_endpgm
	.section	.rodata,"a",@progbits
	.p2align	6, 0x0
	.amdhsa_kernel _ZL39rocblas_trsm_block_forward_substitutionIffPKfPfLb0ELb1ELb1EEv18rocblas_operation_llT0_T1_lllT2_lllib
		.amdhsa_group_segment_fixed_size 0
		.amdhsa_private_segment_fixed_size 0
		.amdhsa_kernarg_size 360
		.amdhsa_user_sgpr_count 2
		.amdhsa_user_sgpr_dispatch_ptr 0
		.amdhsa_user_sgpr_queue_ptr 0
		.amdhsa_user_sgpr_kernarg_segment_ptr 1
		.amdhsa_user_sgpr_dispatch_id 0
		.amdhsa_user_sgpr_kernarg_preload_length 0
		.amdhsa_user_sgpr_kernarg_preload_offset 0
		.amdhsa_user_sgpr_private_segment_size 0
		.amdhsa_wavefront_size32 1
		.amdhsa_uses_dynamic_stack 0
		.amdhsa_enable_private_segment 0
		.amdhsa_system_sgpr_workgroup_id_x 1
		.amdhsa_system_sgpr_workgroup_id_y 1
		.amdhsa_system_sgpr_workgroup_id_z 1
		.amdhsa_system_sgpr_workgroup_info 0
		.amdhsa_system_vgpr_workitem_id 1
		.amdhsa_next_free_vgpr 16
		.amdhsa_next_free_sgpr 32
		.amdhsa_named_barrier_count 0
		.amdhsa_reserve_vcc 1
		.amdhsa_float_round_mode_32 0
		.amdhsa_float_round_mode_16_64 0
		.amdhsa_float_denorm_mode_32 3
		.amdhsa_float_denorm_mode_16_64 3
		.amdhsa_fp16_overflow 0
		.amdhsa_memory_ordered 1
		.amdhsa_forward_progress 1
		.amdhsa_inst_pref_size 7
		.amdhsa_round_robin_scheduling 0
		.amdhsa_exception_fp_ieee_invalid_op 0
		.amdhsa_exception_fp_denorm_src 0
		.amdhsa_exception_fp_ieee_div_zero 0
		.amdhsa_exception_fp_ieee_overflow 0
		.amdhsa_exception_fp_ieee_underflow 0
		.amdhsa_exception_fp_ieee_inexact 0
		.amdhsa_exception_int_div_zero 0
	.end_amdhsa_kernel
	.section	.text._ZL39rocblas_trsm_block_forward_substitutionIffPKfPfLb0ELb1ELb1EEv18rocblas_operation_llT0_T1_lllT2_lllib,"axG",@progbits,_ZL39rocblas_trsm_block_forward_substitutionIffPKfPfLb0ELb1ELb1EEv18rocblas_operation_llT0_T1_lllT2_lllib,comdat
.Lfunc_end52:
	.size	_ZL39rocblas_trsm_block_forward_substitutionIffPKfPfLb0ELb1ELb1EEv18rocblas_operation_llT0_T1_lllT2_lllib, .Lfunc_end52-_ZL39rocblas_trsm_block_forward_substitutionIffPKfPfLb0ELb1ELb1EEv18rocblas_operation_llT0_T1_lllT2_lllib
                                        ; -- End function
	.set _ZL39rocblas_trsm_block_forward_substitutionIffPKfPfLb0ELb1ELb1EEv18rocblas_operation_llT0_T1_lllT2_lllib.num_vgpr, 16
	.set _ZL39rocblas_trsm_block_forward_substitutionIffPKfPfLb0ELb1ELb1EEv18rocblas_operation_llT0_T1_lllT2_lllib.num_agpr, 0
	.set _ZL39rocblas_trsm_block_forward_substitutionIffPKfPfLb0ELb1ELb1EEv18rocblas_operation_llT0_T1_lllT2_lllib.numbered_sgpr, 32
	.set _ZL39rocblas_trsm_block_forward_substitutionIffPKfPfLb0ELb1ELb1EEv18rocblas_operation_llT0_T1_lllT2_lllib.num_named_barrier, 0
	.set _ZL39rocblas_trsm_block_forward_substitutionIffPKfPfLb0ELb1ELb1EEv18rocblas_operation_llT0_T1_lllT2_lllib.private_seg_size, 0
	.set _ZL39rocblas_trsm_block_forward_substitutionIffPKfPfLb0ELb1ELb1EEv18rocblas_operation_llT0_T1_lllT2_lllib.uses_vcc, 1
	.set _ZL39rocblas_trsm_block_forward_substitutionIffPKfPfLb0ELb1ELb1EEv18rocblas_operation_llT0_T1_lllT2_lllib.uses_flat_scratch, 0
	.set _ZL39rocblas_trsm_block_forward_substitutionIffPKfPfLb0ELb1ELb1EEv18rocblas_operation_llT0_T1_lllT2_lllib.has_dyn_sized_stack, 0
	.set _ZL39rocblas_trsm_block_forward_substitutionIffPKfPfLb0ELb1ELb1EEv18rocblas_operation_llT0_T1_lllT2_lllib.has_recursion, 0
	.set _ZL39rocblas_trsm_block_forward_substitutionIffPKfPfLb0ELb1ELb1EEv18rocblas_operation_llT0_T1_lllT2_lllib.has_indirect_call, 0
	.section	.AMDGPU.csdata,"",@progbits
; Kernel info:
; codeLenInByte = 800
; TotalNumSgprs: 34
; NumVgprs: 16
; ScratchSize: 0
; MemoryBound: 0
; FloatMode: 240
; IeeeMode: 1
; LDSByteSize: 0 bytes/workgroup (compile time only)
; SGPRBlocks: 0
; VGPRBlocks: 0
; NumSGPRsForWavesPerEU: 34
; NumVGPRsForWavesPerEU: 16
; NamedBarCnt: 0
; Occupancy: 16
; WaveLimiterHint : 0
; COMPUTE_PGM_RSRC2:SCRATCH_EN: 0
; COMPUTE_PGM_RSRC2:USER_SGPR: 2
; COMPUTE_PGM_RSRC2:TRAP_HANDLER: 0
; COMPUTE_PGM_RSRC2:TGID_X_EN: 1
; COMPUTE_PGM_RSRC2:TGID_Y_EN: 1
; COMPUTE_PGM_RSRC2:TGID_Z_EN: 1
; COMPUTE_PGM_RSRC2:TIDIG_COMP_CNT: 1
	.section	.text._ZL40rocblas_trsm_block_backward_substitutionIffPKfPfLb0ELb1ELb1EEv18rocblas_operation_llT0_T1_lllT2_lllib,"axG",@progbits,_ZL40rocblas_trsm_block_backward_substitutionIffPKfPfLb0ELb1ELb1EEv18rocblas_operation_llT0_T1_lllT2_lllib,comdat
	.globl	_ZL40rocblas_trsm_block_backward_substitutionIffPKfPfLb0ELb1ELb1EEv18rocblas_operation_llT0_T1_lllT2_lllib ; -- Begin function _ZL40rocblas_trsm_block_backward_substitutionIffPKfPfLb0ELb1ELb1EEv18rocblas_operation_llT0_T1_lllT2_lllib
	.p2align	8
	.type	_ZL40rocblas_trsm_block_backward_substitutionIffPKfPfLb0ELb1ELb1EEv18rocblas_operation_llT0_T1_lllT2_lllib,@function
_ZL40rocblas_trsm_block_backward_substitutionIffPKfPfLb0ELb1ELb1EEv18rocblas_operation_llT0_T1_lllT2_lllib: ; @_ZL40rocblas_trsm_block_backward_substitutionIffPKfPfLb0ELb1ELb1EEv18rocblas_operation_llT0_T1_lllT2_lllib
; %bb.0:
	s_load_b64 s[2:3], s[0:1], 0x60
	s_bfe_u32 s4, ttmp6, 0x40014
	s_lshr_b32 s5, ttmp7, 16
	s_add_co_i32 s4, s4, 1
	s_bfe_u32 s6, ttmp6, 0x40008
	s_mul_i32 s4, s5, s4
	s_getreg_b32 s20, hwreg(HW_REG_IB_STS2, 6, 4)
	s_add_co_i32 s6, s6, s4
	s_cmp_eq_u32 s20, 0
	s_mov_b32 s25, 0
	s_cselect_b32 s24, s5, s6
	s_wait_kmcnt 0x0
	s_cmp_ge_u32 s24, s2
	s_cbranch_scc1 .LBB53_19
; %bb.1:
	s_clause 0x1
	s_load_b512 s[4:19], s[0:1], 0x20
	s_load_u16 s30, s[0:1], 0x76
	s_bitcmp1_b32 s3, 0
	v_bfe_u32 v12, v0, 10, 10
	s_cselect_b32 s3, -1, 0
	s_bfe_u32 s21, ttmp6, 0x40010
	s_and_b32 s22, ttmp7, 0xffff
	s_add_co_i32 s21, s21, 1
	s_bfe_u32 s23, ttmp6, 0x40004
	s_mul_i32 s21, s22, s21
	v_mov_b32_e32 v7, 0
	s_add_co_i32 s23, s23, s21
	v_and_b32_e32 v0, 0x3ff, v0
	v_lshl_add_u32 v13, v12, 2, 0
	s_mov_b64 s[26:27], src_shared_base
	v_mov_b32_e32 v1, v7
	s_load_b32 s31, s[0:1], 0x18
	s_wait_kmcnt 0x0
	s_lshl_b64 s[28:29], s[6:7], 2
	s_lshl_b64 s[34:35], s[14:15], 2
	s_cmp_eq_u32 s20, 0
	v_mul_u64_e32 v[2:3], s[8:9], v[0:1]
	s_cselect_b32 s6, s22, s23
	s_load_b128 s[20:23], s[0:1], 0x8
	v_mad_u32 v6, s6, s30, v12
	v_lshlrev_b64_e32 v[4:5], 2, v[0:1]
	s_add_nc_u64 s[12:13], s[12:13], s[34:35]
	s_add_nc_u64 s[6:7], s[0:1], 0x68
	s_wait_xcnt 0x0
	s_lshl_b32 s1, s30, 2
	s_mov_b32 s15, s27
	s_add_co_i32 s14, s1, 0
	s_add_nc_u64 s[4:5], s[4:5], s[28:29]
	v_lshl_add_u32 v14, v0, 2, s14
	s_delay_alu instid0(VALU_DEP_3)
	v_mul_u64_e32 v[8:9], s[16:17], v[6:7]
	s_wait_kmcnt 0x0
	v_cmp_gt_i64_e64 s0, s[20:21], v[0:1]
	v_cmp_gt_i64_e32 vcc_lo, s[22:23], v[6:7]
	v_cmp_gt_i64_e64 s33, s[20:21], 0
	v_cmp_gt_i64_e64 s34, s[20:21], 1
	s_and_b32 s35, vcc_lo, s0
	v_lshl_add_u64 v[8:9], v[8:9], 2, s[12:13]
	s_add_nc_u64 s[12:13], s[20:21], -1
	s_delay_alu instid0(SALU_CYCLE_1) | instskip(NEXT) | instid1(VALU_DEP_1)
	s_lshl_b64 s[16:17], s[12:13], 2
	v_add_nc_u64_e32 v[6:7], v[8:9], v[4:5]
	s_branch .LBB53_4
.LBB53_2:                               ;   in Loop: Header=BB53_4 Depth=1
	global_store_b32 v[8:9], v5, off
.LBB53_3:                               ;   in Loop: Header=BB53_4 Depth=1
	s_wait_xcnt 0x0
	s_or_b32 exec_lo, exec_lo, s1
	s_add_co_i32 s24, s24, 0x10000
	s_delay_alu instid0(SALU_CYCLE_1)
	s_cmp_lt_u32 s24, s2
	s_cbranch_scc0 .LBB53_19
.LBB53_4:                               ; =>This Loop Header: Depth=1
                                        ;     Child Loop BB53_8 Depth 2
                                        ;     Child Loop BB53_15 Depth 2
	s_mul_u64 s[22:23], s[10:11], s[24:25]
	s_and_not1_b32 vcc_lo, exec_lo, s3
	s_lshl_b64 s[22:23], s[22:23], 2
	s_delay_alu instid0(SALU_CYCLE_1)
	s_add_nc_u64 s[26:27], s[4:5], s[22:23]
	s_cbranch_vccnz .LBB53_10
; %bb.5:                                ;   in Loop: Header=BB53_4 Depth=1
	s_and_not1_b32 vcc_lo, exec_lo, s33
	s_cbranch_vccnz .LBB53_11
; %bb.6:                                ;   in Loop: Header=BB53_4 Depth=1
	v_lshl_add_u64 v[8:9], v[2:3], 2, s[26:27]
	s_mov_b32 s22, 0
	s_branch .LBB53_8
.LBB53_7:                               ;   in Loop: Header=BB53_8 Depth=2
	s_wait_xcnt 0x0
	s_or_b32 exec_lo, exec_lo, s1
	s_add_co_i32 s22, s22, s30
	s_delay_alu instid0(SALU_CYCLE_1) | instskip(NEXT) | instid1(SALU_CYCLE_1)
	s_ashr_i32 s23, s22, 31
	v_cmp_le_i64_e64 s1, s[20:21], s[22:23]
	s_and_b32 vcc_lo, exec_lo, s1
	s_cbranch_vccnz .LBB53_11
.LBB53_8:                               ;   Parent Loop BB53_4 Depth=1
                                        ; =>  This Inner Loop Header: Depth=2
	v_add_nc_u32_e32 v10, s22, v12
	s_delay_alu instid0(VALU_DEP_1) | instskip(SKIP_1) | instid1(VALU_DEP_2)
	v_ashrrev_i32_e32 v11, 31, v10
	v_cmp_lt_i32_e64 s1, v0, v10
	v_cmp_gt_i64_e32 vcc_lo, s[20:21], v[10:11]
	s_and_b32 s1, s1, vcc_lo
	s_delay_alu instid0(SALU_CYCLE_1) | instskip(NEXT) | instid1(SALU_CYCLE_1)
	s_and_b32 s23, s0, s1
	s_and_saveexec_b32 s1, s23
	s_cbranch_execz .LBB53_7
; %bb.9:                                ;   in Loop: Header=BB53_8 Depth=2
	v_lshl_add_u64 v[16:17], v[10:11], 2, v[8:9]
	s_load_b32 s23, s[6:7], 0xc
	global_load_b32 v5, v[16:17], off
	s_wait_kmcnt 0x0
	s_and_b32 s23, s23, 0xffff
	s_delay_alu instid0(SALU_CYCLE_1) | instskip(NEXT) | instid1(VALU_DEP_1)
	v_mul_lo_u32 v10, v10, s23
	v_lshl_add_u32 v10, v10, 2, v14
	s_wait_loadcnt 0x0
	ds_store_b32 v10, v5
	s_branch .LBB53_7
.LBB53_10:                              ;   in Loop: Header=BB53_4 Depth=1
	s_mov_b64 s[22:23], 1
	s_mov_b64 s[28:29], s[8:9]
	s_and_saveexec_b32 s1, s35
	s_cbranch_execz .LBB53_3
	s_branch .LBB53_12
.LBB53_11:                              ;   in Loop: Header=BB53_4 Depth=1
	s_load_b32 s1, s[6:7], 0xc
	s_mov_b32 s23, s25
	s_mov_b64 s[28:29], 1
	s_mov_b64 s[26:27], s[14:15]
	s_wait_kmcnt 0x0
	s_and_b32 s22, s1, 0xffff
	s_and_saveexec_b32 s1, s35
	s_cbranch_execz .LBB53_3
.LBB53_12:                              ;   in Loop: Header=BB53_4 Depth=1
	s_mul_u64 s[36:37], s[18:19], s[24:25]
	s_and_not1_b32 vcc_lo, exec_lo, s34
	v_lshl_add_u64 v[8:9], s[36:37], 2, v[6:7]
	global_load_b32 v5, v[8:9], off
	s_wait_loadcnt 0x0
	v_mul_f32_e32 v5, s31, v5
	s_cbranch_vccnz .LBB53_2
; %bb.13:                               ;   in Loop: Header=BB53_4 Depth=1
	s_mul_u64 s[36:37], s[16:17], s[22:23]
	s_lshl_b32 s22, s22, 2
	s_add_nc_u64 s[26:27], s[26:27], s[36:37]
	s_mov_b32 s23, s25
	v_mad_nc_u64_u32 v[10:11], v4, s28, s[26:27]
	s_sub_nc_u64 s[22:23], 0, s[22:23]
	s_mov_b64 s[26:27], s[12:13]
	s_delay_alu instid0(VALU_DEP_1)
	v_mad_u32 v11, v4, s29, v11
	s_branch .LBB53_15
.LBB53_14:                              ;   in Loop: Header=BB53_15 Depth=2
	s_wait_xcnt 0x0
	s_or_b32 exec_lo, exec_lo, s28
	s_add_nc_u64 s[28:29], s[26:27], 1
	v_add_nc_u64_e32 v[10:11], s[22:23], v[10:11]
	v_cmp_lt_u64_e64 s28, s[28:29], 3
	s_add_nc_u64 s[26:27], s[26:27], -1
	s_and_b32 vcc_lo, exec_lo, s28
	s_cbranch_vccnz .LBB53_2
.LBB53_15:                              ;   Parent Loop BB53_4 Depth=1
                                        ; =>  This Inner Loop Header: Depth=2
	s_mov_b32 s28, exec_lo
	s_wait_dscnt 0x0
	s_barrier_signal -1
	s_barrier_wait -1
	s_wait_xcnt 0x0
	v_cmpx_eq_u64_e64 s[26:27], v[0:1]
; %bb.16:                               ;   in Loop: Header=BB53_15 Depth=2
	ds_store_b32 v13, v5
; %bb.17:                               ;   in Loop: Header=BB53_15 Depth=2
	s_or_b32 exec_lo, exec_lo, s28
	s_delay_alu instid0(SALU_CYCLE_1)
	s_mov_b32 s28, exec_lo
	s_wait_dscnt 0x0
	s_barrier_signal -1
	s_barrier_wait -1
	v_cmpx_gt_i64_e64 s[26:27], v[0:1]
	s_cbranch_execz .LBB53_14
; %bb.18:                               ;   in Loop: Header=BB53_15 Depth=2
	flat_load_b32 v15, v[10:11]
	ds_load_b32 v16, v13
	s_wait_loadcnt_dscnt 0x0
	v_fma_f32 v5, -v15, v16, v5
	s_branch .LBB53_14
.LBB53_19:
	s_endpgm
	.section	.rodata,"a",@progbits
	.p2align	6, 0x0
	.amdhsa_kernel _ZL40rocblas_trsm_block_backward_substitutionIffPKfPfLb0ELb1ELb1EEv18rocblas_operation_llT0_T1_lllT2_lllib
		.amdhsa_group_segment_fixed_size 0
		.amdhsa_private_segment_fixed_size 0
		.amdhsa_kernarg_size 360
		.amdhsa_user_sgpr_count 2
		.amdhsa_user_sgpr_dispatch_ptr 0
		.amdhsa_user_sgpr_queue_ptr 0
		.amdhsa_user_sgpr_kernarg_segment_ptr 1
		.amdhsa_user_sgpr_dispatch_id 0
		.amdhsa_user_sgpr_kernarg_preload_length 0
		.amdhsa_user_sgpr_kernarg_preload_offset 0
		.amdhsa_user_sgpr_private_segment_size 0
		.amdhsa_wavefront_size32 1
		.amdhsa_uses_dynamic_stack 0
		.amdhsa_enable_private_segment 0
		.amdhsa_system_sgpr_workgroup_id_x 1
		.amdhsa_system_sgpr_workgroup_id_y 1
		.amdhsa_system_sgpr_workgroup_id_z 1
		.amdhsa_system_sgpr_workgroup_info 0
		.amdhsa_system_vgpr_workitem_id 1
		.amdhsa_next_free_vgpr 18
		.amdhsa_next_free_sgpr 38
		.amdhsa_named_barrier_count 0
		.amdhsa_reserve_vcc 1
		.amdhsa_float_round_mode_32 0
		.amdhsa_float_round_mode_16_64 0
		.amdhsa_float_denorm_mode_32 3
		.amdhsa_float_denorm_mode_16_64 3
		.amdhsa_fp16_overflow 0
		.amdhsa_memory_ordered 1
		.amdhsa_forward_progress 1
		.amdhsa_inst_pref_size 7
		.amdhsa_round_robin_scheduling 0
		.amdhsa_exception_fp_ieee_invalid_op 0
		.amdhsa_exception_fp_denorm_src 0
		.amdhsa_exception_fp_ieee_div_zero 0
		.amdhsa_exception_fp_ieee_overflow 0
		.amdhsa_exception_fp_ieee_underflow 0
		.amdhsa_exception_fp_ieee_inexact 0
		.amdhsa_exception_int_div_zero 0
	.end_amdhsa_kernel
	.section	.text._ZL40rocblas_trsm_block_backward_substitutionIffPKfPfLb0ELb1ELb1EEv18rocblas_operation_llT0_T1_lllT2_lllib,"axG",@progbits,_ZL40rocblas_trsm_block_backward_substitutionIffPKfPfLb0ELb1ELb1EEv18rocblas_operation_llT0_T1_lllT2_lllib,comdat
.Lfunc_end53:
	.size	_ZL40rocblas_trsm_block_backward_substitutionIffPKfPfLb0ELb1ELb1EEv18rocblas_operation_llT0_T1_lllT2_lllib, .Lfunc_end53-_ZL40rocblas_trsm_block_backward_substitutionIffPKfPfLb0ELb1ELb1EEv18rocblas_operation_llT0_T1_lllT2_lllib
                                        ; -- End function
	.set _ZL40rocblas_trsm_block_backward_substitutionIffPKfPfLb0ELb1ELb1EEv18rocblas_operation_llT0_T1_lllT2_lllib.num_vgpr, 18
	.set _ZL40rocblas_trsm_block_backward_substitutionIffPKfPfLb0ELb1ELb1EEv18rocblas_operation_llT0_T1_lllT2_lllib.num_agpr, 0
	.set _ZL40rocblas_trsm_block_backward_substitutionIffPKfPfLb0ELb1ELb1EEv18rocblas_operation_llT0_T1_lllT2_lllib.numbered_sgpr, 38
	.set _ZL40rocblas_trsm_block_backward_substitutionIffPKfPfLb0ELb1ELb1EEv18rocblas_operation_llT0_T1_lllT2_lllib.num_named_barrier, 0
	.set _ZL40rocblas_trsm_block_backward_substitutionIffPKfPfLb0ELb1ELb1EEv18rocblas_operation_llT0_T1_lllT2_lllib.private_seg_size, 0
	.set _ZL40rocblas_trsm_block_backward_substitutionIffPKfPfLb0ELb1ELb1EEv18rocblas_operation_llT0_T1_lllT2_lllib.uses_vcc, 1
	.set _ZL40rocblas_trsm_block_backward_substitutionIffPKfPfLb0ELb1ELb1EEv18rocblas_operation_llT0_T1_lllT2_lllib.uses_flat_scratch, 0
	.set _ZL40rocblas_trsm_block_backward_substitutionIffPKfPfLb0ELb1ELb1EEv18rocblas_operation_llT0_T1_lllT2_lllib.has_dyn_sized_stack, 0
	.set _ZL40rocblas_trsm_block_backward_substitutionIffPKfPfLb0ELb1ELb1EEv18rocblas_operation_llT0_T1_lllT2_lllib.has_recursion, 0
	.set _ZL40rocblas_trsm_block_backward_substitutionIffPKfPfLb0ELb1ELb1EEv18rocblas_operation_llT0_T1_lllT2_lllib.has_indirect_call, 0
	.section	.AMDGPU.csdata,"",@progbits
; Kernel info:
; codeLenInByte = 872
; TotalNumSgprs: 40
; NumVgprs: 18
; ScratchSize: 0
; MemoryBound: 0
; FloatMode: 240
; IeeeMode: 1
; LDSByteSize: 0 bytes/workgroup (compile time only)
; SGPRBlocks: 0
; VGPRBlocks: 1
; NumSGPRsForWavesPerEU: 40
; NumVGPRsForWavesPerEU: 18
; NamedBarCnt: 0
; Occupancy: 16
; WaveLimiterHint : 0
; COMPUTE_PGM_RSRC2:SCRATCH_EN: 0
; COMPUTE_PGM_RSRC2:USER_SGPR: 2
; COMPUTE_PGM_RSRC2:TRAP_HANDLER: 0
; COMPUTE_PGM_RSRC2:TGID_X_EN: 1
; COMPUTE_PGM_RSRC2:TGID_Y_EN: 1
; COMPUTE_PGM_RSRC2:TGID_Z_EN: 1
; COMPUTE_PGM_RSRC2:TIDIG_COMP_CNT: 1
	.section	.text._ZL39rocblas_trsm_block_forward_substitutionIffPKfPfLb1ELb1ELb0EEv18rocblas_operation_llT0_T1_lllT2_lllib,"axG",@progbits,_ZL39rocblas_trsm_block_forward_substitutionIffPKfPfLb1ELb1ELb0EEv18rocblas_operation_llT0_T1_lllT2_lllib,comdat
	.globl	_ZL39rocblas_trsm_block_forward_substitutionIffPKfPfLb1ELb1ELb0EEv18rocblas_operation_llT0_T1_lllT2_lllib ; -- Begin function _ZL39rocblas_trsm_block_forward_substitutionIffPKfPfLb1ELb1ELb0EEv18rocblas_operation_llT0_T1_lllT2_lllib
	.p2align	8
	.type	_ZL39rocblas_trsm_block_forward_substitutionIffPKfPfLb1ELb1ELb0EEv18rocblas_operation_llT0_T1_lllT2_lllib,@function
_ZL39rocblas_trsm_block_forward_substitutionIffPKfPfLb1ELb1ELb0EEv18rocblas_operation_llT0_T1_lllT2_lllib: ; @_ZL39rocblas_trsm_block_forward_substitutionIffPKfPfLb1ELb1ELb0EEv18rocblas_operation_llT0_T1_lllT2_lllib
; %bb.0:
	s_load_b64 s[24:25], s[0:1], 0x60
	s_bfe_u32 s2, ttmp6, 0x40014
	s_lshr_b32 s3, ttmp7, 16
	s_add_co_i32 s2, s2, 1
	s_bfe_u32 s5, ttmp6, 0x40008
	s_mul_i32 s4, s3, s2
	s_getreg_b32 s2, hwreg(HW_REG_IB_STS2, 6, 4)
	s_add_co_i32 s5, s5, s4
	s_cmp_eq_u32 s2, 0
	s_mov_b32 s27, 0
	s_cselect_b32 s26, s3, s5
	s_wait_kmcnt 0x0
	s_cmp_ge_u32 s26, s24
	s_cbranch_scc1 .LBB54_27
; %bb.1:
	s_load_b512 s[4:19], s[0:1], 0x20
	v_mov_b32_e32 v1, 0
	v_and_b32_e32 v2, 0x3ff, v0
	s_clause 0x2
	s_load_u16 s30, s[0:1], 0x76
	s_load_b128 s[20:23], s[0:1], 0x8
	s_load_b32 s31, s[0:1], 0x18
	s_bitcmp1_b32 s25, 0
	v_bfe_u32 v10, v0, 10, 10
	v_mov_b32_e32 v3, v1
	s_mov_b64 s[28:29], src_shared_base
	s_delay_alu instid0(VALU_DEP_2) | instskip(SKIP_1) | instid1(VALU_DEP_2)
	v_lshl_add_u32 v11, v10, 2, 0
	s_wait_kmcnt 0x0
	v_mul_u64_e32 v[4:5], s[16:17], v[2:3]
	s_add_nc_u64 s[16:17], s[0:1], 0x68
	s_cselect_b32 s0, -1, 0
	s_bfe_u32 s1, ttmp6, 0x40010
	s_and_b32 s3, ttmp7, 0xffff
	s_add_co_i32 s1, s1, 1
	s_bfe_u32 s25, ttmp6, 0x40004
	s_mul_i32 s1, s3, s1
	s_lshl_b64 s[34:35], s[6:7], 2
	s_add_co_i32 s25, s25, s1
	s_lshl_b64 s[14:15], s[14:15], 2
	s_cmp_eq_u32 s2, 0
	s_add_nc_u64 s[12:13], s[12:13], s[14:15]
	s_cselect_b32 s1, s3, s25
	v_cmp_le_i64_e32 vcc_lo, s[20:21], v[2:3]
	v_mad_u32 v0, s1, s30, v10
	v_cmp_gt_i64_e64 s2, s[20:21], v[2:3]
	s_add_nc_u64 s[6:7], s[20:21], -1
	s_lshl_b32 s1, s30, 2
	v_cmp_gt_i64_e64 s25, s[20:21], 0
	s_add_co_i32 s28, s1, 0
	v_cmp_eq_u64_e64 s1, s[6:7], v[2:3]
	v_cmp_gt_i64_e64 s33, s[20:21], 1
	v_lshl_add_u32 v12, v2, 2, s28
	s_add_nc_u64 s[4:5], s[4:5], s[34:35]
	s_xor_b32 s35, vcc_lo, -1
	v_cmp_gt_i64_e64 s3, s[22:23], v[0:1]
	v_lshl_add_u64 v[4:5], v[4:5], 2, s[12:13]
	s_mov_b64 s[12:13], 1
	s_and_b32 s34, s3, s2
	s_delay_alu instid0(VALU_DEP_1)
	v_lshl_add_u64 v[0:1], v[0:1], 2, v[4:5]
	s_branch .LBB54_4
.LBB54_2:                               ;   in Loop: Header=BB54_4 Depth=1
	s_or_b32 exec_lo, exec_lo, s14
	global_store_b32 v[4:5], v13, off
.LBB54_3:                               ;   in Loop: Header=BB54_4 Depth=1
	s_wait_xcnt 0x0
	s_or_b32 exec_lo, exec_lo, s36
	s_add_co_i32 s26, s26, 0x10000
	s_delay_alu instid0(SALU_CYCLE_1)
	s_cmp_lt_u32 s26, s24
	s_cbranch_scc0 .LBB54_27
.LBB54_4:                               ; =>This Loop Header: Depth=1
                                        ;     Child Loop BB54_9 Depth 2
                                        ;     Child Loop BB54_21 Depth 2
	s_mul_u64 s[2:3], s[10:11], s[26:27]
	s_and_not1_b32 vcc_lo, exec_lo, s0
	s_lshl_b64 s[2:3], s[2:3], 2
	s_delay_alu instid0(SALU_CYCLE_1)
	s_add_nc_u64 s[2:3], s[4:5], s[2:3]
	s_cbranch_vccz .LBB54_6
; %bb.5:                                ;   in Loop: Header=BB54_4 Depth=1
	s_and_saveexec_b32 s36, s34
	s_cbranch_execz .LBB54_3
	s_branch .LBB54_18
.LBB54_6:                               ;   in Loop: Header=BB54_4 Depth=1
	s_and_not1_b32 vcc_lo, exec_lo, s25
	s_cbranch_vccnz .LBB54_17
; %bb.7:                                ;   in Loop: Header=BB54_4 Depth=1
	v_mul_u64_e32 v[4:5], s[8:9], v[2:3]
	v_mul_hi_u32_u24_e32 v7, s12, v2
	v_mul_u32_u24_e32 v6, s12, v2
	v_mov_b32_e32 v8, v10
	s_delay_alu instid0(VALU_DEP_4) | instskip(SKIP_1) | instid1(VALU_DEP_1)
	v_lshl_add_u64 v[4:5], v[4:5], 2, s[2:3]
	s_mov_b32 s2, s30
	v_lshl_add_u64 v[6:7], v[6:7], 2, v[4:5]
	s_branch .LBB54_9
.LBB54_8:                               ;   in Loop: Header=BB54_9 Depth=2
	s_or_b32 exec_lo, exec_lo, s8
	s_ashr_i32 s3, s2, 31
	v_add_nc_u32_e32 v8, s30, v8
	v_cmp_le_i64_e64 s3, s[20:21], s[2:3]
	s_add_co_i32 s2, s2, s30
	s_and_b32 vcc_lo, exec_lo, s3
	s_cbranch_vccnz .LBB54_17
.LBB54_9:                               ;   Parent Loop BB54_4 Depth=1
                                        ; =>  This Inner Loop Header: Depth=2
	v_cmp_gt_i32_e32 vcc_lo, v2, v8
	s_mov_b32 s3, 0
                                        ; implicit-def: $vgpr9
	s_and_b32 s8, s35, vcc_lo
	s_delay_alu instid0(SALU_CYCLE_1) | instskip(NEXT) | instid1(SALU_CYCLE_1)
	s_and_saveexec_b32 s9, s8
	s_xor_b32 s8, exec_lo, s9
	s_cbranch_execnz .LBB54_12
; %bb.10:                               ;   in Loop: Header=BB54_9 Depth=2
	s_or_saveexec_b32 s8, s8
	v_mov_b32_e32 v13, v8
	s_xor_b32 exec_lo, exec_lo, s8
	s_cbranch_execnz .LBB54_13
.LBB54_11:                              ;   in Loop: Header=BB54_9 Depth=2
	s_or_b32 exec_lo, exec_lo, s8
	s_and_saveexec_b32 s8, s3
	s_cbranch_execz .LBB54_8
	s_branch .LBB54_16
.LBB54_12:                              ;   in Loop: Header=BB54_9 Depth=2
	s_wait_loadcnt 0x0
	v_ashrrev_i32_e32 v9, 31, v8
	s_mov_b32 s3, exec_lo
	s_delay_alu instid0(VALU_DEP_1) | instskip(NEXT) | instid1(VALU_DEP_1)
	v_mul_u64_e32 v[14:15], s[12:13], v[8:9]
	v_lshl_add_u64 v[14:15], v[14:15], 2, v[4:5]
	global_load_b32 v9, v[14:15], off
	s_wait_xcnt 0x0
	s_or_saveexec_b32 s8, s8
	v_mov_b32_e32 v13, v8
	s_xor_b32 exec_lo, exec_lo, s8
	s_cbranch_execz .LBB54_11
.LBB54_13:                              ;   in Loop: Header=BB54_9 Depth=2
	v_cmp_eq_u32_e32 vcc_lo, v2, v8
	s_mov_b32 s14, s3
                                        ; implicit-def: $vgpr9
	s_and_b32 s15, s35, vcc_lo
	s_delay_alu instid0(SALU_CYCLE_1)
	s_and_saveexec_b32 s9, s15
	s_cbranch_execz .LBB54_15
; %bb.14:                               ;   in Loop: Header=BB54_9 Depth=2
	s_wait_loadcnt 0x0
	global_load_b32 v9, v[6:7], off
	s_or_b32 s14, s3, exec_lo
	s_wait_loadcnt 0x0
	v_div_scale_f32 v13, null, v9, v9, 1.0
	s_delay_alu instid0(VALU_DEP_1) | instskip(SKIP_1) | instid1(TRANS32_DEP_1)
	v_rcp_f32_e32 v14, v13
	v_nop
	v_fma_f32 v15, -v13, v14, 1.0
	s_delay_alu instid0(VALU_DEP_1) | instskip(SKIP_1) | instid1(VALU_DEP_1)
	v_fmac_f32_e32 v14, v15, v14
	v_div_scale_f32 v15, vcc_lo, 1.0, v9, 1.0
	v_mul_f32_e32 v16, v15, v14
	s_delay_alu instid0(VALU_DEP_1) | instskip(NEXT) | instid1(VALU_DEP_1)
	v_fma_f32 v17, -v13, v16, v15
	v_fmac_f32_e32 v16, v17, v14
	s_delay_alu instid0(VALU_DEP_1) | instskip(NEXT) | instid1(VALU_DEP_1)
	v_fma_f32 v13, -v13, v16, v15
	v_div_fmas_f32 v13, v13, v14, v16
	s_delay_alu instid0(VALU_DEP_1)
	v_div_fixup_f32 v9, v13, v9, 1.0
.LBB54_15:                              ;   in Loop: Header=BB54_9 Depth=2
	s_wait_xcnt 0x0
	s_or_b32 exec_lo, exec_lo, s9
	v_mov_b32_e32 v13, v2
	s_and_not1_b32 s3, s3, exec_lo
	s_and_b32 s9, s14, exec_lo
	s_delay_alu instid0(SALU_CYCLE_1)
	s_or_b32 s3, s3, s9
	s_or_b32 exec_lo, exec_lo, s8
	s_and_saveexec_b32 s8, s3
	s_cbranch_execz .LBB54_8
.LBB54_16:                              ;   in Loop: Header=BB54_9 Depth=2
	s_load_b32 s3, s[16:17], 0xc
	s_wait_kmcnt 0x0
	s_and_b32 s3, s3, 0xffff
	s_delay_alu instid0(SALU_CYCLE_1) | instskip(NEXT) | instid1(VALU_DEP_1)
	v_mul_lo_u32 v13, v13, s3
	v_lshl_add_u32 v13, v13, 2, v12
	s_wait_loadcnt 0x0
	ds_store_b32 v13, v9
	s_branch .LBB54_8
.LBB54_17:                              ;   in Loop: Header=BB54_4 Depth=1
	s_load_b32 s2, s[16:17], 0xc
	s_mov_b32 s13, s27
	s_mov_b64 s[8:9], 1
	s_wait_kmcnt 0x0
	s_and_b32 s12, s2, 0xffff
	s_mov_b64 s[2:3], s[28:29]
	s_and_saveexec_b32 s36, s34
	s_cbranch_execz .LBB54_3
.LBB54_18:                              ;   in Loop: Header=BB54_4 Depth=1
	s_mul_u64 s[14:15], s[18:19], s[26:27]
	s_and_not1_b32 vcc_lo, exec_lo, s33
	v_lshl_add_u64 v[4:5], s[14:15], 2, v[0:1]
	global_load_b32 v6, v[4:5], off
	s_wait_loadcnt 0x0
	v_mul_f32_e32 v13, s31, v6
	s_cbranch_vccnz .LBB54_25
; %bb.19:                               ;   in Loop: Header=BB54_4 Depth=1
	s_add_nc_u64 s[14:15], s[12:13], s[8:9]
	v_mul_u64_e32 v[8:9], s[8:9], v[2:3]
	v_mul_u64_e32 v[6:7], s[14:15], v[2:3]
	s_lshl_b64 s[14:15], s[12:13], 2
	s_mov_b64 s[22:23], 0
	s_delay_alu instid0(VALU_DEP_2) | instskip(NEXT) | instid1(VALU_DEP_2)
	v_lshl_add_u64 v[8:9], v[8:9], 2, s[2:3]
	v_lshl_add_u64 v[6:7], v[6:7], 2, s[2:3]
	s_branch .LBB54_21
.LBB54_20:                              ;   in Loop: Header=BB54_21 Depth=2
	s_wait_xcnt 0x0
	s_or_b32 exec_lo, exec_lo, s37
	v_add_nc_u64_e32 v[8:9], s[14:15], v[8:9]
	s_add_nc_u64 s[22:23], s[22:23], 1
	s_delay_alu instid0(SALU_CYCLE_1)
	s_cmp_eq_u64 s[6:7], s[22:23]
	s_cbranch_scc1 .LBB54_25
.LBB54_21:                              ;   Parent Loop BB54_4 Depth=1
                                        ; =>  This Inner Loop Header: Depth=2
	s_mov_b32 s37, exec_lo
	s_wait_dscnt 0x0
	s_barrier_signal -1
	s_barrier_wait -1
	s_wait_xcnt 0x0
	v_cmpx_eq_u64_e64 s[22:23], v[2:3]
	s_cbranch_execz .LBB54_23
; %bb.22:                               ;   in Loop: Header=BB54_21 Depth=2
	flat_load_b32 v14, v[6:7]
	s_wait_loadcnt_dscnt 0x0
	v_div_scale_f32 v15, null, v14, v14, 1.0
	s_delay_alu instid0(VALU_DEP_1) | instskip(SKIP_1) | instid1(TRANS32_DEP_1)
	v_rcp_f32_e32 v16, v15
	v_nop
	v_fma_f32 v17, -v15, v16, 1.0
	s_delay_alu instid0(VALU_DEP_1) | instskip(SKIP_1) | instid1(VALU_DEP_1)
	v_fmac_f32_e32 v16, v17, v16
	v_div_scale_f32 v17, vcc_lo, 1.0, v14, 1.0
	v_mul_f32_e32 v18, v17, v16
	s_delay_alu instid0(VALU_DEP_1) | instskip(NEXT) | instid1(VALU_DEP_1)
	v_fma_f32 v19, -v15, v18, v17
	v_fmac_f32_e32 v18, v19, v16
	s_delay_alu instid0(VALU_DEP_1) | instskip(NEXT) | instid1(VALU_DEP_1)
	v_fma_f32 v15, -v15, v18, v17
	v_div_fmas_f32 v15, v15, v16, v18
	s_delay_alu instid0(VALU_DEP_1) | instskip(NEXT) | instid1(VALU_DEP_1)
	v_div_fixup_f32 v15, v15, v14, 1.0
	v_cndmask_b32_e64 v14, v15, v14, s0
	s_delay_alu instid0(VALU_DEP_1)
	v_mul_f32_e32 v13, v13, v14
	ds_store_b32 v11, v13
.LBB54_23:                              ;   in Loop: Header=BB54_21 Depth=2
	s_wait_xcnt 0x0
	s_or_b32 exec_lo, exec_lo, s37
	s_delay_alu instid0(SALU_CYCLE_1)
	s_mov_b32 s37, exec_lo
	s_wait_dscnt 0x0
	s_barrier_signal -1
	s_barrier_wait -1
	v_cmpx_lt_u64_e64 s[22:23], v[2:3]
	s_cbranch_execz .LBB54_20
; %bb.24:                               ;   in Loop: Header=BB54_21 Depth=2
	flat_load_b32 v14, v[8:9]
	ds_load_b32 v15, v11
	s_wait_loadcnt_dscnt 0x0
	v_fma_f32 v13, -v14, v15, v13
	s_branch .LBB54_20
.LBB54_25:                              ;   in Loop: Header=BB54_4 Depth=1
	s_wait_xcnt 0x0
	s_and_saveexec_b32 s14, s1
	s_cbranch_execz .LBB54_2
; %bb.26:                               ;   in Loop: Header=BB54_4 Depth=1
	s_add_nc_u64 s[22:23], s[12:13], s[8:9]
	s_delay_alu instid0(SALU_CYCLE_1) | instskip(NEXT) | instid1(VALU_DEP_1)
	v_mul_u64_e32 v[6:7], s[22:23], v[2:3]
	v_lshl_add_u64 v[6:7], v[6:7], 2, s[2:3]
	flat_load_b32 v6, v[6:7]
	s_wait_loadcnt_dscnt 0x0
	s_wait_xcnt 0x0
	v_div_scale_f32 v7, null, v6, v6, 1.0
	s_delay_alu instid0(VALU_DEP_1) | instskip(SKIP_1) | instid1(TRANS32_DEP_1)
	v_rcp_f32_e32 v8, v7
	v_nop
	v_fma_f32 v9, -v7, v8, 1.0
	s_delay_alu instid0(VALU_DEP_1) | instskip(SKIP_1) | instid1(VALU_DEP_1)
	v_fmac_f32_e32 v8, v9, v8
	v_div_scale_f32 v9, vcc_lo, 1.0, v6, 1.0
	v_mul_f32_e32 v14, v9, v8
	s_delay_alu instid0(VALU_DEP_1) | instskip(NEXT) | instid1(VALU_DEP_1)
	v_fma_f32 v15, -v7, v14, v9
	v_fmac_f32_e32 v14, v15, v8
	s_delay_alu instid0(VALU_DEP_1) | instskip(NEXT) | instid1(VALU_DEP_1)
	v_fma_f32 v7, -v7, v14, v9
	v_div_fmas_f32 v7, v7, v8, v14
	s_delay_alu instid0(VALU_DEP_1) | instskip(NEXT) | instid1(VALU_DEP_1)
	v_div_fixup_f32 v7, v7, v6, 1.0
	v_cndmask_b32_e64 v6, v7, v6, s0
	s_delay_alu instid0(VALU_DEP_1)
	v_mul_f32_e32 v13, v13, v6
	s_branch .LBB54_2
.LBB54_27:
	s_endpgm
	.section	.rodata,"a",@progbits
	.p2align	6, 0x0
	.amdhsa_kernel _ZL39rocblas_trsm_block_forward_substitutionIffPKfPfLb1ELb1ELb0EEv18rocblas_operation_llT0_T1_lllT2_lllib
		.amdhsa_group_segment_fixed_size 0
		.amdhsa_private_segment_fixed_size 0
		.amdhsa_kernarg_size 360
		.amdhsa_user_sgpr_count 2
		.amdhsa_user_sgpr_dispatch_ptr 0
		.amdhsa_user_sgpr_queue_ptr 0
		.amdhsa_user_sgpr_kernarg_segment_ptr 1
		.amdhsa_user_sgpr_dispatch_id 0
		.amdhsa_user_sgpr_kernarg_preload_length 0
		.amdhsa_user_sgpr_kernarg_preload_offset 0
		.amdhsa_user_sgpr_private_segment_size 0
		.amdhsa_wavefront_size32 1
		.amdhsa_uses_dynamic_stack 0
		.amdhsa_enable_private_segment 0
		.amdhsa_system_sgpr_workgroup_id_x 1
		.amdhsa_system_sgpr_workgroup_id_y 1
		.amdhsa_system_sgpr_workgroup_id_z 1
		.amdhsa_system_sgpr_workgroup_info 0
		.amdhsa_system_vgpr_workitem_id 1
		.amdhsa_next_free_vgpr 20
		.amdhsa_next_free_sgpr 38
		.amdhsa_named_barrier_count 0
		.amdhsa_reserve_vcc 1
		.amdhsa_float_round_mode_32 0
		.amdhsa_float_round_mode_16_64 0
		.amdhsa_float_denorm_mode_32 3
		.amdhsa_float_denorm_mode_16_64 3
		.amdhsa_fp16_overflow 0
		.amdhsa_memory_ordered 1
		.amdhsa_forward_progress 1
		.amdhsa_inst_pref_size 12
		.amdhsa_round_robin_scheduling 0
		.amdhsa_exception_fp_ieee_invalid_op 0
		.amdhsa_exception_fp_denorm_src 0
		.amdhsa_exception_fp_ieee_div_zero 0
		.amdhsa_exception_fp_ieee_overflow 0
		.amdhsa_exception_fp_ieee_underflow 0
		.amdhsa_exception_fp_ieee_inexact 0
		.amdhsa_exception_int_div_zero 0
	.end_amdhsa_kernel
	.section	.text._ZL39rocblas_trsm_block_forward_substitutionIffPKfPfLb1ELb1ELb0EEv18rocblas_operation_llT0_T1_lllT2_lllib,"axG",@progbits,_ZL39rocblas_trsm_block_forward_substitutionIffPKfPfLb1ELb1ELb0EEv18rocblas_operation_llT0_T1_lllT2_lllib,comdat
.Lfunc_end54:
	.size	_ZL39rocblas_trsm_block_forward_substitutionIffPKfPfLb1ELb1ELb0EEv18rocblas_operation_llT0_T1_lllT2_lllib, .Lfunc_end54-_ZL39rocblas_trsm_block_forward_substitutionIffPKfPfLb1ELb1ELb0EEv18rocblas_operation_llT0_T1_lllT2_lllib
                                        ; -- End function
	.set _ZL39rocblas_trsm_block_forward_substitutionIffPKfPfLb1ELb1ELb0EEv18rocblas_operation_llT0_T1_lllT2_lllib.num_vgpr, 20
	.set _ZL39rocblas_trsm_block_forward_substitutionIffPKfPfLb1ELb1ELb0EEv18rocblas_operation_llT0_T1_lllT2_lllib.num_agpr, 0
	.set _ZL39rocblas_trsm_block_forward_substitutionIffPKfPfLb1ELb1ELb0EEv18rocblas_operation_llT0_T1_lllT2_lllib.numbered_sgpr, 38
	.set _ZL39rocblas_trsm_block_forward_substitutionIffPKfPfLb1ELb1ELb0EEv18rocblas_operation_llT0_T1_lllT2_lllib.num_named_barrier, 0
	.set _ZL39rocblas_trsm_block_forward_substitutionIffPKfPfLb1ELb1ELb0EEv18rocblas_operation_llT0_T1_lllT2_lllib.private_seg_size, 0
	.set _ZL39rocblas_trsm_block_forward_substitutionIffPKfPfLb1ELb1ELb0EEv18rocblas_operation_llT0_T1_lllT2_lllib.uses_vcc, 1
	.set _ZL39rocblas_trsm_block_forward_substitutionIffPKfPfLb1ELb1ELb0EEv18rocblas_operation_llT0_T1_lllT2_lllib.uses_flat_scratch, 0
	.set _ZL39rocblas_trsm_block_forward_substitutionIffPKfPfLb1ELb1ELb0EEv18rocblas_operation_llT0_T1_lllT2_lllib.has_dyn_sized_stack, 0
	.set _ZL39rocblas_trsm_block_forward_substitutionIffPKfPfLb1ELb1ELb0EEv18rocblas_operation_llT0_T1_lllT2_lllib.has_recursion, 0
	.set _ZL39rocblas_trsm_block_forward_substitutionIffPKfPfLb1ELb1ELb0EEv18rocblas_operation_llT0_T1_lllT2_lllib.has_indirect_call, 0
	.section	.AMDGPU.csdata,"",@progbits
; Kernel info:
; codeLenInByte = 1428
; TotalNumSgprs: 40
; NumVgprs: 20
; ScratchSize: 0
; MemoryBound: 0
; FloatMode: 240
; IeeeMode: 1
; LDSByteSize: 0 bytes/workgroup (compile time only)
; SGPRBlocks: 0
; VGPRBlocks: 1
; NumSGPRsForWavesPerEU: 40
; NumVGPRsForWavesPerEU: 20
; NamedBarCnt: 0
; Occupancy: 16
; WaveLimiterHint : 0
; COMPUTE_PGM_RSRC2:SCRATCH_EN: 0
; COMPUTE_PGM_RSRC2:USER_SGPR: 2
; COMPUTE_PGM_RSRC2:TRAP_HANDLER: 0
; COMPUTE_PGM_RSRC2:TGID_X_EN: 1
; COMPUTE_PGM_RSRC2:TGID_Y_EN: 1
; COMPUTE_PGM_RSRC2:TGID_Z_EN: 1
; COMPUTE_PGM_RSRC2:TIDIG_COMP_CNT: 1
	.section	.text._ZL40rocblas_trsm_block_backward_substitutionIffPKfPfLb1ELb1ELb0EEv18rocblas_operation_llT0_T1_lllT2_lllib,"axG",@progbits,_ZL40rocblas_trsm_block_backward_substitutionIffPKfPfLb1ELb1ELb0EEv18rocblas_operation_llT0_T1_lllT2_lllib,comdat
	.globl	_ZL40rocblas_trsm_block_backward_substitutionIffPKfPfLb1ELb1ELb0EEv18rocblas_operation_llT0_T1_lllT2_lllib ; -- Begin function _ZL40rocblas_trsm_block_backward_substitutionIffPKfPfLb1ELb1ELb0EEv18rocblas_operation_llT0_T1_lllT2_lllib
	.p2align	8
	.type	_ZL40rocblas_trsm_block_backward_substitutionIffPKfPfLb1ELb1ELb0EEv18rocblas_operation_llT0_T1_lllT2_lllib,@function
_ZL40rocblas_trsm_block_backward_substitutionIffPKfPfLb1ELb1ELb0EEv18rocblas_operation_llT0_T1_lllT2_lllib: ; @_ZL40rocblas_trsm_block_backward_substitutionIffPKfPfLb1ELb1ELb0EEv18rocblas_operation_llT0_T1_lllT2_lllib
; %bb.0:
	s_load_b64 s[24:25], s[0:1], 0x60
	s_bfe_u32 s2, ttmp6, 0x40014
	s_lshr_b32 s4, ttmp7, 16
	s_add_co_i32 s2, s2, 1
	s_bfe_u32 s5, ttmp6, 0x40008
	s_mul_i32 s2, s4, s2
	s_getreg_b32 s3, hwreg(HW_REG_IB_STS2, 6, 4)
	s_add_co_i32 s5, s5, s2
	s_cmp_eq_u32 s3, 0
	s_mov_b32 s27, 0
	s_cselect_b32 s26, s4, s5
	s_wait_kmcnt 0x0
	s_cmp_ge_u32 s26, s24
	s_cbranch_scc1 .LBB55_29
; %bb.1:
	s_clause 0x1
	s_load_b512 s[4:19], s[0:1], 0x20
	s_load_u16 s33, s[0:1], 0x76
	s_bitcmp1_b32 s25, 0
	v_bfe_u32 v16, v0, 10, 10
	s_cselect_b32 s2, -1, 0
	s_bfe_u32 s20, ttmp6, 0x40010
	s_and_b32 s21, ttmp7, 0xffff
	s_add_co_i32 s20, s20, 1
	s_bfe_u32 s22, ttmp6, 0x40004
	s_mul_i32 s20, s21, s20
	v_and_b32_e32 v0, 0x3ff, v0
	s_add_co_i32 s22, s22, s20
	v_mov_b32_e32 v3, 0
	v_lshl_add_u32 v17, v16, 2, 0
	s_mov_b64 s[28:29], src_shared_base
	s_load_b32 s25, s[0:1], 0x18
	s_wait_kmcnt 0x0
	s_lshl_b64 s[30:31], s[6:7], 2
	s_lshl_b64 s[34:35], s[14:15], 2
	s_cmp_eq_u32 s3, 0
	s_add_nc_u64 s[12:13], s[12:13], s[34:35]
	s_cselect_b32 s3, s21, s22
	s_load_b128 s[20:23], s[0:1], 0x8
	v_mad_u32 v2, s3, s33, v16
	s_add_nc_u64 s[6:7], s[0:1], 0x68
	s_lshl_b32 s3, s33, 2
	s_wait_xcnt 0x0
	v_cmp_eq_u32_e64 s0, 0, v0
	s_add_co_i32 s14, s3, 0
	s_mov_b32 s15, s29
	v_lshl_add_u32 v18, v0, 2, s14
	s_add_nc_u64 s[4:5], s[4:5], s[30:31]
	v_mul_u64_e32 v[8:9], s[16:17], v[2:3]
	s_wait_kmcnt 0x0
	v_cmp_gt_i64_e32 vcc_lo, s[22:23], v[2:3]
	v_dual_mov_b32 v1, v3 :: v_dual_lshlrev_b32 v2, 2, v0
	v_cmp_gt_i64_e64 s37, s[20:21], 0
	v_cmp_gt_i64_e64 s38, s[20:21], 1
	s_add_nc_u64 s[16:17], s[20:21], -1
	v_mul_u64_e32 v[4:5], s[8:9], v[0:1]
	v_lshlrev_b64_e32 v[6:7], 2, v[0:1]
	v_cmp_le_i64_e64 s36, s[20:21], v[0:1]
	v_cmp_gt_i64_e64 s1, s[20:21], v[0:1]
	s_xor_b32 s40, s36, -1
	s_and_b32 s39, vcc_lo, s1
	v_lshl_add_u64 v[8:9], v[8:9], 2, s[12:13]
	s_lshl_b64 s[12:13], s[16:17], 2
	s_delay_alu instid0(VALU_DEP_1)
	v_add_nc_u64_e32 v[8:9], v[8:9], v[6:7]
	s_branch .LBB55_4
.LBB55_2:                               ;   in Loop: Header=BB55_4 Depth=1
	s_or_b32 exec_lo, exec_lo, s30
	global_store_b32 v[10:11], v19, off
.LBB55_3:                               ;   in Loop: Header=BB55_4 Depth=1
	s_wait_xcnt 0x0
	s_or_b32 exec_lo, exec_lo, s3
	s_add_co_i32 s26, s26, 0x10000
	s_delay_alu instid0(SALU_CYCLE_1)
	s_cmp_lt_u32 s26, s24
	s_cbranch_scc0 .LBB55_29
.LBB55_4:                               ; =>This Loop Header: Depth=1
                                        ;     Child Loop BB55_8 Depth 2
                                        ;     Child Loop BB55_23 Depth 2
	s_mul_u64 s[22:23], s[10:11], s[26:27]
	s_and_not1_b32 vcc_lo, exec_lo, s2
	s_lshl_b64 s[22:23], s[22:23], 2
	s_delay_alu instid0(SALU_CYCLE_1)
	s_add_nc_u64 s[22:23], s[4:5], s[22:23]
	s_cbranch_vccnz .LBB55_18
; %bb.5:                                ;   in Loop: Header=BB55_4 Depth=1
	s_and_not1_b32 vcc_lo, exec_lo, s37
	s_cbranch_vccnz .LBB55_19
; %bb.6:                                ;   in Loop: Header=BB55_4 Depth=1
	v_add_nc_u64_e32 v[10:11], s[22:23], v[2:3]
	v_mov_b32_e32 v14, v16
	s_mov_b32 s22, s33
	s_delay_alu instid0(VALU_DEP_2)
	v_lshl_add_u64 v[12:13], v[4:5], 2, v[10:11]
	s_branch .LBB55_8
.LBB55_7:                               ;   in Loop: Header=BB55_8 Depth=2
	s_or_b32 exec_lo, exec_lo, s23
	s_ashr_i32 s23, s22, 31
	v_add_nc_u32_e32 v14, s33, v14
	v_cmp_le_i64_e64 s3, s[20:21], s[22:23]
	s_add_co_i32 s22, s22, s33
	s_and_b32 vcc_lo, exec_lo, s3
	s_cbranch_vccnz .LBB55_19
.LBB55_8:                               ;   Parent Loop BB55_4 Depth=1
                                        ; =>  This Inner Loop Header: Depth=2
	s_mov_b32 s3, 0
	s_mov_b32 s28, s36
                                        ; implicit-def: $vgpr19
	s_and_saveexec_b32 s23, s1
	s_cbranch_execnz .LBB55_11
; %bb.9:                                ;   in Loop: Header=BB55_8 Depth=2
	s_or_b32 exec_lo, exec_lo, s23
	v_mov_b32_e32 v15, v14
	s_and_saveexec_b32 s23, s28
	s_cbranch_execnz .LBB55_14
.LBB55_10:                              ;   in Loop: Header=BB55_8 Depth=2
	s_or_b32 exec_lo, exec_lo, s23
	s_and_saveexec_b32 s23, s3
	s_cbranch_execz .LBB55_7
	s_branch .LBB55_17
.LBB55_11:                              ;   in Loop: Header=BB55_8 Depth=2
	v_ashrrev_i32_e32 v15, 31, v14
	v_cmp_lt_i32_e64 s3, v0, v14
	s_mov_b32 s28, -1
                                        ; implicit-def: $vgpr19
	v_cmp_gt_i64_e32 vcc_lo, s[20:21], v[14:15]
	s_and_b32 s30, s3, vcc_lo
	s_mov_b32 s3, 0
	s_and_saveexec_b32 s29, s30
	s_cbranch_execz .LBB55_13
; %bb.12:                               ;   in Loop: Header=BB55_8 Depth=2
	v_mul_u64_e32 v[20:21], s[8:9], v[14:15]
	s_mov_b32 s3, exec_lo
	s_xor_b32 s28, exec_lo, -1
	s_delay_alu instid0(VALU_DEP_1)
	v_lshl_add_u64 v[20:21], v[20:21], 2, v[10:11]
	s_wait_loadcnt 0x0
	global_load_b32 v19, v[20:21], off
.LBB55_13:                              ;   in Loop: Header=BB55_8 Depth=2
	s_wait_xcnt 0x0
	s_or_b32 exec_lo, exec_lo, s29
	s_delay_alu instid0(SALU_CYCLE_1)
	s_and_not1_b32 s29, s36, exec_lo
	s_and_b32 s28, s28, exec_lo
	s_and_b32 s3, s3, exec_lo
	s_or_b32 s28, s29, s28
	s_or_b32 exec_lo, exec_lo, s23
	v_mov_b32_e32 v15, v14
	s_and_saveexec_b32 s23, s28
	s_cbranch_execz .LBB55_10
.LBB55_14:                              ;   in Loop: Header=BB55_8 Depth=2
	v_cmp_eq_u32_e32 vcc_lo, v0, v14
	s_mov_b32 s29, s3
                                        ; implicit-def: $vgpr19
	s_and_b32 s30, s40, vcc_lo
	s_delay_alu instid0(SALU_CYCLE_1)
	s_and_saveexec_b32 s28, s30
	s_cbranch_execz .LBB55_16
; %bb.15:                               ;   in Loop: Header=BB55_8 Depth=2
	global_load_b32 v15, v[12:13], off
	s_or_b32 s29, s3, exec_lo
	s_wait_loadcnt 0x0
	v_div_scale_f32 v19, null, v15, v15, 1.0
	s_delay_alu instid0(VALU_DEP_1) | instskip(SKIP_1) | instid1(TRANS32_DEP_1)
	v_rcp_f32_e32 v20, v19
	v_nop
	v_fma_f32 v21, -v19, v20, 1.0
	s_delay_alu instid0(VALU_DEP_1) | instskip(SKIP_1) | instid1(VALU_DEP_1)
	v_fmac_f32_e32 v20, v21, v20
	v_div_scale_f32 v21, vcc_lo, 1.0, v15, 1.0
	v_mul_f32_e32 v22, v21, v20
	s_delay_alu instid0(VALU_DEP_1) | instskip(NEXT) | instid1(VALU_DEP_1)
	v_fma_f32 v23, -v19, v22, v21
	v_fmac_f32_e32 v22, v23, v20
	s_delay_alu instid0(VALU_DEP_1) | instskip(NEXT) | instid1(VALU_DEP_1)
	v_fma_f32 v19, -v19, v22, v21
	v_div_fmas_f32 v19, v19, v20, v22
	s_delay_alu instid0(VALU_DEP_1)
	v_div_fixup_f32 v19, v19, v15, 1.0
.LBB55_16:                              ;   in Loop: Header=BB55_8 Depth=2
	s_wait_xcnt 0x0
	s_or_b32 exec_lo, exec_lo, s28
	v_mov_b32_e32 v15, v0
	s_and_not1_b32 s3, s3, exec_lo
	s_and_b32 s28, s29, exec_lo
	s_delay_alu instid0(SALU_CYCLE_1)
	s_or_b32 s3, s3, s28
	s_or_b32 exec_lo, exec_lo, s23
	s_and_saveexec_b32 s23, s3
	s_cbranch_execz .LBB55_7
.LBB55_17:                              ;   in Loop: Header=BB55_8 Depth=2
	s_load_b32 s3, s[6:7], 0xc
	s_wait_kmcnt 0x0
	s_and_b32 s3, s3, 0xffff
	s_delay_alu instid0(SALU_CYCLE_1) | instskip(NEXT) | instid1(VALU_DEP_1)
	v_mul_lo_u32 v15, v15, s3
	v_lshl_add_u32 v15, v15, 2, v18
	s_wait_loadcnt 0x0
	ds_store_b32 v15, v19
	s_branch .LBB55_7
.LBB55_18:                              ;   in Loop: Header=BB55_4 Depth=1
	s_mov_b64 s[28:29], s[8:9]
	s_and_saveexec_b32 s3, s39
	s_cbranch_execz .LBB55_3
	s_branch .LBB55_20
.LBB55_19:                              ;   in Loop: Header=BB55_4 Depth=1
	s_load_b32 s3, s[6:7], 0xc
	s_mov_b32 s29, s27
	s_mov_b64 s[22:23], s[14:15]
	s_wait_kmcnt 0x0
	s_and_b32 s28, s3, 0xffff
	s_and_saveexec_b32 s3, s39
	s_cbranch_execz .LBB55_3
.LBB55_20:                              ;   in Loop: Header=BB55_4 Depth=1
	s_mul_u64 s[30:31], s[18:19], s[26:27]
	s_and_not1_b32 vcc_lo, exec_lo, s38
	v_lshl_add_u64 v[10:11], s[30:31], 2, v[8:9]
	global_load_b32 v12, v[10:11], off
	s_wait_loadcnt 0x0
	v_mul_f32_e32 v19, s25, v12
	s_cbranch_vccnz .LBB55_27
; %bb.21:                               ;   in Loop: Header=BB55_4 Depth=1
	v_mad_nc_u64_u32 v[14:15], v0, s28, v[0:1]
	v_add_nc_u64_e32 v[12:13], s[22:23], v[6:7]
	s_mul_i32 s30, s13, s28
	s_mul_i32 s31, s12, s29
	s_mov_b64 s[34:35], s[16:17]
	s_delay_alu instid0(VALU_DEP_1) | instskip(NEXT) | instid1(VALU_DEP_3)
	v_mad_nc_u64_u32 v[12:13], s12, s28, v[12:13]
	v_mad_u32 v15, v0, s29, v15
	s_delay_alu instid0(VALU_DEP_2) | instskip(SKIP_1) | instid1(SALU_CYCLE_1)
	v_add3_u32 v13, s31, s30, v13
	s_lshl_b64 s[30:31], s[28:29], 2
	s_sub_nc_u64 s[30:31], 0, s[30:31]
	s_delay_alu instid0(VALU_DEP_2)
	v_lshl_add_u64 v[14:15], v[14:15], 2, s[22:23]
	s_branch .LBB55_23
.LBB55_22:                              ;   in Loop: Header=BB55_23 Depth=2
	s_wait_xcnt 0x0
	s_or_b32 exec_lo, exec_lo, s41
	s_add_nc_u64 s[42:43], s[34:35], 1
	v_add_nc_u64_e32 v[12:13], s[30:31], v[12:13]
	v_cmp_lt_u64_e64 s41, s[42:43], 3
	s_add_nc_u64 s[34:35], s[34:35], -1
	s_and_b32 vcc_lo, exec_lo, s41
	s_cbranch_vccnz .LBB55_27
.LBB55_23:                              ;   Parent Loop BB55_4 Depth=1
                                        ; =>  This Inner Loop Header: Depth=2
	s_mov_b32 s41, exec_lo
	s_wait_dscnt 0x0
	s_barrier_signal -1
	s_barrier_wait -1
	s_wait_xcnt 0x0
	v_cmpx_eq_u64_e64 s[34:35], v[0:1]
	s_cbranch_execz .LBB55_25
; %bb.24:                               ;   in Loop: Header=BB55_23 Depth=2
	flat_load_b32 v20, v[14:15]
	s_wait_loadcnt_dscnt 0x0
	v_div_scale_f32 v21, null, v20, v20, 1.0
	s_delay_alu instid0(VALU_DEP_1) | instskip(SKIP_1) | instid1(TRANS32_DEP_1)
	v_rcp_f32_e32 v22, v21
	v_nop
	v_fma_f32 v23, -v21, v22, 1.0
	s_delay_alu instid0(VALU_DEP_1) | instskip(SKIP_1) | instid1(VALU_DEP_1)
	v_fmac_f32_e32 v22, v23, v22
	v_div_scale_f32 v23, vcc_lo, 1.0, v20, 1.0
	v_mul_f32_e32 v24, v23, v22
	s_delay_alu instid0(VALU_DEP_1) | instskip(NEXT) | instid1(VALU_DEP_1)
	v_fma_f32 v25, -v21, v24, v23
	v_fmac_f32_e32 v24, v25, v22
	s_delay_alu instid0(VALU_DEP_1) | instskip(NEXT) | instid1(VALU_DEP_1)
	v_fma_f32 v21, -v21, v24, v23
	v_div_fmas_f32 v21, v21, v22, v24
	s_delay_alu instid0(VALU_DEP_1) | instskip(NEXT) | instid1(VALU_DEP_1)
	v_div_fixup_f32 v21, v21, v20, 1.0
	v_cndmask_b32_e64 v20, v21, v20, s2
	s_delay_alu instid0(VALU_DEP_1)
	v_mul_f32_e32 v19, v19, v20
	ds_store_b32 v17, v19
.LBB55_25:                              ;   in Loop: Header=BB55_23 Depth=2
	s_wait_xcnt 0x0
	s_or_b32 exec_lo, exec_lo, s41
	s_delay_alu instid0(SALU_CYCLE_1)
	s_mov_b32 s41, exec_lo
	s_wait_dscnt 0x0
	s_barrier_signal -1
	s_barrier_wait -1
	v_cmpx_gt_i64_e64 s[34:35], v[0:1]
	s_cbranch_execz .LBB55_22
; %bb.26:                               ;   in Loop: Header=BB55_23 Depth=2
	flat_load_b32 v20, v[12:13]
	ds_load_b32 v21, v17
	s_wait_loadcnt_dscnt 0x0
	v_fma_f32 v19, -v20, v21, v19
	s_branch .LBB55_22
.LBB55_27:                              ;   in Loop: Header=BB55_4 Depth=1
	s_wait_xcnt 0x0
	s_and_saveexec_b32 s30, s0
	s_cbranch_execz .LBB55_2
; %bb.28:                               ;   in Loop: Header=BB55_4 Depth=1
	v_mad_nc_u64_u32 v[12:13], v0, s28, v[0:1]
	s_delay_alu instid0(VALU_DEP_1) | instskip(NEXT) | instid1(VALU_DEP_1)
	v_mad_u32 v13, v0, s29, v13
	v_lshl_add_u64 v[12:13], v[12:13], 2, s[22:23]
	flat_load_b32 v12, v[12:13]
	s_wait_loadcnt_dscnt 0x0
	s_wait_xcnt 0x0
	v_div_scale_f32 v13, null, v12, v12, 1.0
	s_delay_alu instid0(VALU_DEP_1) | instskip(SKIP_1) | instid1(TRANS32_DEP_1)
	v_rcp_f32_e32 v14, v13
	v_nop
	v_fma_f32 v15, -v13, v14, 1.0
	s_delay_alu instid0(VALU_DEP_1) | instskip(SKIP_1) | instid1(VALU_DEP_1)
	v_fmac_f32_e32 v14, v15, v14
	v_div_scale_f32 v15, vcc_lo, 1.0, v12, 1.0
	v_mul_f32_e32 v20, v15, v14
	s_delay_alu instid0(VALU_DEP_1) | instskip(NEXT) | instid1(VALU_DEP_1)
	v_fma_f32 v21, -v13, v20, v15
	v_fmac_f32_e32 v20, v21, v14
	s_delay_alu instid0(VALU_DEP_1) | instskip(NEXT) | instid1(VALU_DEP_1)
	v_fma_f32 v13, -v13, v20, v15
	v_div_fmas_f32 v13, v13, v14, v20
	s_delay_alu instid0(VALU_DEP_1) | instskip(NEXT) | instid1(VALU_DEP_1)
	v_div_fixup_f32 v13, v13, v12, 1.0
	v_cndmask_b32_e64 v12, v13, v12, s2
	s_delay_alu instid0(VALU_DEP_1)
	v_mul_f32_e32 v19, v19, v12
	s_branch .LBB55_2
.LBB55_29:
	s_endpgm
	.section	.rodata,"a",@progbits
	.p2align	6, 0x0
	.amdhsa_kernel _ZL40rocblas_trsm_block_backward_substitutionIffPKfPfLb1ELb1ELb0EEv18rocblas_operation_llT0_T1_lllT2_lllib
		.amdhsa_group_segment_fixed_size 0
		.amdhsa_private_segment_fixed_size 0
		.amdhsa_kernarg_size 360
		.amdhsa_user_sgpr_count 2
		.amdhsa_user_sgpr_dispatch_ptr 0
		.amdhsa_user_sgpr_queue_ptr 0
		.amdhsa_user_sgpr_kernarg_segment_ptr 1
		.amdhsa_user_sgpr_dispatch_id 0
		.amdhsa_user_sgpr_kernarg_preload_length 0
		.amdhsa_user_sgpr_kernarg_preload_offset 0
		.amdhsa_user_sgpr_private_segment_size 0
		.amdhsa_wavefront_size32 1
		.amdhsa_uses_dynamic_stack 0
		.amdhsa_enable_private_segment 0
		.amdhsa_system_sgpr_workgroup_id_x 1
		.amdhsa_system_sgpr_workgroup_id_y 1
		.amdhsa_system_sgpr_workgroup_id_z 1
		.amdhsa_system_sgpr_workgroup_info 0
		.amdhsa_system_vgpr_workitem_id 1
		.amdhsa_next_free_vgpr 26
		.amdhsa_next_free_sgpr 44
		.amdhsa_named_barrier_count 0
		.amdhsa_reserve_vcc 1
		.amdhsa_float_round_mode_32 0
		.amdhsa_float_round_mode_16_64 0
		.amdhsa_float_denorm_mode_32 3
		.amdhsa_float_denorm_mode_16_64 3
		.amdhsa_fp16_overflow 0
		.amdhsa_memory_ordered 1
		.amdhsa_forward_progress 1
		.amdhsa_inst_pref_size 12
		.amdhsa_round_robin_scheduling 0
		.amdhsa_exception_fp_ieee_invalid_op 0
		.amdhsa_exception_fp_denorm_src 0
		.amdhsa_exception_fp_ieee_div_zero 0
		.amdhsa_exception_fp_ieee_overflow 0
		.amdhsa_exception_fp_ieee_underflow 0
		.amdhsa_exception_fp_ieee_inexact 0
		.amdhsa_exception_int_div_zero 0
	.end_amdhsa_kernel
	.section	.text._ZL40rocblas_trsm_block_backward_substitutionIffPKfPfLb1ELb1ELb0EEv18rocblas_operation_llT0_T1_lllT2_lllib,"axG",@progbits,_ZL40rocblas_trsm_block_backward_substitutionIffPKfPfLb1ELb1ELb0EEv18rocblas_operation_llT0_T1_lllT2_lllib,comdat
.Lfunc_end55:
	.size	_ZL40rocblas_trsm_block_backward_substitutionIffPKfPfLb1ELb1ELb0EEv18rocblas_operation_llT0_T1_lllT2_lllib, .Lfunc_end55-_ZL40rocblas_trsm_block_backward_substitutionIffPKfPfLb1ELb1ELb0EEv18rocblas_operation_llT0_T1_lllT2_lllib
                                        ; -- End function
	.set _ZL40rocblas_trsm_block_backward_substitutionIffPKfPfLb1ELb1ELb0EEv18rocblas_operation_llT0_T1_lllT2_lllib.num_vgpr, 26
	.set _ZL40rocblas_trsm_block_backward_substitutionIffPKfPfLb1ELb1ELb0EEv18rocblas_operation_llT0_T1_lllT2_lllib.num_agpr, 0
	.set _ZL40rocblas_trsm_block_backward_substitutionIffPKfPfLb1ELb1ELb0EEv18rocblas_operation_llT0_T1_lllT2_lllib.numbered_sgpr, 44
	.set _ZL40rocblas_trsm_block_backward_substitutionIffPKfPfLb1ELb1ELb0EEv18rocblas_operation_llT0_T1_lllT2_lllib.num_named_barrier, 0
	.set _ZL40rocblas_trsm_block_backward_substitutionIffPKfPfLb1ELb1ELb0EEv18rocblas_operation_llT0_T1_lllT2_lllib.private_seg_size, 0
	.set _ZL40rocblas_trsm_block_backward_substitutionIffPKfPfLb1ELb1ELb0EEv18rocblas_operation_llT0_T1_lllT2_lllib.uses_vcc, 1
	.set _ZL40rocblas_trsm_block_backward_substitutionIffPKfPfLb1ELb1ELb0EEv18rocblas_operation_llT0_T1_lllT2_lllib.uses_flat_scratch, 0
	.set _ZL40rocblas_trsm_block_backward_substitutionIffPKfPfLb1ELb1ELb0EEv18rocblas_operation_llT0_T1_lllT2_lllib.has_dyn_sized_stack, 0
	.set _ZL40rocblas_trsm_block_backward_substitutionIffPKfPfLb1ELb1ELb0EEv18rocblas_operation_llT0_T1_lllT2_lllib.has_recursion, 0
	.set _ZL40rocblas_trsm_block_backward_substitutionIffPKfPfLb1ELb1ELb0EEv18rocblas_operation_llT0_T1_lllT2_lllib.has_indirect_call, 0
	.section	.AMDGPU.csdata,"",@progbits
; Kernel info:
; codeLenInByte = 1524
; TotalNumSgprs: 46
; NumVgprs: 26
; ScratchSize: 0
; MemoryBound: 0
; FloatMode: 240
; IeeeMode: 1
; LDSByteSize: 0 bytes/workgroup (compile time only)
; SGPRBlocks: 0
; VGPRBlocks: 1
; NumSGPRsForWavesPerEU: 46
; NumVGPRsForWavesPerEU: 26
; NamedBarCnt: 0
; Occupancy: 16
; WaveLimiterHint : 0
; COMPUTE_PGM_RSRC2:SCRATCH_EN: 0
; COMPUTE_PGM_RSRC2:USER_SGPR: 2
; COMPUTE_PGM_RSRC2:TRAP_HANDLER: 0
; COMPUTE_PGM_RSRC2:TGID_X_EN: 1
; COMPUTE_PGM_RSRC2:TGID_Y_EN: 1
; COMPUTE_PGM_RSRC2:TGID_Z_EN: 1
; COMPUTE_PGM_RSRC2:TIDIG_COMP_CNT: 1
	.section	.text._ZL39rocblas_trsm_block_forward_substitutionIffPKfPfLb1ELb1ELb1EEv18rocblas_operation_llT0_T1_lllT2_lllib,"axG",@progbits,_ZL39rocblas_trsm_block_forward_substitutionIffPKfPfLb1ELb1ELb1EEv18rocblas_operation_llT0_T1_lllT2_lllib,comdat
	.globl	_ZL39rocblas_trsm_block_forward_substitutionIffPKfPfLb1ELb1ELb1EEv18rocblas_operation_llT0_T1_lllT2_lllib ; -- Begin function _ZL39rocblas_trsm_block_forward_substitutionIffPKfPfLb1ELb1ELb1EEv18rocblas_operation_llT0_T1_lllT2_lllib
	.p2align	8
	.type	_ZL39rocblas_trsm_block_forward_substitutionIffPKfPfLb1ELb1ELb1EEv18rocblas_operation_llT0_T1_lllT2_lllib,@function
_ZL39rocblas_trsm_block_forward_substitutionIffPKfPfLb1ELb1ELb1EEv18rocblas_operation_llT0_T1_lllT2_lllib: ; @_ZL39rocblas_trsm_block_forward_substitutionIffPKfPfLb1ELb1ELb1EEv18rocblas_operation_llT0_T1_lllT2_lllib
; %bb.0:
	s_load_b64 s[2:3], s[0:1], 0x60
	s_bfe_u32 s4, ttmp6, 0x40014
	s_lshr_b32 s5, ttmp7, 16
	s_add_co_i32 s4, s4, 1
	s_bfe_u32 s6, ttmp6, 0x40008
	s_mul_i32 s4, s5, s4
	s_getreg_b32 s26, hwreg(HW_REG_IB_STS2, 6, 4)
	s_add_co_i32 s6, s6, s4
	s_cmp_eq_u32 s26, 0
	s_mov_b32 s25, 0
	s_cselect_b32 s24, s5, s6
	s_wait_kmcnt 0x0
	s_cmp_ge_u32 s24, s2
	s_cbranch_scc1 .LBB56_19
; %bb.1:
	s_load_b512 s[4:19], s[0:1], 0x20
	v_mov_b32_e32 v1, 0
	v_and_b32_e32 v2, 0x3ff, v0
	s_clause 0x1
	s_load_u16 s28, s[0:1], 0x76
	s_load_b128 s[20:23], s[0:1], 0x8
	s_bitcmp1_b32 s3, 0
	s_mov_b64 s[30:31], src_shared_base
	v_mov_b32_e32 v3, v1
	s_cselect_b32 s3, -1, 0
	s_and_b32 s27, ttmp7, 0xffff
	v_bfe_u32 v8, v0, 10, 10
	s_load_b32 s29, s[0:1], 0x18
	s_delay_alu instid0(VALU_DEP_1)
	v_lshl_add_u32 v9, v8, 2, 0
	s_wait_kmcnt 0x0
	v_mul_u64_e32 v[4:5], s[16:17], v[2:3]
	s_bfe_u32 s16, ttmp6, 0x40010
	s_bfe_u32 s17, ttmp6, 0x40004
	s_add_co_i32 s16, s16, 1
	s_lshl_b64 s[34:35], s[14:15], 2
	s_mul_i32 s16, s27, s16
	s_add_nc_u64 s[12:13], s[12:13], s[34:35]
	s_add_co_i32 s30, s17, s16
	s_lshl_b64 s[16:17], s[6:7], 2
	s_cmp_eq_u32 s26, 0
	s_add_nc_u64 s[6:7], s[0:1], 0x68
	s_cselect_b32 s14, s27, s30
	v_cmp_gt_i64_e64 s0, s[20:21], v[2:3]
	v_mad_u32 v0, s14, s28, v8
	s_lshl_b32 s14, s28, 2
	v_cmp_gt_i64_e64 s1, s[20:21], 0
	s_add_co_i32 s14, s14, 0
	v_cmp_gt_i64_e64 s30, s[20:21], 1
	v_lshl_add_u32 v10, v2, 2, s14
	s_mov_b32 s15, s31
	s_add_nc_u64 s[4:5], s[4:5], s[16:17]
	s_mov_b64 s[16:17], 1
	v_cmp_gt_i64_e32 vcc_lo, s[22:23], v[0:1]
	s_and_b32 s31, vcc_lo, s0
	v_lshl_add_u64 v[4:5], v[4:5], 2, s[12:13]
	s_add_nc_u64 s[12:13], s[20:21], -1
	s_delay_alu instid0(VALU_DEP_1)
	v_lshl_add_u64 v[0:1], v[0:1], 2, v[4:5]
	s_branch .LBB56_4
.LBB56_2:                               ;   in Loop: Header=BB56_4 Depth=1
	global_store_b32 v[4:5], v11, off
.LBB56_3:                               ;   in Loop: Header=BB56_4 Depth=1
	s_wait_xcnt 0x0
	s_or_b32 exec_lo, exec_lo, s33
	s_add_co_i32 s24, s24, 0x10000
	s_delay_alu instid0(SALU_CYCLE_1)
	s_cmp_lt_u32 s24, s2
	s_cbranch_scc0 .LBB56_19
.LBB56_4:                               ; =>This Loop Header: Depth=1
                                        ;     Child Loop BB56_9 Depth 2
                                        ;     Child Loop BB56_15 Depth 2
	s_mul_u64 s[22:23], s[10:11], s[24:25]
	s_and_not1_b32 vcc_lo, exec_lo, s3
	s_lshl_b64 s[22:23], s[22:23], 2
	s_delay_alu instid0(SALU_CYCLE_1)
	s_add_nc_u64 s[22:23], s[4:5], s[22:23]
	s_cbranch_vccz .LBB56_6
; %bb.5:                                ;   in Loop: Header=BB56_4 Depth=1
	s_and_saveexec_b32 s33, s31
	s_cbranch_execz .LBB56_3
	s_branch .LBB56_12
.LBB56_6:                               ;   in Loop: Header=BB56_4 Depth=1
	s_and_not1_b32 vcc_lo, exec_lo, s1
	s_cbranch_vccnz .LBB56_11
; %bb.7:                                ;   in Loop: Header=BB56_4 Depth=1
	v_mul_u64_e32 v[4:5], s[8:9], v[2:3]
	s_mov_b32 s8, 0
	s_delay_alu instid0(VALU_DEP_1)
	v_lshl_add_u64 v[4:5], v[4:5], 2, s[22:23]
	s_branch .LBB56_9
.LBB56_8:                               ;   in Loop: Header=BB56_9 Depth=2
	s_wait_xcnt 0x0
	s_or_b32 exec_lo, exec_lo, s9
	s_add_co_i32 s8, s8, s28
	s_delay_alu instid0(SALU_CYCLE_1) | instskip(NEXT) | instid1(SALU_CYCLE_1)
	s_ashr_i32 s9, s8, 31
	v_cmp_le_i64_e64 s9, s[20:21], s[8:9]
	s_and_b32 vcc_lo, exec_lo, s9
	s_cbranch_vccnz .LBB56_11
.LBB56_9:                               ;   Parent Loop BB56_4 Depth=1
                                        ; =>  This Inner Loop Header: Depth=2
	v_add_nc_u32_e32 v6, s8, v8
	s_delay_alu instid0(VALU_DEP_1) | instskip(SKIP_1) | instid1(SALU_CYCLE_1)
	v_cmp_gt_i32_e32 vcc_lo, v2, v6
	s_and_b32 s22, s0, vcc_lo
	s_and_saveexec_b32 s9, s22
	s_cbranch_execz .LBB56_8
; %bb.10:                               ;   in Loop: Header=BB56_9 Depth=2
	v_ashrrev_i32_e32 v7, 31, v6
	s_load_b32 s22, s[6:7], 0xc
	s_delay_alu instid0(VALU_DEP_1) | instskip(SKIP_2) | instid1(SALU_CYCLE_1)
	v_mul_u64_e32 v[12:13], s[16:17], v[6:7]
	s_wait_kmcnt 0x0
	s_and_b32 s22, s22, 0xffff
	v_mul_lo_u32 v6, v6, s22
	s_delay_alu instid0(VALU_DEP_1) | instskip(NEXT) | instid1(VALU_DEP_3)
	v_lshl_add_u32 v6, v6, 2, v10
	v_lshl_add_u64 v[12:13], v[12:13], 2, v[4:5]
	global_load_b32 v7, v[12:13], off
	s_wait_loadcnt 0x0
	ds_store_b32 v6, v7
	s_branch .LBB56_8
.LBB56_11:                              ;   in Loop: Header=BB56_4 Depth=1
	s_load_b32 s16, s[6:7], 0xc
	s_mov_b32 s17, s25
	s_mov_b64 s[8:9], 1
	s_mov_b64 s[22:23], s[14:15]
	s_wait_kmcnt 0x0
	s_and_b32 s16, s16, 0xffff
	s_and_saveexec_b32 s33, s31
	s_cbranch_execz .LBB56_3
.LBB56_12:                              ;   in Loop: Header=BB56_4 Depth=1
	s_mul_u64 s[26:27], s[18:19], s[24:25]
	s_and_not1_b32 vcc_lo, exec_lo, s30
	v_lshl_add_u64 v[4:5], s[26:27], 2, v[0:1]
	global_load_b32 v6, v[4:5], off
	s_wait_loadcnt 0x0
	v_mul_f32_e32 v11, s29, v6
	s_cbranch_vccnz .LBB56_2
; %bb.13:                               ;   in Loop: Header=BB56_4 Depth=1
	v_mul_u64_e32 v[6:7], s[8:9], v[2:3]
	s_mov_b64 s[26:27], 0
	s_delay_alu instid0(VALU_DEP_1)
	v_lshl_add_u64 v[6:7], v[6:7], 2, s[22:23]
	s_lshl_b64 s[22:23], s[16:17], 2
	s_branch .LBB56_15
.LBB56_14:                              ;   in Loop: Header=BB56_15 Depth=2
	s_wait_xcnt 0x0
	s_or_b32 exec_lo, exec_lo, s34
	v_add_nc_u64_e32 v[6:7], s[22:23], v[6:7]
	s_add_nc_u64 s[26:27], s[26:27], 1
	s_delay_alu instid0(SALU_CYCLE_1)
	s_cmp_eq_u64 s[12:13], s[26:27]
	s_cbranch_scc1 .LBB56_2
.LBB56_15:                              ;   Parent Loop BB56_4 Depth=1
                                        ; =>  This Inner Loop Header: Depth=2
	s_mov_b32 s34, exec_lo
	s_wait_dscnt 0x0
	s_barrier_signal -1
	s_barrier_wait -1
	s_wait_xcnt 0x0
	v_cmpx_eq_u64_e64 s[26:27], v[2:3]
; %bb.16:                               ;   in Loop: Header=BB56_15 Depth=2
	ds_store_b32 v9, v11
; %bb.17:                               ;   in Loop: Header=BB56_15 Depth=2
	s_or_b32 exec_lo, exec_lo, s34
	s_delay_alu instid0(SALU_CYCLE_1)
	s_mov_b32 s34, exec_lo
	s_wait_dscnt 0x0
	s_barrier_signal -1
	s_barrier_wait -1
	v_cmpx_lt_u64_e64 s[26:27], v[2:3]
	s_cbranch_execz .LBB56_14
; %bb.18:                               ;   in Loop: Header=BB56_15 Depth=2
	flat_load_b32 v12, v[6:7]
	ds_load_b32 v13, v9
	s_wait_loadcnt_dscnt 0x0
	v_fma_f32 v11, -v12, v13, v11
	s_branch .LBB56_14
.LBB56_19:
	s_endpgm
	.section	.rodata,"a",@progbits
	.p2align	6, 0x0
	.amdhsa_kernel _ZL39rocblas_trsm_block_forward_substitutionIffPKfPfLb1ELb1ELb1EEv18rocblas_operation_llT0_T1_lllT2_lllib
		.amdhsa_group_segment_fixed_size 0
		.amdhsa_private_segment_fixed_size 0
		.amdhsa_kernarg_size 360
		.amdhsa_user_sgpr_count 2
		.amdhsa_user_sgpr_dispatch_ptr 0
		.amdhsa_user_sgpr_queue_ptr 0
		.amdhsa_user_sgpr_kernarg_segment_ptr 1
		.amdhsa_user_sgpr_dispatch_id 0
		.amdhsa_user_sgpr_kernarg_preload_length 0
		.amdhsa_user_sgpr_kernarg_preload_offset 0
		.amdhsa_user_sgpr_private_segment_size 0
		.amdhsa_wavefront_size32 1
		.amdhsa_uses_dynamic_stack 0
		.amdhsa_enable_private_segment 0
		.amdhsa_system_sgpr_workgroup_id_x 1
		.amdhsa_system_sgpr_workgroup_id_y 1
		.amdhsa_system_sgpr_workgroup_id_z 1
		.amdhsa_system_sgpr_workgroup_info 0
		.amdhsa_system_vgpr_workitem_id 1
		.amdhsa_next_free_vgpr 14
		.amdhsa_next_free_sgpr 36
		.amdhsa_named_barrier_count 0
		.amdhsa_reserve_vcc 1
		.amdhsa_float_round_mode_32 0
		.amdhsa_float_round_mode_16_64 0
		.amdhsa_float_denorm_mode_32 3
		.amdhsa_float_denorm_mode_16_64 3
		.amdhsa_fp16_overflow 0
		.amdhsa_memory_ordered 1
		.amdhsa_forward_progress 1
		.amdhsa_inst_pref_size 7
		.amdhsa_round_robin_scheduling 0
		.amdhsa_exception_fp_ieee_invalid_op 0
		.amdhsa_exception_fp_denorm_src 0
		.amdhsa_exception_fp_ieee_div_zero 0
		.amdhsa_exception_fp_ieee_overflow 0
		.amdhsa_exception_fp_ieee_underflow 0
		.amdhsa_exception_fp_ieee_inexact 0
		.amdhsa_exception_int_div_zero 0
	.end_amdhsa_kernel
	.section	.text._ZL39rocblas_trsm_block_forward_substitutionIffPKfPfLb1ELb1ELb1EEv18rocblas_operation_llT0_T1_lllT2_lllib,"axG",@progbits,_ZL39rocblas_trsm_block_forward_substitutionIffPKfPfLb1ELb1ELb1EEv18rocblas_operation_llT0_T1_lllT2_lllib,comdat
.Lfunc_end56:
	.size	_ZL39rocblas_trsm_block_forward_substitutionIffPKfPfLb1ELb1ELb1EEv18rocblas_operation_llT0_T1_lllT2_lllib, .Lfunc_end56-_ZL39rocblas_trsm_block_forward_substitutionIffPKfPfLb1ELb1ELb1EEv18rocblas_operation_llT0_T1_lllT2_lllib
                                        ; -- End function
	.set _ZL39rocblas_trsm_block_forward_substitutionIffPKfPfLb1ELb1ELb1EEv18rocblas_operation_llT0_T1_lllT2_lllib.num_vgpr, 14
	.set _ZL39rocblas_trsm_block_forward_substitutionIffPKfPfLb1ELb1ELb1EEv18rocblas_operation_llT0_T1_lllT2_lllib.num_agpr, 0
	.set _ZL39rocblas_trsm_block_forward_substitutionIffPKfPfLb1ELb1ELb1EEv18rocblas_operation_llT0_T1_lllT2_lllib.numbered_sgpr, 36
	.set _ZL39rocblas_trsm_block_forward_substitutionIffPKfPfLb1ELb1ELb1EEv18rocblas_operation_llT0_T1_lllT2_lllib.num_named_barrier, 0
	.set _ZL39rocblas_trsm_block_forward_substitutionIffPKfPfLb1ELb1ELb1EEv18rocblas_operation_llT0_T1_lllT2_lllib.private_seg_size, 0
	.set _ZL39rocblas_trsm_block_forward_substitutionIffPKfPfLb1ELb1ELb1EEv18rocblas_operation_llT0_T1_lllT2_lllib.uses_vcc, 1
	.set _ZL39rocblas_trsm_block_forward_substitutionIffPKfPfLb1ELb1ELb1EEv18rocblas_operation_llT0_T1_lllT2_lllib.uses_flat_scratch, 0
	.set _ZL39rocblas_trsm_block_forward_substitutionIffPKfPfLb1ELb1ELb1EEv18rocblas_operation_llT0_T1_lllT2_lllib.has_dyn_sized_stack, 0
	.set _ZL39rocblas_trsm_block_forward_substitutionIffPKfPfLb1ELb1ELb1EEv18rocblas_operation_llT0_T1_lllT2_lllib.has_recursion, 0
	.set _ZL39rocblas_trsm_block_forward_substitutionIffPKfPfLb1ELb1ELb1EEv18rocblas_operation_llT0_T1_lllT2_lllib.has_indirect_call, 0
	.section	.AMDGPU.csdata,"",@progbits
; Kernel info:
; codeLenInByte = 824
; TotalNumSgprs: 38
; NumVgprs: 14
; ScratchSize: 0
; MemoryBound: 0
; FloatMode: 240
; IeeeMode: 1
; LDSByteSize: 0 bytes/workgroup (compile time only)
; SGPRBlocks: 0
; VGPRBlocks: 0
; NumSGPRsForWavesPerEU: 38
; NumVGPRsForWavesPerEU: 14
; NamedBarCnt: 0
; Occupancy: 16
; WaveLimiterHint : 0
; COMPUTE_PGM_RSRC2:SCRATCH_EN: 0
; COMPUTE_PGM_RSRC2:USER_SGPR: 2
; COMPUTE_PGM_RSRC2:TRAP_HANDLER: 0
; COMPUTE_PGM_RSRC2:TGID_X_EN: 1
; COMPUTE_PGM_RSRC2:TGID_Y_EN: 1
; COMPUTE_PGM_RSRC2:TGID_Z_EN: 1
; COMPUTE_PGM_RSRC2:TIDIG_COMP_CNT: 1
	.section	.text._ZL40rocblas_trsm_block_backward_substitutionIffPKfPfLb1ELb1ELb1EEv18rocblas_operation_llT0_T1_lllT2_lllib,"axG",@progbits,_ZL40rocblas_trsm_block_backward_substitutionIffPKfPfLb1ELb1ELb1EEv18rocblas_operation_llT0_T1_lllT2_lllib,comdat
	.globl	_ZL40rocblas_trsm_block_backward_substitutionIffPKfPfLb1ELb1ELb1EEv18rocblas_operation_llT0_T1_lllT2_lllib ; -- Begin function _ZL40rocblas_trsm_block_backward_substitutionIffPKfPfLb1ELb1ELb1EEv18rocblas_operation_llT0_T1_lllT2_lllib
	.p2align	8
	.type	_ZL40rocblas_trsm_block_backward_substitutionIffPKfPfLb1ELb1ELb1EEv18rocblas_operation_llT0_T1_lllT2_lllib,@function
_ZL40rocblas_trsm_block_backward_substitutionIffPKfPfLb1ELb1ELb1EEv18rocblas_operation_llT0_T1_lllT2_lllib: ; @_ZL40rocblas_trsm_block_backward_substitutionIffPKfPfLb1ELb1ELb1EEv18rocblas_operation_llT0_T1_lllT2_lllib
; %bb.0:
	s_load_b64 s[2:3], s[0:1], 0x60
	s_bfe_u32 s4, ttmp6, 0x40014
	s_lshr_b32 s5, ttmp7, 16
	s_add_co_i32 s4, s4, 1
	s_bfe_u32 s6, ttmp6, 0x40008
	s_mul_i32 s4, s5, s4
	s_getreg_b32 s20, hwreg(HW_REG_IB_STS2, 6, 4)
	s_add_co_i32 s6, s6, s4
	s_cmp_eq_u32 s20, 0
	s_mov_b32 s25, 0
	s_cselect_b32 s24, s5, s6
	s_wait_kmcnt 0x0
	s_cmp_ge_u32 s24, s2
	s_cbranch_scc1 .LBB57_19
; %bb.1:
	s_clause 0x1
	s_load_b512 s[4:19], s[0:1], 0x20
	s_load_u16 s28, s[0:1], 0x76
	s_bitcmp1_b32 s3, 0
	v_bfe_u32 v12, v0, 10, 10
	s_cselect_b32 s3, -1, 0
	s_bfe_u32 s21, ttmp6, 0x40010
	s_and_b32 s22, ttmp7, 0xffff
	s_add_co_i32 s21, s21, 1
	s_bfe_u32 s23, ttmp6, 0x40004
	s_mul_i32 s21, s22, s21
	v_and_b32_e32 v0, 0x3ff, v0
	s_add_co_i32 s23, s23, s21
	v_mov_b32_e32 v3, 0
	v_lshl_add_u32 v13, v12, 2, 0
	s_mov_b64 s[26:27], src_shared_base
	s_wait_kmcnt 0x0
	s_lshl_b64 s[34:35], s[6:7], 2
	s_lshl_b64 s[36:37], s[14:15], 2
	s_cmp_eq_u32 s20, 0
	s_add_nc_u64 s[12:13], s[12:13], s[36:37]
	s_cselect_b32 s6, s22, s23
	s_clause 0x1
	s_load_b128 s[20:23], s[0:1], 0x8
	s_load_b32 s29, s[0:1], 0x18
	v_mad_u32 v2, s6, s28, v12
	s_add_nc_u64 s[6:7], s[0:1], 0x68
	s_wait_xcnt 0x0
	s_lshl_b32 s1, s28, 2
	s_mov_b32 s15, s27
	s_add_co_i32 s14, s1, 0
	s_add_nc_u64 s[4:5], s[4:5], s[34:35]
	v_lshl_add_u32 v14, v0, 2, s14
	s_delay_alu instid0(VALU_DEP_2)
	v_mul_u64_e32 v[6:7], s[16:17], v[2:3]
	s_wait_kmcnt 0x0
	v_cmp_gt_i64_e32 vcc_lo, s[22:23], v[2:3]
	v_dual_mov_b32 v1, v3 :: v_dual_lshlrev_b32 v2, 2, v0
	v_cmp_gt_i64_e64 s30, s[20:21], 0
	v_cmp_gt_i64_e64 s31, s[20:21], 1
	s_delay_alu instid0(VALU_DEP_3) | instskip(SKIP_4) | instid1(SALU_CYCLE_1)
	v_lshlrev_b64_e32 v[4:5], 2, v[0:1]
	v_cmp_gt_i64_e64 s0, s[20:21], v[0:1]
	s_and_b32 s33, vcc_lo, s0
	v_lshl_add_u64 v[6:7], v[6:7], 2, s[12:13]
	s_add_nc_u64 s[12:13], s[20:21], -1
	s_lshl_b64 s[16:17], s[12:13], 2
	s_delay_alu instid0(VALU_DEP_1)
	v_add_nc_u64_e32 v[6:7], v[6:7], v[4:5]
	s_branch .LBB57_4
.LBB57_2:                               ;   in Loop: Header=BB57_4 Depth=1
	global_store_b32 v[8:9], v15, off
.LBB57_3:                               ;   in Loop: Header=BB57_4 Depth=1
	s_wait_xcnt 0x0
	s_or_b32 exec_lo, exec_lo, s1
	s_add_co_i32 s24, s24, 0x10000
	s_delay_alu instid0(SALU_CYCLE_1)
	s_cmp_lt_u32 s24, s2
	s_cbranch_scc0 .LBB57_19
.LBB57_4:                               ; =>This Loop Header: Depth=1
                                        ;     Child Loop BB57_8 Depth 2
                                        ;     Child Loop BB57_15 Depth 2
	s_mul_u64 s[22:23], s[10:11], s[24:25]
	s_and_not1_b32 vcc_lo, exec_lo, s3
	s_lshl_b64 s[22:23], s[22:23], 2
	s_delay_alu instid0(SALU_CYCLE_1)
	s_add_nc_u64 s[26:27], s[4:5], s[22:23]
	s_cbranch_vccnz .LBB57_10
; %bb.5:                                ;   in Loop: Header=BB57_4 Depth=1
	s_and_not1_b32 vcc_lo, exec_lo, s30
	s_cbranch_vccnz .LBB57_11
; %bb.6:                                ;   in Loop: Header=BB57_4 Depth=1
	v_add_nc_u64_e32 v[8:9], s[26:27], v[2:3]
	s_mov_b32 s22, 0
	s_branch .LBB57_8
.LBB57_7:                               ;   in Loop: Header=BB57_8 Depth=2
	s_wait_xcnt 0x0
	s_or_b32 exec_lo, exec_lo, s1
	s_add_co_i32 s22, s22, s28
	s_delay_alu instid0(SALU_CYCLE_1) | instskip(NEXT) | instid1(SALU_CYCLE_1)
	s_ashr_i32 s23, s22, 31
	v_cmp_le_i64_e64 s1, s[20:21], s[22:23]
	s_and_b32 vcc_lo, exec_lo, s1
	s_cbranch_vccnz .LBB57_11
.LBB57_8:                               ;   Parent Loop BB57_4 Depth=1
                                        ; =>  This Inner Loop Header: Depth=2
	v_add_nc_u32_e32 v10, s22, v12
	s_delay_alu instid0(VALU_DEP_1) | instskip(SKIP_1) | instid1(VALU_DEP_2)
	v_ashrrev_i32_e32 v11, 31, v10
	v_cmp_lt_i32_e64 s1, v0, v10
	v_cmp_gt_i64_e32 vcc_lo, s[20:21], v[10:11]
	s_and_b32 s1, s1, vcc_lo
	s_delay_alu instid0(SALU_CYCLE_1) | instskip(NEXT) | instid1(SALU_CYCLE_1)
	s_and_b32 s23, s0, s1
	s_and_saveexec_b32 s1, s23
	s_cbranch_execz .LBB57_7
; %bb.9:                                ;   in Loop: Header=BB57_8 Depth=2
	v_mul_u64_e32 v[16:17], s[8:9], v[10:11]
	s_load_b32 s23, s[6:7], 0xc
	s_wait_kmcnt 0x0
	s_and_b32 s23, s23, 0xffff
	s_delay_alu instid0(SALU_CYCLE_1) | instskip(NEXT) | instid1(VALU_DEP_2)
	v_mul_lo_u32 v10, v10, s23
	v_lshl_add_u64 v[16:17], v[16:17], 2, v[8:9]
	s_delay_alu instid0(VALU_DEP_2)
	v_lshl_add_u32 v10, v10, 2, v14
	global_load_b32 v11, v[16:17], off
	s_wait_loadcnt 0x0
	ds_store_b32 v10, v11
	s_branch .LBB57_7
.LBB57_10:                              ;   in Loop: Header=BB57_4 Depth=1
	s_mov_b64 s[22:23], s[8:9]
	s_and_saveexec_b32 s1, s33
	s_cbranch_execz .LBB57_3
	s_branch .LBB57_12
.LBB57_11:                              ;   in Loop: Header=BB57_4 Depth=1
	s_load_b32 s1, s[6:7], 0xc
	s_mov_b32 s23, s25
	s_mov_b64 s[26:27], s[14:15]
	s_wait_kmcnt 0x0
	s_and_b32 s22, s1, 0xffff
	s_and_saveexec_b32 s1, s33
	s_cbranch_execz .LBB57_3
.LBB57_12:                              ;   in Loop: Header=BB57_4 Depth=1
	s_mul_u64 s[34:35], s[18:19], s[24:25]
	s_and_not1_b32 vcc_lo, exec_lo, s31
	v_lshl_add_u64 v[8:9], s[34:35], 2, v[6:7]
	global_load_b32 v10, v[8:9], off
	s_wait_loadcnt 0x0
	v_mul_f32_e32 v15, s29, v10
	s_cbranch_vccnz .LBB57_2
; %bb.13:                               ;   in Loop: Header=BB57_4 Depth=1
	v_add_nc_u64_e32 v[10:11], s[26:27], v[4:5]
	s_mul_i32 s26, s17, s22
	s_mul_i32 s27, s16, s23
	s_delay_alu instid0(VALU_DEP_1) | instskip(SKIP_1) | instid1(SALU_CYCLE_1)
	v_mad_nc_u64_u32 v[10:11], s16, s22, v[10:11]
	s_lshl_b64 s[22:23], s[22:23], 2
	s_sub_nc_u64 s[22:23], 0, s[22:23]
	s_delay_alu instid0(VALU_DEP_1)
	v_add3_u32 v11, s27, s26, v11
	s_mov_b64 s[26:27], s[12:13]
	s_branch .LBB57_15
.LBB57_14:                              ;   in Loop: Header=BB57_15 Depth=2
	s_wait_xcnt 0x0
	s_or_b32 exec_lo, exec_lo, s34
	s_add_nc_u64 s[34:35], s[26:27], 1
	v_add_nc_u64_e32 v[10:11], s[22:23], v[10:11]
	v_cmp_lt_u64_e64 s34, s[34:35], 3
	s_add_nc_u64 s[26:27], s[26:27], -1
	s_and_b32 vcc_lo, exec_lo, s34
	s_cbranch_vccnz .LBB57_2
.LBB57_15:                              ;   Parent Loop BB57_4 Depth=1
                                        ; =>  This Inner Loop Header: Depth=2
	s_mov_b32 s34, exec_lo
	s_wait_dscnt 0x0
	s_barrier_signal -1
	s_barrier_wait -1
	s_wait_xcnt 0x0
	v_cmpx_eq_u64_e64 s[26:27], v[0:1]
; %bb.16:                               ;   in Loop: Header=BB57_15 Depth=2
	ds_store_b32 v13, v15
; %bb.17:                               ;   in Loop: Header=BB57_15 Depth=2
	s_or_b32 exec_lo, exec_lo, s34
	s_delay_alu instid0(SALU_CYCLE_1)
	s_mov_b32 s34, exec_lo
	s_wait_dscnt 0x0
	s_barrier_signal -1
	s_barrier_wait -1
	v_cmpx_gt_i64_e64 s[26:27], v[0:1]
	s_cbranch_execz .LBB57_14
; %bb.18:                               ;   in Loop: Header=BB57_15 Depth=2
	flat_load_b32 v16, v[10:11]
	ds_load_b32 v17, v13
	s_wait_loadcnt_dscnt 0x0
	v_fma_f32 v15, -v16, v17, v15
	s_branch .LBB57_14
.LBB57_19:
	s_endpgm
	.section	.rodata,"a",@progbits
	.p2align	6, 0x0
	.amdhsa_kernel _ZL40rocblas_trsm_block_backward_substitutionIffPKfPfLb1ELb1ELb1EEv18rocblas_operation_llT0_T1_lllT2_lllib
		.amdhsa_group_segment_fixed_size 0
		.amdhsa_private_segment_fixed_size 0
		.amdhsa_kernarg_size 360
		.amdhsa_user_sgpr_count 2
		.amdhsa_user_sgpr_dispatch_ptr 0
		.amdhsa_user_sgpr_queue_ptr 0
		.amdhsa_user_sgpr_kernarg_segment_ptr 1
		.amdhsa_user_sgpr_dispatch_id 0
		.amdhsa_user_sgpr_kernarg_preload_length 0
		.amdhsa_user_sgpr_kernarg_preload_offset 0
		.amdhsa_user_sgpr_private_segment_size 0
		.amdhsa_wavefront_size32 1
		.amdhsa_uses_dynamic_stack 0
		.amdhsa_enable_private_segment 0
		.amdhsa_system_sgpr_workgroup_id_x 1
		.amdhsa_system_sgpr_workgroup_id_y 1
		.amdhsa_system_sgpr_workgroup_id_z 1
		.amdhsa_system_sgpr_workgroup_info 0
		.amdhsa_system_vgpr_workitem_id 1
		.amdhsa_next_free_vgpr 18
		.amdhsa_next_free_sgpr 38
		.amdhsa_named_barrier_count 0
		.amdhsa_reserve_vcc 1
		.amdhsa_float_round_mode_32 0
		.amdhsa_float_round_mode_16_64 0
		.amdhsa_float_denorm_mode_32 3
		.amdhsa_float_denorm_mode_16_64 3
		.amdhsa_fp16_overflow 0
		.amdhsa_memory_ordered 1
		.amdhsa_forward_progress 1
		.amdhsa_inst_pref_size 7
		.amdhsa_round_robin_scheduling 0
		.amdhsa_exception_fp_ieee_invalid_op 0
		.amdhsa_exception_fp_denorm_src 0
		.amdhsa_exception_fp_ieee_div_zero 0
		.amdhsa_exception_fp_ieee_overflow 0
		.amdhsa_exception_fp_ieee_underflow 0
		.amdhsa_exception_fp_ieee_inexact 0
		.amdhsa_exception_int_div_zero 0
	.end_amdhsa_kernel
	.section	.text._ZL40rocblas_trsm_block_backward_substitutionIffPKfPfLb1ELb1ELb1EEv18rocblas_operation_llT0_T1_lllT2_lllib,"axG",@progbits,_ZL40rocblas_trsm_block_backward_substitutionIffPKfPfLb1ELb1ELb1EEv18rocblas_operation_llT0_T1_lllT2_lllib,comdat
.Lfunc_end57:
	.size	_ZL40rocblas_trsm_block_backward_substitutionIffPKfPfLb1ELb1ELb1EEv18rocblas_operation_llT0_T1_lllT2_lllib, .Lfunc_end57-_ZL40rocblas_trsm_block_backward_substitutionIffPKfPfLb1ELb1ELb1EEv18rocblas_operation_llT0_T1_lllT2_lllib
                                        ; -- End function
	.set _ZL40rocblas_trsm_block_backward_substitutionIffPKfPfLb1ELb1ELb1EEv18rocblas_operation_llT0_T1_lllT2_lllib.num_vgpr, 18
	.set _ZL40rocblas_trsm_block_backward_substitutionIffPKfPfLb1ELb1ELb1EEv18rocblas_operation_llT0_T1_lllT2_lllib.num_agpr, 0
	.set _ZL40rocblas_trsm_block_backward_substitutionIffPKfPfLb1ELb1ELb1EEv18rocblas_operation_llT0_T1_lllT2_lllib.numbered_sgpr, 38
	.set _ZL40rocblas_trsm_block_backward_substitutionIffPKfPfLb1ELb1ELb1EEv18rocblas_operation_llT0_T1_lllT2_lllib.num_named_barrier, 0
	.set _ZL40rocblas_trsm_block_backward_substitutionIffPKfPfLb1ELb1ELb1EEv18rocblas_operation_llT0_T1_lllT2_lllib.private_seg_size, 0
	.set _ZL40rocblas_trsm_block_backward_substitutionIffPKfPfLb1ELb1ELb1EEv18rocblas_operation_llT0_T1_lllT2_lllib.uses_vcc, 1
	.set _ZL40rocblas_trsm_block_backward_substitutionIffPKfPfLb1ELb1ELb1EEv18rocblas_operation_llT0_T1_lllT2_lllib.uses_flat_scratch, 0
	.set _ZL40rocblas_trsm_block_backward_substitutionIffPKfPfLb1ELb1ELb1EEv18rocblas_operation_llT0_T1_lllT2_lllib.has_dyn_sized_stack, 0
	.set _ZL40rocblas_trsm_block_backward_substitutionIffPKfPfLb1ELb1ELb1EEv18rocblas_operation_llT0_T1_lllT2_lllib.has_recursion, 0
	.set _ZL40rocblas_trsm_block_backward_substitutionIffPKfPfLb1ELb1ELb1EEv18rocblas_operation_llT0_T1_lllT2_lllib.has_indirect_call, 0
	.section	.AMDGPU.csdata,"",@progbits
; Kernel info:
; codeLenInByte = 880
; TotalNumSgprs: 40
; NumVgprs: 18
; ScratchSize: 0
; MemoryBound: 0
; FloatMode: 240
; IeeeMode: 1
; LDSByteSize: 0 bytes/workgroup (compile time only)
; SGPRBlocks: 0
; VGPRBlocks: 1
; NumSGPRsForWavesPerEU: 40
; NumVGPRsForWavesPerEU: 18
; NamedBarCnt: 0
; Occupancy: 16
; WaveLimiterHint : 0
; COMPUTE_PGM_RSRC2:SCRATCH_EN: 0
; COMPUTE_PGM_RSRC2:USER_SGPR: 2
; COMPUTE_PGM_RSRC2:TRAP_HANDLER: 0
; COMPUTE_PGM_RSRC2:TGID_X_EN: 1
; COMPUTE_PGM_RSRC2:TGID_Y_EN: 1
; COMPUTE_PGM_RSRC2:TGID_Z_EN: 1
; COMPUTE_PGM_RSRC2:TIDIG_COMP_CNT: 1
	.section	.text._ZL39rocblas_trsm_block_forward_substitutionIffPKfPfLb1ELb0ELb0EEv18rocblas_operation_llT0_T1_lllT2_lllib,"axG",@progbits,_ZL39rocblas_trsm_block_forward_substitutionIffPKfPfLb1ELb0ELb0EEv18rocblas_operation_llT0_T1_lllT2_lllib,comdat
	.globl	_ZL39rocblas_trsm_block_forward_substitutionIffPKfPfLb1ELb0ELb0EEv18rocblas_operation_llT0_T1_lllT2_lllib ; -- Begin function _ZL39rocblas_trsm_block_forward_substitutionIffPKfPfLb1ELb0ELb0EEv18rocblas_operation_llT0_T1_lllT2_lllib
	.p2align	8
	.type	_ZL39rocblas_trsm_block_forward_substitutionIffPKfPfLb1ELb0ELb0EEv18rocblas_operation_llT0_T1_lllT2_lllib,@function
_ZL39rocblas_trsm_block_forward_substitutionIffPKfPfLb1ELb0ELb0EEv18rocblas_operation_llT0_T1_lllT2_lllib: ; @_ZL39rocblas_trsm_block_forward_substitutionIffPKfPfLb1ELb0ELb0EEv18rocblas_operation_llT0_T1_lllT2_lllib
; %bb.0:
	s_load_b64 s[24:25], s[0:1], 0x60
	s_bfe_u32 s2, ttmp6, 0x40014
	s_lshr_b32 s4, ttmp7, 16
	s_add_co_i32 s2, s2, 1
	s_bfe_u32 s5, ttmp6, 0x40008
	s_mul_i32 s2, s4, s2
	s_getreg_b32 s3, hwreg(HW_REG_IB_STS2, 6, 4)
	s_add_co_i32 s5, s5, s2
	s_cmp_eq_u32 s3, 0
	s_mov_b32 s27, 0
	s_cselect_b32 s26, s4, s5
	s_wait_kmcnt 0x0
	s_cmp_ge_u32 s26, s24
	s_cbranch_scc1 .LBB58_27
; %bb.1:
	s_clause 0x1
	s_load_b512 s[4:19], s[0:1], 0x20
	s_load_u16 s33, s[0:1], 0x76
	s_bitcmp1_b32 s25, 0
	v_bfe_u32 v10, v0, 10, 10
	s_cselect_b32 s2, -1, 0
	s_bfe_u32 s20, ttmp6, 0x40010
	s_and_b32 s21, ttmp7, 0xffff
	s_add_co_i32 s20, s20, 1
	s_bfe_u32 s22, ttmp6, 0x40004
	s_mul_i32 s20, s21, s20
	v_mov_b32_e32 v3, 0
	s_add_co_i32 s22, s22, s20
	v_and_b32_e32 v0, 0x3ff, v0
	v_lshl_add_u32 v11, v10, 2, 0
	s_mov_b64 s[28:29], src_shared_base
	v_mov_b32_e32 v1, v3
	s_wait_kmcnt 0x0
	s_lshl_b64 s[30:31], s[6:7], 2
	s_lshl_b64 s[36:37], s[14:15], 2
	s_cmp_eq_u32 s3, 0
	s_add_nc_u64 s[12:13], s[12:13], s[36:37]
	s_cselect_b32 s3, s21, s22
	s_clause 0x1
	s_load_b128 s[20:23], s[0:1], 0x8
	s_load_b32 s25, s[0:1], 0x18
	v_mad_u32 v2, s3, s33, v10
	s_add_nc_u64 s[6:7], s[0:1], 0x68
	s_wait_xcnt 0x0
	s_lshl_b32 s0, s33, 2
	s_mov_b32 s15, s29
	s_add_co_i32 s14, s0, 0
	s_add_nc_u64 s[4:5], s[4:5], s[30:31]
	v_lshl_add_u32 v12, v0, 2, s14
	s_delay_alu instid0(VALU_DEP_2)
	v_mul_u64_e32 v[4:5], s[16:17], v[2:3]
	s_wait_kmcnt 0x0
	v_cmp_le_i64_e32 vcc_lo, s[20:21], v[0:1]
	v_cmp_gt_i64_e64 s1, s[20:21], v[0:1]
	s_add_nc_u64 s[16:17], s[20:21], -1
	v_cmp_gt_i64_e64 s3, s[22:23], v[2:3]
	v_cmp_gt_i64_e64 s34, s[20:21], 0
	v_cmp_eq_u64_e64 s0, s[16:17], v[0:1]
	v_cmp_gt_i64_e64 s35, s[20:21], 1
	s_and_b32 s1, s3, s1
	s_xor_b32 s3, vcc_lo, -1
	v_lshl_add_u64 v[4:5], v[4:5], 2, s[12:13]
	s_mov_b64 s[12:13], 1
	s_delay_alu instid0(VALU_DEP_1)
	v_lshl_add_u64 v[2:3], v[0:1], 2, v[4:5]
	s_branch .LBB58_4
.LBB58_2:                               ;   in Loop: Header=BB58_4 Depth=1
	s_or_b32 exec_lo, exec_lo, s28
	global_store_b32 v[4:5], v13, off
.LBB58_3:                               ;   in Loop: Header=BB58_4 Depth=1
	s_wait_xcnt 0x0
	s_or_b32 exec_lo, exec_lo, s36
	s_add_co_i32 s26, s26, 0x10000
	s_delay_alu instid0(SALU_CYCLE_1)
	s_cmp_lt_u32 s26, s24
	s_cbranch_scc0 .LBB58_27
.LBB58_4:                               ; =>This Loop Header: Depth=1
                                        ;     Child Loop BB58_9 Depth 2
                                        ;     Child Loop BB58_21 Depth 2
	s_mul_u64 s[22:23], s[10:11], s[26:27]
	s_and_not1_b32 vcc_lo, exec_lo, s2
	s_lshl_b64 s[22:23], s[22:23], 2
	s_delay_alu instid0(SALU_CYCLE_1)
	s_add_nc_u64 s[22:23], s[4:5], s[22:23]
	s_cbranch_vccz .LBB58_6
; %bb.5:                                ;   in Loop: Header=BB58_4 Depth=1
	s_and_saveexec_b32 s36, s1
	s_cbranch_execz .LBB58_3
	s_branch .LBB58_18
.LBB58_6:                               ;   in Loop: Header=BB58_4 Depth=1
	s_and_not1_b32 vcc_lo, exec_lo, s34
	s_cbranch_vccnz .LBB58_17
; %bb.7:                                ;   in Loop: Header=BB58_4 Depth=1
	v_mul_u64_e32 v[4:5], s[8:9], v[0:1]
	v_mul_hi_u32_u24_e32 v7, s12, v0
	v_mul_u32_u24_e32 v6, s12, v0
	v_mov_b32_e32 v8, v10
	s_mov_b32 s8, s33
	s_delay_alu instid0(VALU_DEP_4) | instskip(NEXT) | instid1(VALU_DEP_1)
	v_lshl_add_u64 v[4:5], v[4:5], 2, s[22:23]
	v_lshl_add_u64 v[6:7], v[6:7], 2, v[4:5]
	s_branch .LBB58_9
.LBB58_8:                               ;   in Loop: Header=BB58_9 Depth=2
	s_or_b32 exec_lo, exec_lo, s22
	s_ashr_i32 s9, s8, 31
	v_add_nc_u32_e32 v8, s33, v8
	v_cmp_le_i64_e64 s9, s[20:21], s[8:9]
	s_add_co_i32 s8, s8, s33
	s_and_b32 vcc_lo, exec_lo, s9
	s_cbranch_vccnz .LBB58_17
.LBB58_9:                               ;   Parent Loop BB58_4 Depth=1
                                        ; =>  This Inner Loop Header: Depth=2
	v_cmp_gt_i32_e32 vcc_lo, v0, v8
	s_mov_b32 s9, 0
                                        ; implicit-def: $vgpr9
	s_and_b32 s22, s3, vcc_lo
	s_delay_alu instid0(SALU_CYCLE_1) | instskip(NEXT) | instid1(SALU_CYCLE_1)
	s_and_saveexec_b32 s23, s22
	s_xor_b32 s22, exec_lo, s23
	s_cbranch_execnz .LBB58_12
; %bb.10:                               ;   in Loop: Header=BB58_9 Depth=2
	s_or_saveexec_b32 s22, s22
	v_mov_b32_e32 v13, v8
	s_xor_b32 exec_lo, exec_lo, s22
	s_cbranch_execnz .LBB58_13
.LBB58_11:                              ;   in Loop: Header=BB58_9 Depth=2
	s_or_b32 exec_lo, exec_lo, s22
	s_and_saveexec_b32 s22, s9
	s_cbranch_execz .LBB58_8
	s_branch .LBB58_16
.LBB58_12:                              ;   in Loop: Header=BB58_9 Depth=2
	s_wait_loadcnt 0x0
	v_ashrrev_i32_e32 v9, 31, v8
	s_mov_b32 s9, exec_lo
	s_delay_alu instid0(VALU_DEP_1) | instskip(NEXT) | instid1(VALU_DEP_1)
	v_mul_u64_e32 v[14:15], s[12:13], v[8:9]
	v_lshl_add_u64 v[14:15], v[14:15], 2, v[4:5]
	global_load_b32 v9, v[14:15], off
	s_wait_xcnt 0x0
	s_or_saveexec_b32 s22, s22
	v_mov_b32_e32 v13, v8
	s_xor_b32 exec_lo, exec_lo, s22
	s_cbranch_execz .LBB58_11
.LBB58_13:                              ;   in Loop: Header=BB58_9 Depth=2
	v_cmp_eq_u32_e32 vcc_lo, v0, v8
	s_mov_b32 s28, s9
                                        ; implicit-def: $vgpr9
	s_and_b32 s29, s3, vcc_lo
	s_delay_alu instid0(SALU_CYCLE_1)
	s_and_saveexec_b32 s23, s29
	s_cbranch_execz .LBB58_15
; %bb.14:                               ;   in Loop: Header=BB58_9 Depth=2
	s_wait_loadcnt 0x0
	global_load_b32 v9, v[6:7], off
	s_or_b32 s28, s9, exec_lo
	s_wait_loadcnt 0x0
	v_div_scale_f32 v13, null, v9, v9, 1.0
	s_delay_alu instid0(VALU_DEP_1) | instskip(SKIP_1) | instid1(TRANS32_DEP_1)
	v_rcp_f32_e32 v14, v13
	v_nop
	v_fma_f32 v15, -v13, v14, 1.0
	s_delay_alu instid0(VALU_DEP_1) | instskip(SKIP_1) | instid1(VALU_DEP_1)
	v_fmac_f32_e32 v14, v15, v14
	v_div_scale_f32 v15, vcc_lo, 1.0, v9, 1.0
	v_mul_f32_e32 v16, v15, v14
	s_delay_alu instid0(VALU_DEP_1) | instskip(NEXT) | instid1(VALU_DEP_1)
	v_fma_f32 v17, -v13, v16, v15
	v_fmac_f32_e32 v16, v17, v14
	s_delay_alu instid0(VALU_DEP_1) | instskip(NEXT) | instid1(VALU_DEP_1)
	v_fma_f32 v13, -v13, v16, v15
	v_div_fmas_f32 v13, v13, v14, v16
	s_delay_alu instid0(VALU_DEP_1)
	v_div_fixup_f32 v9, v13, v9, 1.0
.LBB58_15:                              ;   in Loop: Header=BB58_9 Depth=2
	s_wait_xcnt 0x0
	s_or_b32 exec_lo, exec_lo, s23
	v_mov_b32_e32 v13, v0
	s_and_not1_b32 s9, s9, exec_lo
	s_and_b32 s23, s28, exec_lo
	s_delay_alu instid0(SALU_CYCLE_1)
	s_or_b32 s9, s9, s23
	s_or_b32 exec_lo, exec_lo, s22
	s_and_saveexec_b32 s22, s9
	s_cbranch_execz .LBB58_8
.LBB58_16:                              ;   in Loop: Header=BB58_9 Depth=2
	s_load_b32 s9, s[6:7], 0xc
	s_wait_kmcnt 0x0
	s_and_b32 s9, s9, 0xffff
	s_delay_alu instid0(SALU_CYCLE_1) | instskip(NEXT) | instid1(VALU_DEP_1)
	v_mul_lo_u32 v13, v13, s9
	v_lshl_add_u32 v13, v13, 2, v12
	s_wait_loadcnt 0x0
	ds_store_b32 v13, v9
	s_branch .LBB58_8
.LBB58_17:                              ;   in Loop: Header=BB58_4 Depth=1
	s_load_b32 s12, s[6:7], 0xc
	s_mov_b32 s13, s27
	s_mov_b64 s[8:9], 1
	s_mov_b64 s[22:23], s[14:15]
	s_wait_kmcnt 0x0
	s_and_b32 s12, s12, 0xffff
	s_and_saveexec_b32 s36, s1
	s_cbranch_execz .LBB58_3
.LBB58_18:                              ;   in Loop: Header=BB58_4 Depth=1
	s_mul_u64 s[28:29], s[18:19], s[26:27]
	s_and_not1_b32 vcc_lo, exec_lo, s35
	v_lshl_add_u64 v[4:5], s[28:29], 2, v[2:3]
	global_load_b32 v6, v[4:5], off
	s_wait_loadcnt 0x0
	v_mul_f32_e32 v13, s25, v6
	s_cbranch_vccnz .LBB58_25
; %bb.19:                               ;   in Loop: Header=BB58_4 Depth=1
	s_add_nc_u64 s[28:29], s[12:13], s[8:9]
	v_mul_u64_e32 v[8:9], s[8:9], v[0:1]
	v_mul_u64_e32 v[6:7], s[28:29], v[0:1]
	s_lshl_b64 s[28:29], s[12:13], 2
	s_mov_b64 s[30:31], 0
	s_delay_alu instid0(VALU_DEP_2) | instskip(NEXT) | instid1(VALU_DEP_2)
	v_lshl_add_u64 v[8:9], v[8:9], 2, s[22:23]
	v_lshl_add_u64 v[6:7], v[6:7], 2, s[22:23]
	s_branch .LBB58_21
.LBB58_20:                              ;   in Loop: Header=BB58_21 Depth=2
	s_wait_xcnt 0x0
	s_or_b32 exec_lo, exec_lo, s37
	v_add_nc_u64_e32 v[8:9], s[28:29], v[8:9]
	s_add_nc_u64 s[30:31], s[30:31], 1
	s_delay_alu instid0(SALU_CYCLE_1)
	s_cmp_eq_u64 s[16:17], s[30:31]
	s_cbranch_scc1 .LBB58_25
.LBB58_21:                              ;   Parent Loop BB58_4 Depth=1
                                        ; =>  This Inner Loop Header: Depth=2
	s_mov_b32 s37, exec_lo
	s_wait_dscnt 0x0
	s_barrier_signal -1
	s_barrier_wait -1
	s_wait_xcnt 0x0
	v_cmpx_eq_u64_e64 s[30:31], v[0:1]
	s_cbranch_execz .LBB58_23
; %bb.22:                               ;   in Loop: Header=BB58_21 Depth=2
	flat_load_b32 v14, v[6:7]
	s_wait_loadcnt_dscnt 0x0
	v_div_scale_f32 v15, null, v14, v14, 1.0
	s_delay_alu instid0(VALU_DEP_1) | instskip(SKIP_1) | instid1(TRANS32_DEP_1)
	v_rcp_f32_e32 v16, v15
	v_nop
	v_fma_f32 v17, -v15, v16, 1.0
	s_delay_alu instid0(VALU_DEP_1) | instskip(SKIP_1) | instid1(VALU_DEP_1)
	v_fmac_f32_e32 v16, v17, v16
	v_div_scale_f32 v17, vcc_lo, 1.0, v14, 1.0
	v_mul_f32_e32 v18, v17, v16
	s_delay_alu instid0(VALU_DEP_1) | instskip(NEXT) | instid1(VALU_DEP_1)
	v_fma_f32 v19, -v15, v18, v17
	v_fmac_f32_e32 v18, v19, v16
	s_delay_alu instid0(VALU_DEP_1) | instskip(NEXT) | instid1(VALU_DEP_1)
	v_fma_f32 v15, -v15, v18, v17
	v_div_fmas_f32 v15, v15, v16, v18
	s_delay_alu instid0(VALU_DEP_1) | instskip(NEXT) | instid1(VALU_DEP_1)
	v_div_fixup_f32 v15, v15, v14, 1.0
	v_cndmask_b32_e64 v14, v15, v14, s2
	s_delay_alu instid0(VALU_DEP_1)
	v_mul_f32_e32 v13, v13, v14
	ds_store_b32 v11, v13
.LBB58_23:                              ;   in Loop: Header=BB58_21 Depth=2
	s_wait_xcnt 0x0
	s_or_b32 exec_lo, exec_lo, s37
	s_delay_alu instid0(SALU_CYCLE_1)
	s_mov_b32 s37, exec_lo
	s_wait_dscnt 0x0
	s_barrier_signal -1
	s_barrier_wait -1
	v_cmpx_lt_u64_e64 s[30:31], v[0:1]
	s_cbranch_execz .LBB58_20
; %bb.24:                               ;   in Loop: Header=BB58_21 Depth=2
	flat_load_b32 v14, v[8:9]
	ds_load_b32 v15, v11
	s_wait_loadcnt_dscnt 0x0
	v_fma_f32 v13, -v14, v15, v13
	s_branch .LBB58_20
.LBB58_25:                              ;   in Loop: Header=BB58_4 Depth=1
	s_wait_xcnt 0x0
	s_and_saveexec_b32 s28, s0
	s_cbranch_execz .LBB58_2
; %bb.26:                               ;   in Loop: Header=BB58_4 Depth=1
	s_add_nc_u64 s[30:31], s[12:13], s[8:9]
	s_delay_alu instid0(SALU_CYCLE_1) | instskip(NEXT) | instid1(VALU_DEP_1)
	v_mul_u64_e32 v[6:7], s[30:31], v[0:1]
	v_lshl_add_u64 v[6:7], v[6:7], 2, s[22:23]
	flat_load_b32 v6, v[6:7]
	s_wait_loadcnt_dscnt 0x0
	s_wait_xcnt 0x0
	v_div_scale_f32 v7, null, v6, v6, 1.0
	s_delay_alu instid0(VALU_DEP_1) | instskip(SKIP_1) | instid1(TRANS32_DEP_1)
	v_rcp_f32_e32 v8, v7
	v_nop
	v_fma_f32 v9, -v7, v8, 1.0
	s_delay_alu instid0(VALU_DEP_1) | instskip(SKIP_1) | instid1(VALU_DEP_1)
	v_fmac_f32_e32 v8, v9, v8
	v_div_scale_f32 v9, vcc_lo, 1.0, v6, 1.0
	v_mul_f32_e32 v14, v9, v8
	s_delay_alu instid0(VALU_DEP_1) | instskip(NEXT) | instid1(VALU_DEP_1)
	v_fma_f32 v15, -v7, v14, v9
	v_fmac_f32_e32 v14, v15, v8
	s_delay_alu instid0(VALU_DEP_1) | instskip(NEXT) | instid1(VALU_DEP_1)
	v_fma_f32 v7, -v7, v14, v9
	v_div_fmas_f32 v7, v7, v8, v14
	s_delay_alu instid0(VALU_DEP_1) | instskip(NEXT) | instid1(VALU_DEP_1)
	v_div_fixup_f32 v7, v7, v6, 1.0
	v_cndmask_b32_e64 v6, v7, v6, s2
	s_delay_alu instid0(VALU_DEP_1)
	v_mul_f32_e32 v13, v13, v6
	s_branch .LBB58_2
.LBB58_27:
	s_endpgm
	.section	.rodata,"a",@progbits
	.p2align	6, 0x0
	.amdhsa_kernel _ZL39rocblas_trsm_block_forward_substitutionIffPKfPfLb1ELb0ELb0EEv18rocblas_operation_llT0_T1_lllT2_lllib
		.amdhsa_group_segment_fixed_size 0
		.amdhsa_private_segment_fixed_size 0
		.amdhsa_kernarg_size 360
		.amdhsa_user_sgpr_count 2
		.amdhsa_user_sgpr_dispatch_ptr 0
		.amdhsa_user_sgpr_queue_ptr 0
		.amdhsa_user_sgpr_kernarg_segment_ptr 1
		.amdhsa_user_sgpr_dispatch_id 0
		.amdhsa_user_sgpr_kernarg_preload_length 0
		.amdhsa_user_sgpr_kernarg_preload_offset 0
		.amdhsa_user_sgpr_private_segment_size 0
		.amdhsa_wavefront_size32 1
		.amdhsa_uses_dynamic_stack 0
		.amdhsa_enable_private_segment 0
		.amdhsa_system_sgpr_workgroup_id_x 1
		.amdhsa_system_sgpr_workgroup_id_y 1
		.amdhsa_system_sgpr_workgroup_id_z 1
		.amdhsa_system_sgpr_workgroup_info 0
		.amdhsa_system_vgpr_workitem_id 1
		.amdhsa_next_free_vgpr 20
		.amdhsa_next_free_sgpr 38
		.amdhsa_named_barrier_count 0
		.amdhsa_reserve_vcc 1
		.amdhsa_float_round_mode_32 0
		.amdhsa_float_round_mode_16_64 0
		.amdhsa_float_denorm_mode_32 3
		.amdhsa_float_denorm_mode_16_64 3
		.amdhsa_fp16_overflow 0
		.amdhsa_memory_ordered 1
		.amdhsa_forward_progress 1
		.amdhsa_inst_pref_size 12
		.amdhsa_round_robin_scheduling 0
		.amdhsa_exception_fp_ieee_invalid_op 0
		.amdhsa_exception_fp_denorm_src 0
		.amdhsa_exception_fp_ieee_div_zero 0
		.amdhsa_exception_fp_ieee_overflow 0
		.amdhsa_exception_fp_ieee_underflow 0
		.amdhsa_exception_fp_ieee_inexact 0
		.amdhsa_exception_int_div_zero 0
	.end_amdhsa_kernel
	.section	.text._ZL39rocblas_trsm_block_forward_substitutionIffPKfPfLb1ELb0ELb0EEv18rocblas_operation_llT0_T1_lllT2_lllib,"axG",@progbits,_ZL39rocblas_trsm_block_forward_substitutionIffPKfPfLb1ELb0ELb0EEv18rocblas_operation_llT0_T1_lllT2_lllib,comdat
.Lfunc_end58:
	.size	_ZL39rocblas_trsm_block_forward_substitutionIffPKfPfLb1ELb0ELb0EEv18rocblas_operation_llT0_T1_lllT2_lllib, .Lfunc_end58-_ZL39rocblas_trsm_block_forward_substitutionIffPKfPfLb1ELb0ELb0EEv18rocblas_operation_llT0_T1_lllT2_lllib
                                        ; -- End function
	.set _ZL39rocblas_trsm_block_forward_substitutionIffPKfPfLb1ELb0ELb0EEv18rocblas_operation_llT0_T1_lllT2_lllib.num_vgpr, 20
	.set _ZL39rocblas_trsm_block_forward_substitutionIffPKfPfLb1ELb0ELb0EEv18rocblas_operation_llT0_T1_lllT2_lllib.num_agpr, 0
	.set _ZL39rocblas_trsm_block_forward_substitutionIffPKfPfLb1ELb0ELb0EEv18rocblas_operation_llT0_T1_lllT2_lllib.numbered_sgpr, 38
	.set _ZL39rocblas_trsm_block_forward_substitutionIffPKfPfLb1ELb0ELb0EEv18rocblas_operation_llT0_T1_lllT2_lllib.num_named_barrier, 0
	.set _ZL39rocblas_trsm_block_forward_substitutionIffPKfPfLb1ELb0ELb0EEv18rocblas_operation_llT0_T1_lllT2_lllib.private_seg_size, 0
	.set _ZL39rocblas_trsm_block_forward_substitutionIffPKfPfLb1ELb0ELb0EEv18rocblas_operation_llT0_T1_lllT2_lllib.uses_vcc, 1
	.set _ZL39rocblas_trsm_block_forward_substitutionIffPKfPfLb1ELb0ELb0EEv18rocblas_operation_llT0_T1_lllT2_lllib.uses_flat_scratch, 0
	.set _ZL39rocblas_trsm_block_forward_substitutionIffPKfPfLb1ELb0ELb0EEv18rocblas_operation_llT0_T1_lllT2_lllib.has_dyn_sized_stack, 0
	.set _ZL39rocblas_trsm_block_forward_substitutionIffPKfPfLb1ELb0ELb0EEv18rocblas_operation_llT0_T1_lllT2_lllib.has_recursion, 0
	.set _ZL39rocblas_trsm_block_forward_substitutionIffPKfPfLb1ELb0ELb0EEv18rocblas_operation_llT0_T1_lllT2_lllib.has_indirect_call, 0
	.section	.AMDGPU.csdata,"",@progbits
; Kernel info:
; codeLenInByte = 1444
; TotalNumSgprs: 40
; NumVgprs: 20
; ScratchSize: 0
; MemoryBound: 0
; FloatMode: 240
; IeeeMode: 1
; LDSByteSize: 0 bytes/workgroup (compile time only)
; SGPRBlocks: 0
; VGPRBlocks: 1
; NumSGPRsForWavesPerEU: 40
; NumVGPRsForWavesPerEU: 20
; NamedBarCnt: 0
; Occupancy: 16
; WaveLimiterHint : 0
; COMPUTE_PGM_RSRC2:SCRATCH_EN: 0
; COMPUTE_PGM_RSRC2:USER_SGPR: 2
; COMPUTE_PGM_RSRC2:TRAP_HANDLER: 0
; COMPUTE_PGM_RSRC2:TGID_X_EN: 1
; COMPUTE_PGM_RSRC2:TGID_Y_EN: 1
; COMPUTE_PGM_RSRC2:TGID_Z_EN: 1
; COMPUTE_PGM_RSRC2:TIDIG_COMP_CNT: 1
	.section	.text._ZL40rocblas_trsm_block_backward_substitutionIffPKfPfLb1ELb0ELb0EEv18rocblas_operation_llT0_T1_lllT2_lllib,"axG",@progbits,_ZL40rocblas_trsm_block_backward_substitutionIffPKfPfLb1ELb0ELb0EEv18rocblas_operation_llT0_T1_lllT2_lllib,comdat
	.globl	_ZL40rocblas_trsm_block_backward_substitutionIffPKfPfLb1ELb0ELb0EEv18rocblas_operation_llT0_T1_lllT2_lllib ; -- Begin function _ZL40rocblas_trsm_block_backward_substitutionIffPKfPfLb1ELb0ELb0EEv18rocblas_operation_llT0_T1_lllT2_lllib
	.p2align	8
	.type	_ZL40rocblas_trsm_block_backward_substitutionIffPKfPfLb1ELb0ELb0EEv18rocblas_operation_llT0_T1_lllT2_lllib,@function
_ZL40rocblas_trsm_block_backward_substitutionIffPKfPfLb1ELb0ELb0EEv18rocblas_operation_llT0_T1_lllT2_lllib: ; @_ZL40rocblas_trsm_block_backward_substitutionIffPKfPfLb1ELb0ELb0EEv18rocblas_operation_llT0_T1_lllT2_lllib
; %bb.0:
	s_load_b64 s[24:25], s[0:1], 0x60
	s_bfe_u32 s2, ttmp6, 0x40014
	s_lshr_b32 s3, ttmp7, 16
	s_add_co_i32 s2, s2, 1
	s_bfe_u32 s5, ttmp6, 0x40008
	s_mul_i32 s4, s3, s2
	s_getreg_b32 s2, hwreg(HW_REG_IB_STS2, 6, 4)
	s_add_co_i32 s5, s5, s4
	s_cmp_eq_u32 s2, 0
	s_mov_b32 s27, 0
	s_cselect_b32 s26, s3, s5
	s_wait_kmcnt 0x0
	s_cmp_ge_u32 s26, s24
	s_cbranch_scc1 .LBB59_29
; %bb.1:
	s_load_b512 s[4:19], s[0:1], 0x20
	v_and_b32_e32 v2, 0x3ff, v0
	v_mov_b32_e32 v1, 0
	s_load_u16 s33, s[0:1], 0x76
	s_bitcmp1_b32 s25, 0
	s_clause 0x1
	s_load_b128 s[20:23], s[0:1], 0x8
	s_load_b32 s36, s[0:1], 0x18
	v_dual_mov_b32 v3, v1 :: v_dual_lshlrev_b32 v6, 2, v2
	v_mov_b32_e32 v7, v1
	v_bfe_u32 v16, v0, 10, 10
	s_mov_b64 s[28:29], src_shared_base
	s_delay_alu instid0(VALU_DEP_1)
	v_lshl_add_u32 v17, v16, 2, 0
	s_wait_kmcnt 0x0
	v_mul_u64_e32 v[8:9], s[16:17], v[2:3]
	v_mul_u64_e32 v[4:5], s[8:9], v[2:3]
	s_add_nc_u64 s[16:17], s[0:1], 0x68
	s_cselect_b32 s0, -1, 0
	s_bfe_u32 s3, ttmp6, 0x40010
	s_and_b32 s1, ttmp7, 0xffff
	s_add_co_i32 s3, s3, 1
	s_bfe_u32 s25, ttmp6, 0x40004
	s_mul_i32 s3, s1, s3
	s_lshl_b64 s[30:31], s[6:7], 2
	s_add_co_i32 s25, s25, s3
	s_lshl_b64 s[14:15], s[14:15], 2
	s_cmp_eq_u32 s2, 0
	s_add_nc_u64 s[12:13], s[12:13], s[14:15]
	s_cselect_b32 s1, s1, s25
	v_cmp_le_i64_e64 s25, s[20:21], v[2:3]
	v_mad_u32 v0, s1, s33, v16
	v_cmp_gt_i64_e64 s2, s[20:21], v[2:3]
	s_lshl_b32 s3, s33, 2
	v_cmp_gt_i64_e64 s37, s[20:21], 0
	v_cmp_gt_i64_e64 s38, s[20:21], 1
	s_add_co_i32 s28, s3, 0
	v_cmp_eq_u32_e64 s1, 0, v2
	v_add_nc_u32_e32 v18, s28, v6
	s_add_nc_u64 s[6:7], s[20:21], -1
	s_add_nc_u64 s[4:5], s[4:5], s[30:31]
	s_xor_b32 s40, s25, -1
	v_cmp_gt_i64_e32 vcc_lo, s[22:23], v[0:1]
	v_lshl_add_u64 v[8:9], v[8:9], 2, s[12:13]
	s_lshl_b64 s[12:13], s[6:7], 2
	s_and_b32 s39, vcc_lo, s2
	s_delay_alu instid0(VALU_DEP_1)
	v_lshl_add_u64 v[8:9], v[0:1], 2, v[8:9]
	v_lshlrev_b32_e32 v0, 2, v2
	s_branch .LBB59_4
.LBB59_2:                               ;   in Loop: Header=BB59_4 Depth=1
	s_or_b32 exec_lo, exec_lo, s30
	global_store_b32 v[10:11], v19, off
.LBB59_3:                               ;   in Loop: Header=BB59_4 Depth=1
	s_wait_xcnt 0x0
	s_or_b32 exec_lo, exec_lo, s3
	s_add_co_i32 s26, s26, 0x10000
	s_delay_alu instid0(SALU_CYCLE_1)
	s_cmp_lt_u32 s26, s24
	s_cbranch_scc0 .LBB59_29
.LBB59_4:                               ; =>This Loop Header: Depth=1
                                        ;     Child Loop BB59_8 Depth 2
                                        ;     Child Loop BB59_23 Depth 2
	s_mul_u64 s[14:15], s[10:11], s[26:27]
	s_and_not1_b32 vcc_lo, exec_lo, s0
	s_lshl_b64 s[14:15], s[14:15], 2
	s_delay_alu instid0(SALU_CYCLE_1)
	s_add_nc_u64 s[14:15], s[4:5], s[14:15]
	s_cbranch_vccnz .LBB59_18
; %bb.5:                                ;   in Loop: Header=BB59_4 Depth=1
	s_and_not1_b32 vcc_lo, exec_lo, s37
	s_cbranch_vccnz .LBB59_19
; %bb.6:                                ;   in Loop: Header=BB59_4 Depth=1
	v_add_nc_u64_e32 v[10:11], s[14:15], v[0:1]
	v_mov_b32_e32 v14, v16
	s_mov_b32 s14, s33
	s_delay_alu instid0(VALU_DEP_2)
	v_lshl_add_u64 v[12:13], v[4:5], 2, v[10:11]
	s_branch .LBB59_8
.LBB59_7:                               ;   in Loop: Header=BB59_8 Depth=2
	s_or_b32 exec_lo, exec_lo, s15
	s_ashr_i32 s15, s14, 31
	v_add_nc_u32_e32 v14, s33, v14
	v_cmp_le_i64_e64 s3, s[20:21], s[14:15]
	s_add_co_i32 s14, s14, s33
	s_and_b32 vcc_lo, exec_lo, s3
	s_cbranch_vccnz .LBB59_19
.LBB59_8:                               ;   Parent Loop BB59_4 Depth=1
                                        ; =>  This Inner Loop Header: Depth=2
	s_mov_b32 s3, 0
	s_mov_b32 s22, s25
                                        ; implicit-def: $vgpr19
	s_and_saveexec_b32 s15, s2
	s_cbranch_execnz .LBB59_11
; %bb.9:                                ;   in Loop: Header=BB59_8 Depth=2
	s_or_b32 exec_lo, exec_lo, s15
	v_mov_b32_e32 v15, v14
	s_and_saveexec_b32 s15, s22
	s_cbranch_execnz .LBB59_14
.LBB59_10:                              ;   in Loop: Header=BB59_8 Depth=2
	s_or_b32 exec_lo, exec_lo, s15
	s_and_saveexec_b32 s15, s3
	s_cbranch_execz .LBB59_7
	s_branch .LBB59_17
.LBB59_11:                              ;   in Loop: Header=BB59_8 Depth=2
	v_ashrrev_i32_e32 v15, 31, v14
	v_cmp_lt_i32_e64 s3, v2, v14
	s_mov_b32 s22, -1
                                        ; implicit-def: $vgpr19
	v_cmp_gt_i64_e32 vcc_lo, s[20:21], v[14:15]
	s_and_b32 s30, s3, vcc_lo
	s_mov_b32 s3, 0
	s_and_saveexec_b32 s23, s30
	s_cbranch_execz .LBB59_13
; %bb.12:                               ;   in Loop: Header=BB59_8 Depth=2
	v_mul_u64_e32 v[20:21], s[8:9], v[14:15]
	s_mov_b32 s3, exec_lo
	s_xor_b32 s22, exec_lo, -1
	s_delay_alu instid0(VALU_DEP_1)
	v_lshl_add_u64 v[20:21], v[20:21], 2, v[10:11]
	s_wait_loadcnt 0x0
	global_load_b32 v19, v[20:21], off
.LBB59_13:                              ;   in Loop: Header=BB59_8 Depth=2
	s_wait_xcnt 0x0
	s_or_b32 exec_lo, exec_lo, s23
	s_delay_alu instid0(SALU_CYCLE_1)
	s_and_not1_b32 s23, s25, exec_lo
	s_and_b32 s22, s22, exec_lo
	s_and_b32 s3, s3, exec_lo
	s_or_b32 s22, s23, s22
	s_or_b32 exec_lo, exec_lo, s15
	v_mov_b32_e32 v15, v14
	s_and_saveexec_b32 s15, s22
	s_cbranch_execz .LBB59_10
.LBB59_14:                              ;   in Loop: Header=BB59_8 Depth=2
	v_cmp_eq_u32_e32 vcc_lo, v2, v14
	s_mov_b32 s23, s3
                                        ; implicit-def: $vgpr19
	s_and_b32 s30, s40, vcc_lo
	s_delay_alu instid0(SALU_CYCLE_1)
	s_and_saveexec_b32 s22, s30
	s_cbranch_execz .LBB59_16
; %bb.15:                               ;   in Loop: Header=BB59_8 Depth=2
	global_load_b32 v15, v[12:13], off
	s_or_b32 s23, s3, exec_lo
	s_wait_loadcnt 0x0
	v_div_scale_f32 v19, null, v15, v15, 1.0
	s_delay_alu instid0(VALU_DEP_1) | instskip(SKIP_1) | instid1(TRANS32_DEP_1)
	v_rcp_f32_e32 v20, v19
	v_nop
	v_fma_f32 v21, -v19, v20, 1.0
	s_delay_alu instid0(VALU_DEP_1) | instskip(SKIP_1) | instid1(VALU_DEP_1)
	v_fmac_f32_e32 v20, v21, v20
	v_div_scale_f32 v21, vcc_lo, 1.0, v15, 1.0
	v_mul_f32_e32 v22, v21, v20
	s_delay_alu instid0(VALU_DEP_1) | instskip(NEXT) | instid1(VALU_DEP_1)
	v_fma_f32 v23, -v19, v22, v21
	v_fmac_f32_e32 v22, v23, v20
	s_delay_alu instid0(VALU_DEP_1) | instskip(NEXT) | instid1(VALU_DEP_1)
	v_fma_f32 v19, -v19, v22, v21
	v_div_fmas_f32 v19, v19, v20, v22
	s_delay_alu instid0(VALU_DEP_1)
	v_div_fixup_f32 v19, v19, v15, 1.0
.LBB59_16:                              ;   in Loop: Header=BB59_8 Depth=2
	s_wait_xcnt 0x0
	s_or_b32 exec_lo, exec_lo, s22
	v_mov_b32_e32 v15, v2
	s_and_not1_b32 s3, s3, exec_lo
	s_and_b32 s22, s23, exec_lo
	s_delay_alu instid0(SALU_CYCLE_1)
	s_or_b32 s3, s3, s22
	s_or_b32 exec_lo, exec_lo, s15
	s_and_saveexec_b32 s15, s3
	s_cbranch_execz .LBB59_7
.LBB59_17:                              ;   in Loop: Header=BB59_8 Depth=2
	s_load_b32 s3, s[16:17], 0xc
	s_wait_kmcnt 0x0
	s_and_b32 s3, s3, 0xffff
	s_delay_alu instid0(SALU_CYCLE_1) | instskip(NEXT) | instid1(VALU_DEP_1)
	v_mul_lo_u32 v15, v15, s3
	v_lshl_add_u32 v15, v15, 2, v18
	s_wait_loadcnt 0x0
	ds_store_b32 v15, v19
	s_branch .LBB59_7
.LBB59_18:                              ;   in Loop: Header=BB59_4 Depth=1
	s_mov_b64 s[22:23], s[8:9]
	s_and_saveexec_b32 s3, s39
	s_cbranch_execz .LBB59_3
	s_branch .LBB59_20
.LBB59_19:                              ;   in Loop: Header=BB59_4 Depth=1
	s_load_b32 s3, s[16:17], 0xc
	s_mov_b32 s23, s27
	s_mov_b64 s[14:15], s[28:29]
	s_wait_kmcnt 0x0
	s_and_b32 s22, s3, 0xffff
	s_and_saveexec_b32 s3, s39
	s_cbranch_execz .LBB59_3
.LBB59_20:                              ;   in Loop: Header=BB59_4 Depth=1
	s_mul_u64 s[30:31], s[18:19], s[26:27]
	s_and_not1_b32 vcc_lo, exec_lo, s38
	v_lshl_add_u64 v[10:11], s[30:31], 2, v[8:9]
	global_load_b32 v12, v[10:11], off
	s_wait_loadcnt 0x0
	v_mul_f32_e32 v19, s36, v12
	s_cbranch_vccnz .LBB59_27
; %bb.21:                               ;   in Loop: Header=BB59_4 Depth=1
	v_mad_nc_u64_u32 v[14:15], v2, s22, v[2:3]
	v_add_nc_u64_e32 v[12:13], s[14:15], v[6:7]
	s_mul_i32 s30, s13, s22
	s_mul_i32 s31, s12, s23
	s_mov_b64 s[34:35], s[6:7]
	s_delay_alu instid0(VALU_DEP_1) | instskip(NEXT) | instid1(VALU_DEP_3)
	v_mad_nc_u64_u32 v[12:13], s12, s22, v[12:13]
	v_mad_u32 v15, v2, s23, v15
	s_delay_alu instid0(VALU_DEP_2) | instskip(SKIP_1) | instid1(SALU_CYCLE_1)
	v_add3_u32 v13, s31, s30, v13
	s_lshl_b64 s[30:31], s[22:23], 2
	s_sub_nc_u64 s[30:31], 0, s[30:31]
	s_delay_alu instid0(VALU_DEP_2)
	v_lshl_add_u64 v[14:15], v[14:15], 2, s[14:15]
	s_branch .LBB59_23
.LBB59_22:                              ;   in Loop: Header=BB59_23 Depth=2
	s_wait_xcnt 0x0
	s_or_b32 exec_lo, exec_lo, s41
	s_add_nc_u64 s[42:43], s[34:35], 1
	v_add_nc_u64_e32 v[12:13], s[30:31], v[12:13]
	v_cmp_lt_u64_e64 s41, s[42:43], 3
	s_add_nc_u64 s[34:35], s[34:35], -1
	s_and_b32 vcc_lo, exec_lo, s41
	s_cbranch_vccnz .LBB59_27
.LBB59_23:                              ;   Parent Loop BB59_4 Depth=1
                                        ; =>  This Inner Loop Header: Depth=2
	s_mov_b32 s41, exec_lo
	s_wait_dscnt 0x0
	s_barrier_signal -1
	s_barrier_wait -1
	s_wait_xcnt 0x0
	v_cmpx_eq_u64_e64 s[34:35], v[2:3]
	s_cbranch_execz .LBB59_25
; %bb.24:                               ;   in Loop: Header=BB59_23 Depth=2
	flat_load_b32 v20, v[14:15]
	s_wait_loadcnt_dscnt 0x0
	v_div_scale_f32 v21, null, v20, v20, 1.0
	s_delay_alu instid0(VALU_DEP_1) | instskip(SKIP_1) | instid1(TRANS32_DEP_1)
	v_rcp_f32_e32 v22, v21
	v_nop
	v_fma_f32 v23, -v21, v22, 1.0
	s_delay_alu instid0(VALU_DEP_1) | instskip(SKIP_1) | instid1(VALU_DEP_1)
	v_fmac_f32_e32 v22, v23, v22
	v_div_scale_f32 v23, vcc_lo, 1.0, v20, 1.0
	v_mul_f32_e32 v24, v23, v22
	s_delay_alu instid0(VALU_DEP_1) | instskip(NEXT) | instid1(VALU_DEP_1)
	v_fma_f32 v25, -v21, v24, v23
	v_fmac_f32_e32 v24, v25, v22
	s_delay_alu instid0(VALU_DEP_1) | instskip(NEXT) | instid1(VALU_DEP_1)
	v_fma_f32 v21, -v21, v24, v23
	v_div_fmas_f32 v21, v21, v22, v24
	s_delay_alu instid0(VALU_DEP_1) | instskip(NEXT) | instid1(VALU_DEP_1)
	v_div_fixup_f32 v21, v21, v20, 1.0
	v_cndmask_b32_e64 v20, v21, v20, s0
	s_delay_alu instid0(VALU_DEP_1)
	v_mul_f32_e32 v19, v19, v20
	ds_store_b32 v17, v19
.LBB59_25:                              ;   in Loop: Header=BB59_23 Depth=2
	s_wait_xcnt 0x0
	s_or_b32 exec_lo, exec_lo, s41
	s_delay_alu instid0(SALU_CYCLE_1)
	s_mov_b32 s41, exec_lo
	s_wait_dscnt 0x0
	s_barrier_signal -1
	s_barrier_wait -1
	v_cmpx_gt_i64_e64 s[34:35], v[2:3]
	s_cbranch_execz .LBB59_22
; %bb.26:                               ;   in Loop: Header=BB59_23 Depth=2
	flat_load_b32 v20, v[12:13]
	ds_load_b32 v21, v17
	s_wait_loadcnt_dscnt 0x0
	v_fma_f32 v19, -v20, v21, v19
	s_branch .LBB59_22
.LBB59_27:                              ;   in Loop: Header=BB59_4 Depth=1
	s_wait_xcnt 0x0
	s_and_saveexec_b32 s30, s1
	s_cbranch_execz .LBB59_2
; %bb.28:                               ;   in Loop: Header=BB59_4 Depth=1
	v_mad_nc_u64_u32 v[12:13], v2, s22, v[2:3]
	s_delay_alu instid0(VALU_DEP_1) | instskip(NEXT) | instid1(VALU_DEP_1)
	v_mad_u32 v13, v2, s23, v13
	v_lshl_add_u64 v[12:13], v[12:13], 2, s[14:15]
	flat_load_b32 v12, v[12:13]
	s_wait_loadcnt_dscnt 0x0
	s_wait_xcnt 0x0
	v_div_scale_f32 v13, null, v12, v12, 1.0
	s_delay_alu instid0(VALU_DEP_1) | instskip(SKIP_1) | instid1(TRANS32_DEP_1)
	v_rcp_f32_e32 v14, v13
	v_nop
	v_fma_f32 v15, -v13, v14, 1.0
	s_delay_alu instid0(VALU_DEP_1) | instskip(SKIP_1) | instid1(VALU_DEP_1)
	v_fmac_f32_e32 v14, v15, v14
	v_div_scale_f32 v15, vcc_lo, 1.0, v12, 1.0
	v_mul_f32_e32 v20, v15, v14
	s_delay_alu instid0(VALU_DEP_1) | instskip(NEXT) | instid1(VALU_DEP_1)
	v_fma_f32 v21, -v13, v20, v15
	v_fmac_f32_e32 v20, v21, v14
	s_delay_alu instid0(VALU_DEP_1) | instskip(NEXT) | instid1(VALU_DEP_1)
	v_fma_f32 v13, -v13, v20, v15
	v_div_fmas_f32 v13, v13, v14, v20
	s_delay_alu instid0(VALU_DEP_1) | instskip(NEXT) | instid1(VALU_DEP_1)
	v_div_fixup_f32 v13, v13, v12, 1.0
	v_cndmask_b32_e64 v12, v13, v12, s0
	s_delay_alu instid0(VALU_DEP_1)
	v_mul_f32_e32 v19, v19, v12
	s_branch .LBB59_2
.LBB59_29:
	s_endpgm
	.section	.rodata,"a",@progbits
	.p2align	6, 0x0
	.amdhsa_kernel _ZL40rocblas_trsm_block_backward_substitutionIffPKfPfLb1ELb0ELb0EEv18rocblas_operation_llT0_T1_lllT2_lllib
		.amdhsa_group_segment_fixed_size 0
		.amdhsa_private_segment_fixed_size 0
		.amdhsa_kernarg_size 360
		.amdhsa_user_sgpr_count 2
		.amdhsa_user_sgpr_dispatch_ptr 0
		.amdhsa_user_sgpr_queue_ptr 0
		.amdhsa_user_sgpr_kernarg_segment_ptr 1
		.amdhsa_user_sgpr_dispatch_id 0
		.amdhsa_user_sgpr_kernarg_preload_length 0
		.amdhsa_user_sgpr_kernarg_preload_offset 0
		.amdhsa_user_sgpr_private_segment_size 0
		.amdhsa_wavefront_size32 1
		.amdhsa_uses_dynamic_stack 0
		.amdhsa_enable_private_segment 0
		.amdhsa_system_sgpr_workgroup_id_x 1
		.amdhsa_system_sgpr_workgroup_id_y 1
		.amdhsa_system_sgpr_workgroup_id_z 1
		.amdhsa_system_sgpr_workgroup_info 0
		.amdhsa_system_vgpr_workitem_id 1
		.amdhsa_next_free_vgpr 26
		.amdhsa_next_free_sgpr 44
		.amdhsa_named_barrier_count 0
		.amdhsa_reserve_vcc 1
		.amdhsa_float_round_mode_32 0
		.amdhsa_float_round_mode_16_64 0
		.amdhsa_float_denorm_mode_32 3
		.amdhsa_float_denorm_mode_16_64 3
		.amdhsa_fp16_overflow 0
		.amdhsa_memory_ordered 1
		.amdhsa_forward_progress 1
		.amdhsa_inst_pref_size 12
		.amdhsa_round_robin_scheduling 0
		.amdhsa_exception_fp_ieee_invalid_op 0
		.amdhsa_exception_fp_denorm_src 0
		.amdhsa_exception_fp_ieee_div_zero 0
		.amdhsa_exception_fp_ieee_overflow 0
		.amdhsa_exception_fp_ieee_underflow 0
		.amdhsa_exception_fp_ieee_inexact 0
		.amdhsa_exception_int_div_zero 0
	.end_amdhsa_kernel
	.section	.text._ZL40rocblas_trsm_block_backward_substitutionIffPKfPfLb1ELb0ELb0EEv18rocblas_operation_llT0_T1_lllT2_lllib,"axG",@progbits,_ZL40rocblas_trsm_block_backward_substitutionIffPKfPfLb1ELb0ELb0EEv18rocblas_operation_llT0_T1_lllT2_lllib,comdat
.Lfunc_end59:
	.size	_ZL40rocblas_trsm_block_backward_substitutionIffPKfPfLb1ELb0ELb0EEv18rocblas_operation_llT0_T1_lllT2_lllib, .Lfunc_end59-_ZL40rocblas_trsm_block_backward_substitutionIffPKfPfLb1ELb0ELb0EEv18rocblas_operation_llT0_T1_lllT2_lllib
                                        ; -- End function
	.set _ZL40rocblas_trsm_block_backward_substitutionIffPKfPfLb1ELb0ELb0EEv18rocblas_operation_llT0_T1_lllT2_lllib.num_vgpr, 26
	.set _ZL40rocblas_trsm_block_backward_substitutionIffPKfPfLb1ELb0ELb0EEv18rocblas_operation_llT0_T1_lllT2_lllib.num_agpr, 0
	.set _ZL40rocblas_trsm_block_backward_substitutionIffPKfPfLb1ELb0ELb0EEv18rocblas_operation_llT0_T1_lllT2_lllib.numbered_sgpr, 44
	.set _ZL40rocblas_trsm_block_backward_substitutionIffPKfPfLb1ELb0ELb0EEv18rocblas_operation_llT0_T1_lllT2_lllib.num_named_barrier, 0
	.set _ZL40rocblas_trsm_block_backward_substitutionIffPKfPfLb1ELb0ELb0EEv18rocblas_operation_llT0_T1_lllT2_lllib.private_seg_size, 0
	.set _ZL40rocblas_trsm_block_backward_substitutionIffPKfPfLb1ELb0ELb0EEv18rocblas_operation_llT0_T1_lllT2_lllib.uses_vcc, 1
	.set _ZL40rocblas_trsm_block_backward_substitutionIffPKfPfLb1ELb0ELb0EEv18rocblas_operation_llT0_T1_lllT2_lllib.uses_flat_scratch, 0
	.set _ZL40rocblas_trsm_block_backward_substitutionIffPKfPfLb1ELb0ELb0EEv18rocblas_operation_llT0_T1_lllT2_lllib.has_dyn_sized_stack, 0
	.set _ZL40rocblas_trsm_block_backward_substitutionIffPKfPfLb1ELb0ELb0EEv18rocblas_operation_llT0_T1_lllT2_lllib.has_recursion, 0
	.set _ZL40rocblas_trsm_block_backward_substitutionIffPKfPfLb1ELb0ELb0EEv18rocblas_operation_llT0_T1_lllT2_lllib.has_indirect_call, 0
	.section	.AMDGPU.csdata,"",@progbits
; Kernel info:
; codeLenInByte = 1520
; TotalNumSgprs: 46
; NumVgprs: 26
; ScratchSize: 0
; MemoryBound: 0
; FloatMode: 240
; IeeeMode: 1
; LDSByteSize: 0 bytes/workgroup (compile time only)
; SGPRBlocks: 0
; VGPRBlocks: 1
; NumSGPRsForWavesPerEU: 46
; NumVGPRsForWavesPerEU: 26
; NamedBarCnt: 0
; Occupancy: 16
; WaveLimiterHint : 0
; COMPUTE_PGM_RSRC2:SCRATCH_EN: 0
; COMPUTE_PGM_RSRC2:USER_SGPR: 2
; COMPUTE_PGM_RSRC2:TRAP_HANDLER: 0
; COMPUTE_PGM_RSRC2:TGID_X_EN: 1
; COMPUTE_PGM_RSRC2:TGID_Y_EN: 1
; COMPUTE_PGM_RSRC2:TGID_Z_EN: 1
; COMPUTE_PGM_RSRC2:TIDIG_COMP_CNT: 1
	.section	.text._ZL39rocblas_trsm_block_forward_substitutionIffPKfPfLb1ELb0ELb1EEv18rocblas_operation_llT0_T1_lllT2_lllib,"axG",@progbits,_ZL39rocblas_trsm_block_forward_substitutionIffPKfPfLb1ELb0ELb1EEv18rocblas_operation_llT0_T1_lllT2_lllib,comdat
	.globl	_ZL39rocblas_trsm_block_forward_substitutionIffPKfPfLb1ELb0ELb1EEv18rocblas_operation_llT0_T1_lllT2_lllib ; -- Begin function _ZL39rocblas_trsm_block_forward_substitutionIffPKfPfLb1ELb0ELb1EEv18rocblas_operation_llT0_T1_lllT2_lllib
	.p2align	8
	.type	_ZL39rocblas_trsm_block_forward_substitutionIffPKfPfLb1ELb0ELb1EEv18rocblas_operation_llT0_T1_lllT2_lllib,@function
_ZL39rocblas_trsm_block_forward_substitutionIffPKfPfLb1ELb0ELb1EEv18rocblas_operation_llT0_T1_lllT2_lllib: ; @_ZL39rocblas_trsm_block_forward_substitutionIffPKfPfLb1ELb0ELb1EEv18rocblas_operation_llT0_T1_lllT2_lllib
; %bb.0:
	s_load_b64 s[2:3], s[0:1], 0x60
	s_bfe_u32 s4, ttmp6, 0x40014
	s_lshr_b32 s5, ttmp7, 16
	s_add_co_i32 s4, s4, 1
	s_bfe_u32 s6, ttmp6, 0x40008
	s_mul_i32 s4, s5, s4
	s_getreg_b32 s20, hwreg(HW_REG_IB_STS2, 6, 4)
	s_add_co_i32 s6, s6, s4
	s_cmp_eq_u32 s20, 0
	s_mov_b32 s25, 0
	s_cselect_b32 s24, s5, s6
	s_wait_kmcnt 0x0
	s_cmp_ge_u32 s24, s2
	s_cbranch_scc1 .LBB60_19
; %bb.1:
	s_clause 0x1
	s_load_b512 s[4:19], s[0:1], 0x20
	s_load_u16 s28, s[0:1], 0x76
	s_bitcmp1_b32 s3, 0
	v_bfe_u32 v8, v0, 10, 10
	s_cselect_b32 s3, -1, 0
	s_bfe_u32 s21, ttmp6, 0x40010
	s_and_b32 s22, ttmp7, 0xffff
	s_add_co_i32 s21, s21, 1
	s_bfe_u32 s23, ttmp6, 0x40004
	s_mul_i32 s21, s22, s21
	v_mov_b32_e32 v3, 0
	s_add_co_i32 s23, s23, s21
	v_and_b32_e32 v0, 0x3ff, v0
	v_lshl_add_u32 v9, v8, 2, 0
	s_mov_b64 s[26:27], src_shared_base
	v_mov_b32_e32 v1, v3
	s_wait_kmcnt 0x0
	s_lshl_b64 s[30:31], s[6:7], 2
	s_lshl_b64 s[34:35], s[14:15], 2
	s_cmp_eq_u32 s20, 0
	s_add_nc_u64 s[12:13], s[12:13], s[34:35]
	s_cselect_b32 s6, s22, s23
	s_clause 0x1
	s_load_b128 s[20:23], s[0:1], 0x8
	s_load_b32 s29, s[0:1], 0x18
	v_mad_u32 v2, s6, s28, v8
	s_add_nc_u64 s[6:7], s[0:1], 0x68
	s_lshl_b32 s14, s28, 2
	s_add_nc_u64 s[4:5], s[4:5], s[30:31]
	s_add_co_i32 s14, s14, 0
	s_mov_b32 s15, s27
	v_lshl_add_u32 v10, v0, 2, s14
	s_delay_alu instid0(VALU_DEP_2)
	v_mul_u64_e32 v[4:5], s[16:17], v[2:3]
	s_mov_b64 s[16:17], 1
	s_wait_kmcnt 0x0
	v_cmp_gt_i64_e64 s0, s[20:21], v[0:1]
	v_cmp_gt_i64_e32 vcc_lo, s[22:23], v[2:3]
	v_cmp_gt_i64_e64 s1, s[20:21], 0
	v_cmp_gt_i64_e64 s30, s[20:21], 1
	s_and_b32 s31, vcc_lo, s0
	v_lshl_add_u64 v[4:5], v[4:5], 2, s[12:13]
	s_add_nc_u64 s[12:13], s[20:21], -1
	s_delay_alu instid0(VALU_DEP_1)
	v_lshl_add_u64 v[2:3], v[0:1], 2, v[4:5]
	s_branch .LBB60_4
.LBB60_2:                               ;   in Loop: Header=BB60_4 Depth=1
	global_store_b32 v[4:5], v11, off
.LBB60_3:                               ;   in Loop: Header=BB60_4 Depth=1
	s_wait_xcnt 0x0
	s_or_b32 exec_lo, exec_lo, s33
	s_add_co_i32 s24, s24, 0x10000
	s_delay_alu instid0(SALU_CYCLE_1)
	s_cmp_lt_u32 s24, s2
	s_cbranch_scc0 .LBB60_19
.LBB60_4:                               ; =>This Loop Header: Depth=1
                                        ;     Child Loop BB60_9 Depth 2
                                        ;     Child Loop BB60_15 Depth 2
	s_mul_u64 s[22:23], s[10:11], s[24:25]
	s_and_not1_b32 vcc_lo, exec_lo, s3
	s_lshl_b64 s[22:23], s[22:23], 2
	s_delay_alu instid0(SALU_CYCLE_1)
	s_add_nc_u64 s[22:23], s[4:5], s[22:23]
	s_cbranch_vccz .LBB60_6
; %bb.5:                                ;   in Loop: Header=BB60_4 Depth=1
	s_and_saveexec_b32 s33, s31
	s_cbranch_execz .LBB60_3
	s_branch .LBB60_12
.LBB60_6:                               ;   in Loop: Header=BB60_4 Depth=1
	s_and_not1_b32 vcc_lo, exec_lo, s1
	s_cbranch_vccnz .LBB60_11
; %bb.7:                                ;   in Loop: Header=BB60_4 Depth=1
	v_mul_u64_e32 v[4:5], s[8:9], v[0:1]
	s_mov_b32 s8, 0
	s_delay_alu instid0(VALU_DEP_1)
	v_lshl_add_u64 v[4:5], v[4:5], 2, s[22:23]
	s_branch .LBB60_9
.LBB60_8:                               ;   in Loop: Header=BB60_9 Depth=2
	s_wait_xcnt 0x0
	s_or_b32 exec_lo, exec_lo, s9
	s_add_co_i32 s8, s8, s28
	s_delay_alu instid0(SALU_CYCLE_1) | instskip(NEXT) | instid1(SALU_CYCLE_1)
	s_ashr_i32 s9, s8, 31
	v_cmp_le_i64_e64 s9, s[20:21], s[8:9]
	s_and_b32 vcc_lo, exec_lo, s9
	s_cbranch_vccnz .LBB60_11
.LBB60_9:                               ;   Parent Loop BB60_4 Depth=1
                                        ; =>  This Inner Loop Header: Depth=2
	v_add_nc_u32_e32 v6, s8, v8
	s_delay_alu instid0(VALU_DEP_1) | instskip(SKIP_1) | instid1(SALU_CYCLE_1)
	v_cmp_gt_i32_e32 vcc_lo, v0, v6
	s_and_b32 s22, s0, vcc_lo
	s_and_saveexec_b32 s9, s22
	s_cbranch_execz .LBB60_8
; %bb.10:                               ;   in Loop: Header=BB60_9 Depth=2
	v_ashrrev_i32_e32 v7, 31, v6
	s_load_b32 s22, s[6:7], 0xc
	s_delay_alu instid0(VALU_DEP_1) | instskip(SKIP_2) | instid1(SALU_CYCLE_1)
	v_mul_u64_e32 v[12:13], s[16:17], v[6:7]
	s_wait_kmcnt 0x0
	s_and_b32 s22, s22, 0xffff
	v_mul_lo_u32 v6, v6, s22
	s_delay_alu instid0(VALU_DEP_1) | instskip(NEXT) | instid1(VALU_DEP_3)
	v_lshl_add_u32 v6, v6, 2, v10
	v_lshl_add_u64 v[12:13], v[12:13], 2, v[4:5]
	global_load_b32 v7, v[12:13], off
	s_wait_loadcnt 0x0
	ds_store_b32 v6, v7
	s_branch .LBB60_8
.LBB60_11:                              ;   in Loop: Header=BB60_4 Depth=1
	s_load_b32 s16, s[6:7], 0xc
	s_mov_b32 s17, s25
	s_mov_b64 s[8:9], 1
	s_mov_b64 s[22:23], s[14:15]
	s_wait_kmcnt 0x0
	s_and_b32 s16, s16, 0xffff
	s_and_saveexec_b32 s33, s31
	s_cbranch_execz .LBB60_3
.LBB60_12:                              ;   in Loop: Header=BB60_4 Depth=1
	s_mul_u64 s[26:27], s[18:19], s[24:25]
	s_and_not1_b32 vcc_lo, exec_lo, s30
	v_lshl_add_u64 v[4:5], s[26:27], 2, v[2:3]
	global_load_b32 v6, v[4:5], off
	s_wait_loadcnt 0x0
	v_mul_f32_e32 v11, s29, v6
	s_cbranch_vccnz .LBB60_2
; %bb.13:                               ;   in Loop: Header=BB60_4 Depth=1
	v_mul_u64_e32 v[6:7], s[8:9], v[0:1]
	s_mov_b64 s[26:27], 0
	s_delay_alu instid0(VALU_DEP_1)
	v_lshl_add_u64 v[6:7], v[6:7], 2, s[22:23]
	s_lshl_b64 s[22:23], s[16:17], 2
	s_branch .LBB60_15
.LBB60_14:                              ;   in Loop: Header=BB60_15 Depth=2
	s_wait_xcnt 0x0
	s_or_b32 exec_lo, exec_lo, s34
	v_add_nc_u64_e32 v[6:7], s[22:23], v[6:7]
	s_add_nc_u64 s[26:27], s[26:27], 1
	s_delay_alu instid0(SALU_CYCLE_1)
	s_cmp_eq_u64 s[12:13], s[26:27]
	s_cbranch_scc1 .LBB60_2
.LBB60_15:                              ;   Parent Loop BB60_4 Depth=1
                                        ; =>  This Inner Loop Header: Depth=2
	s_mov_b32 s34, exec_lo
	s_wait_dscnt 0x0
	s_barrier_signal -1
	s_barrier_wait -1
	s_wait_xcnt 0x0
	v_cmpx_eq_u64_e64 s[26:27], v[0:1]
; %bb.16:                               ;   in Loop: Header=BB60_15 Depth=2
	ds_store_b32 v9, v11
; %bb.17:                               ;   in Loop: Header=BB60_15 Depth=2
	s_or_b32 exec_lo, exec_lo, s34
	s_delay_alu instid0(SALU_CYCLE_1)
	s_mov_b32 s34, exec_lo
	s_wait_dscnt 0x0
	s_barrier_signal -1
	s_barrier_wait -1
	v_cmpx_lt_u64_e64 s[26:27], v[0:1]
	s_cbranch_execz .LBB60_14
; %bb.18:                               ;   in Loop: Header=BB60_15 Depth=2
	flat_load_b32 v12, v[6:7]
	ds_load_b32 v13, v9
	s_wait_loadcnt_dscnt 0x0
	v_fma_f32 v11, -v12, v13, v11
	s_branch .LBB60_14
.LBB60_19:
	s_endpgm
	.section	.rodata,"a",@progbits
	.p2align	6, 0x0
	.amdhsa_kernel _ZL39rocblas_trsm_block_forward_substitutionIffPKfPfLb1ELb0ELb1EEv18rocblas_operation_llT0_T1_lllT2_lllib
		.amdhsa_group_segment_fixed_size 0
		.amdhsa_private_segment_fixed_size 0
		.amdhsa_kernarg_size 360
		.amdhsa_user_sgpr_count 2
		.amdhsa_user_sgpr_dispatch_ptr 0
		.amdhsa_user_sgpr_queue_ptr 0
		.amdhsa_user_sgpr_kernarg_segment_ptr 1
		.amdhsa_user_sgpr_dispatch_id 0
		.amdhsa_user_sgpr_kernarg_preload_length 0
		.amdhsa_user_sgpr_kernarg_preload_offset 0
		.amdhsa_user_sgpr_private_segment_size 0
		.amdhsa_wavefront_size32 1
		.amdhsa_uses_dynamic_stack 0
		.amdhsa_enable_private_segment 0
		.amdhsa_system_sgpr_workgroup_id_x 1
		.amdhsa_system_sgpr_workgroup_id_y 1
		.amdhsa_system_sgpr_workgroup_id_z 1
		.amdhsa_system_sgpr_workgroup_info 0
		.amdhsa_system_vgpr_workitem_id 1
		.amdhsa_next_free_vgpr 14
		.amdhsa_next_free_sgpr 36
		.amdhsa_named_barrier_count 0
		.amdhsa_reserve_vcc 1
		.amdhsa_float_round_mode_32 0
		.amdhsa_float_round_mode_16_64 0
		.amdhsa_float_denorm_mode_32 3
		.amdhsa_float_denorm_mode_16_64 3
		.amdhsa_fp16_overflow 0
		.amdhsa_memory_ordered 1
		.amdhsa_forward_progress 1
		.amdhsa_inst_pref_size 7
		.amdhsa_round_robin_scheduling 0
		.amdhsa_exception_fp_ieee_invalid_op 0
		.amdhsa_exception_fp_denorm_src 0
		.amdhsa_exception_fp_ieee_div_zero 0
		.amdhsa_exception_fp_ieee_overflow 0
		.amdhsa_exception_fp_ieee_underflow 0
		.amdhsa_exception_fp_ieee_inexact 0
		.amdhsa_exception_int_div_zero 0
	.end_amdhsa_kernel
	.section	.text._ZL39rocblas_trsm_block_forward_substitutionIffPKfPfLb1ELb0ELb1EEv18rocblas_operation_llT0_T1_lllT2_lllib,"axG",@progbits,_ZL39rocblas_trsm_block_forward_substitutionIffPKfPfLb1ELb0ELb1EEv18rocblas_operation_llT0_T1_lllT2_lllib,comdat
.Lfunc_end60:
	.size	_ZL39rocblas_trsm_block_forward_substitutionIffPKfPfLb1ELb0ELb1EEv18rocblas_operation_llT0_T1_lllT2_lllib, .Lfunc_end60-_ZL39rocblas_trsm_block_forward_substitutionIffPKfPfLb1ELb0ELb1EEv18rocblas_operation_llT0_T1_lllT2_lllib
                                        ; -- End function
	.set _ZL39rocblas_trsm_block_forward_substitutionIffPKfPfLb1ELb0ELb1EEv18rocblas_operation_llT0_T1_lllT2_lllib.num_vgpr, 14
	.set _ZL39rocblas_trsm_block_forward_substitutionIffPKfPfLb1ELb0ELb1EEv18rocblas_operation_llT0_T1_lllT2_lllib.num_agpr, 0
	.set _ZL39rocblas_trsm_block_forward_substitutionIffPKfPfLb1ELb0ELb1EEv18rocblas_operation_llT0_T1_lllT2_lllib.numbered_sgpr, 36
	.set _ZL39rocblas_trsm_block_forward_substitutionIffPKfPfLb1ELb0ELb1EEv18rocblas_operation_llT0_T1_lllT2_lllib.num_named_barrier, 0
	.set _ZL39rocblas_trsm_block_forward_substitutionIffPKfPfLb1ELb0ELb1EEv18rocblas_operation_llT0_T1_lllT2_lllib.private_seg_size, 0
	.set _ZL39rocblas_trsm_block_forward_substitutionIffPKfPfLb1ELb0ELb1EEv18rocblas_operation_llT0_T1_lllT2_lllib.uses_vcc, 1
	.set _ZL39rocblas_trsm_block_forward_substitutionIffPKfPfLb1ELb0ELb1EEv18rocblas_operation_llT0_T1_lllT2_lllib.uses_flat_scratch, 0
	.set _ZL39rocblas_trsm_block_forward_substitutionIffPKfPfLb1ELb0ELb1EEv18rocblas_operation_llT0_T1_lllT2_lllib.has_dyn_sized_stack, 0
	.set _ZL39rocblas_trsm_block_forward_substitutionIffPKfPfLb1ELb0ELb1EEv18rocblas_operation_llT0_T1_lllT2_lllib.has_recursion, 0
	.set _ZL39rocblas_trsm_block_forward_substitutionIffPKfPfLb1ELb0ELb1EEv18rocblas_operation_llT0_T1_lllT2_lllib.has_indirect_call, 0
	.section	.AMDGPU.csdata,"",@progbits
; Kernel info:
; codeLenInByte = 832
; TotalNumSgprs: 38
; NumVgprs: 14
; ScratchSize: 0
; MemoryBound: 0
; FloatMode: 240
; IeeeMode: 1
; LDSByteSize: 0 bytes/workgroup (compile time only)
; SGPRBlocks: 0
; VGPRBlocks: 0
; NumSGPRsForWavesPerEU: 38
; NumVGPRsForWavesPerEU: 14
; NamedBarCnt: 0
; Occupancy: 16
; WaveLimiterHint : 0
; COMPUTE_PGM_RSRC2:SCRATCH_EN: 0
; COMPUTE_PGM_RSRC2:USER_SGPR: 2
; COMPUTE_PGM_RSRC2:TRAP_HANDLER: 0
; COMPUTE_PGM_RSRC2:TGID_X_EN: 1
; COMPUTE_PGM_RSRC2:TGID_Y_EN: 1
; COMPUTE_PGM_RSRC2:TGID_Z_EN: 1
; COMPUTE_PGM_RSRC2:TIDIG_COMP_CNT: 1
	.section	.text._ZL40rocblas_trsm_block_backward_substitutionIffPKfPfLb1ELb0ELb1EEv18rocblas_operation_llT0_T1_lllT2_lllib,"axG",@progbits,_ZL40rocblas_trsm_block_backward_substitutionIffPKfPfLb1ELb0ELb1EEv18rocblas_operation_llT0_T1_lllT2_lllib,comdat
	.globl	_ZL40rocblas_trsm_block_backward_substitutionIffPKfPfLb1ELb0ELb1EEv18rocblas_operation_llT0_T1_lllT2_lllib ; -- Begin function _ZL40rocblas_trsm_block_backward_substitutionIffPKfPfLb1ELb0ELb1EEv18rocblas_operation_llT0_T1_lllT2_lllib
	.p2align	8
	.type	_ZL40rocblas_trsm_block_backward_substitutionIffPKfPfLb1ELb0ELb1EEv18rocblas_operation_llT0_T1_lllT2_lllib,@function
_ZL40rocblas_trsm_block_backward_substitutionIffPKfPfLb1ELb0ELb1EEv18rocblas_operation_llT0_T1_lllT2_lllib: ; @_ZL40rocblas_trsm_block_backward_substitutionIffPKfPfLb1ELb0ELb1EEv18rocblas_operation_llT0_T1_lllT2_lllib
; %bb.0:
	s_load_b64 s[2:3], s[0:1], 0x60
	s_bfe_u32 s4, ttmp6, 0x40014
	s_lshr_b32 s5, ttmp7, 16
	s_add_co_i32 s4, s4, 1
	s_bfe_u32 s6, ttmp6, 0x40008
	s_mul_i32 s4, s5, s4
	s_getreg_b32 s26, hwreg(HW_REG_IB_STS2, 6, 4)
	s_add_co_i32 s6, s6, s4
	s_cmp_eq_u32 s26, 0
	s_mov_b32 s25, 0
	s_cselect_b32 s24, s5, s6
	s_wait_kmcnt 0x0
	s_cmp_ge_u32 s24, s2
	s_cbranch_scc1 .LBB61_19
; %bb.1:
	s_load_b512 s[4:19], s[0:1], 0x20
	v_and_b32_e32 v2, 0x3ff, v0
	v_mov_b32_e32 v1, 0
	s_clause 0x2
	s_load_u16 s28, s[0:1], 0x76
	s_load_b128 s[20:23], s[0:1], 0x8
	s_load_b32 s29, s[0:1], 0x18
	s_bitcmp1_b32 s3, 0
	s_mov_b64 s[30:31], src_shared_base
	v_dual_mov_b32 v3, v1 :: v_dual_lshlrev_b32 v4, 2, v2
	v_mov_b32_e32 v5, v1
	s_cselect_b32 s3, -1, 0
	s_bfe_u32 s30, ttmp6, 0x40004
	v_bfe_u32 v12, v0, 10, 10
	s_mov_b32 s27, s31
	s_delay_alu instid0(VALU_DEP_1)
	v_lshl_add_u32 v13, v12, 2, 0
	s_wait_kmcnt 0x0
	v_mul_u64_e32 v[6:7], s[16:17], v[2:3]
	s_add_nc_u64 s[16:17], s[0:1], 0x68
	s_bfe_u32 s0, ttmp6, 0x40010
	s_and_b32 s1, ttmp7, 0xffff
	s_add_co_i32 s0, s0, 1
	s_lshl_b64 s[6:7], s[6:7], 2
	s_mul_i32 s0, s1, s0
	s_lshl_b64 s[14:15], s[14:15], 2
	s_add_co_i32 s30, s30, s0
	s_cmp_eq_u32 s26, 0
	s_add_nc_u64 s[12:13], s[12:13], s[14:15]
	s_cselect_b32 s0, s1, s30
	s_lshl_b32 s1, s28, 2
	v_mad_u32 v0, s0, s28, v12
	v_cmp_gt_i64_e64 s0, s[20:21], v[2:3]
	v_cmp_gt_i64_e64 s30, s[20:21], 0
	;; [unrolled: 1-line block ×3, first 2 shown]
	s_add_co_i32 s26, s1, 0
	s_add_nc_u64 s[4:5], s[4:5], s[6:7]
	v_add_nc_u32_e32 v14, s26, v4
	s_add_nc_u64 s[6:7], s[20:21], -1
	v_cmp_gt_i64_e32 vcc_lo, s[22:23], v[0:1]
	s_and_b32 s33, vcc_lo, s0
	v_lshl_add_u64 v[6:7], v[6:7], 2, s[12:13]
	s_lshl_b64 s[12:13], s[6:7], 2
	s_delay_alu instid0(VALU_DEP_1)
	v_lshl_add_u64 v[6:7], v[0:1], 2, v[6:7]
	v_lshlrev_b32_e32 v0, 2, v2
	s_branch .LBB61_4
.LBB61_2:                               ;   in Loop: Header=BB61_4 Depth=1
	global_store_b32 v[8:9], v15, off
.LBB61_3:                               ;   in Loop: Header=BB61_4 Depth=1
	s_wait_xcnt 0x0
	s_or_b32 exec_lo, exec_lo, s1
	s_add_co_i32 s24, s24, 0x10000
	s_delay_alu instid0(SALU_CYCLE_1)
	s_cmp_lt_u32 s24, s2
	s_cbranch_scc0 .LBB61_19
.LBB61_4:                               ; =>This Loop Header: Depth=1
                                        ;     Child Loop BB61_8 Depth 2
                                        ;     Child Loop BB61_15 Depth 2
	s_mul_u64 s[14:15], s[10:11], s[24:25]
	s_and_not1_b32 vcc_lo, exec_lo, s3
	s_lshl_b64 s[14:15], s[14:15], 2
	s_delay_alu instid0(SALU_CYCLE_1)
	s_add_nc_u64 s[22:23], s[4:5], s[14:15]
	s_cbranch_vccnz .LBB61_10
; %bb.5:                                ;   in Loop: Header=BB61_4 Depth=1
	s_and_not1_b32 vcc_lo, exec_lo, s30
	s_cbranch_vccnz .LBB61_11
; %bb.6:                                ;   in Loop: Header=BB61_4 Depth=1
	v_add_nc_u64_e32 v[8:9], s[22:23], v[0:1]
	s_mov_b32 s14, 0
	s_branch .LBB61_8
.LBB61_7:                               ;   in Loop: Header=BB61_8 Depth=2
	s_wait_xcnt 0x0
	s_or_b32 exec_lo, exec_lo, s1
	s_add_co_i32 s14, s14, s28
	s_delay_alu instid0(SALU_CYCLE_1) | instskip(NEXT) | instid1(SALU_CYCLE_1)
	s_ashr_i32 s15, s14, 31
	v_cmp_le_i64_e64 s1, s[20:21], s[14:15]
	s_and_b32 vcc_lo, exec_lo, s1
	s_cbranch_vccnz .LBB61_11
.LBB61_8:                               ;   Parent Loop BB61_4 Depth=1
                                        ; =>  This Inner Loop Header: Depth=2
	v_add_nc_u32_e32 v10, s14, v12
	s_delay_alu instid0(VALU_DEP_1) | instskip(SKIP_1) | instid1(VALU_DEP_2)
	v_ashrrev_i32_e32 v11, 31, v10
	v_cmp_lt_i32_e64 s1, v2, v10
	v_cmp_gt_i64_e32 vcc_lo, s[20:21], v[10:11]
	s_and_b32 s1, s1, vcc_lo
	s_delay_alu instid0(SALU_CYCLE_1) | instskip(NEXT) | instid1(SALU_CYCLE_1)
	s_and_b32 s15, s0, s1
	s_and_saveexec_b32 s1, s15
	s_cbranch_execz .LBB61_7
; %bb.9:                                ;   in Loop: Header=BB61_8 Depth=2
	v_mul_u64_e32 v[16:17], s[8:9], v[10:11]
	s_load_b32 s15, s[16:17], 0xc
	s_wait_kmcnt 0x0
	s_and_b32 s15, s15, 0xffff
	s_delay_alu instid0(SALU_CYCLE_1) | instskip(NEXT) | instid1(VALU_DEP_2)
	v_mul_lo_u32 v10, v10, s15
	v_lshl_add_u64 v[16:17], v[16:17], 2, v[8:9]
	s_delay_alu instid0(VALU_DEP_2)
	v_lshl_add_u32 v10, v10, 2, v14
	global_load_b32 v11, v[16:17], off
	s_wait_loadcnt 0x0
	ds_store_b32 v10, v11
	s_branch .LBB61_7
.LBB61_10:                              ;   in Loop: Header=BB61_4 Depth=1
	s_mov_b64 s[14:15], s[8:9]
	s_and_saveexec_b32 s1, s33
	s_cbranch_execz .LBB61_3
	s_branch .LBB61_12
.LBB61_11:                              ;   in Loop: Header=BB61_4 Depth=1
	s_load_b32 s1, s[16:17], 0xc
	s_mov_b32 s15, s25
	s_mov_b64 s[22:23], s[26:27]
	s_wait_kmcnt 0x0
	s_and_b32 s14, s1, 0xffff
	s_and_saveexec_b32 s1, s33
	s_cbranch_execz .LBB61_3
.LBB61_12:                              ;   in Loop: Header=BB61_4 Depth=1
	s_mul_u64 s[34:35], s[18:19], s[24:25]
	s_and_not1_b32 vcc_lo, exec_lo, s31
	v_lshl_add_u64 v[8:9], s[34:35], 2, v[6:7]
	global_load_b32 v10, v[8:9], off
	s_wait_loadcnt 0x0
	v_mul_f32_e32 v15, s29, v10
	s_cbranch_vccnz .LBB61_2
; %bb.13:                               ;   in Loop: Header=BB61_4 Depth=1
	v_add_nc_u64_e32 v[10:11], s[22:23], v[4:5]
	s_mul_i32 s22, s13, s14
	s_mul_i32 s23, s12, s15
	s_delay_alu instid0(VALU_DEP_1) | instskip(SKIP_1) | instid1(SALU_CYCLE_1)
	v_mad_nc_u64_u32 v[10:11], s12, s14, v[10:11]
	s_lshl_b64 s[14:15], s[14:15], 2
	s_sub_nc_u64 s[14:15], 0, s[14:15]
	s_delay_alu instid0(VALU_DEP_1)
	v_add3_u32 v11, s23, s22, v11
	s_mov_b64 s[22:23], s[6:7]
	s_branch .LBB61_15
.LBB61_14:                              ;   in Loop: Header=BB61_15 Depth=2
	s_wait_xcnt 0x0
	s_or_b32 exec_lo, exec_lo, s34
	s_add_nc_u64 s[34:35], s[22:23], 1
	v_add_nc_u64_e32 v[10:11], s[14:15], v[10:11]
	v_cmp_lt_u64_e64 s34, s[34:35], 3
	s_add_nc_u64 s[22:23], s[22:23], -1
	s_and_b32 vcc_lo, exec_lo, s34
	s_cbranch_vccnz .LBB61_2
.LBB61_15:                              ;   Parent Loop BB61_4 Depth=1
                                        ; =>  This Inner Loop Header: Depth=2
	s_mov_b32 s34, exec_lo
	s_wait_dscnt 0x0
	s_barrier_signal -1
	s_barrier_wait -1
	s_wait_xcnt 0x0
	v_cmpx_eq_u64_e64 s[22:23], v[2:3]
; %bb.16:                               ;   in Loop: Header=BB61_15 Depth=2
	ds_store_b32 v13, v15
; %bb.17:                               ;   in Loop: Header=BB61_15 Depth=2
	s_or_b32 exec_lo, exec_lo, s34
	s_delay_alu instid0(SALU_CYCLE_1)
	s_mov_b32 s34, exec_lo
	s_wait_dscnt 0x0
	s_barrier_signal -1
	s_barrier_wait -1
	v_cmpx_gt_i64_e64 s[22:23], v[2:3]
	s_cbranch_execz .LBB61_14
; %bb.18:                               ;   in Loop: Header=BB61_15 Depth=2
	flat_load_b32 v16, v[10:11]
	ds_load_b32 v17, v13
	s_wait_loadcnt_dscnt 0x0
	v_fma_f32 v15, -v16, v17, v15
	s_branch .LBB61_14
.LBB61_19:
	s_endpgm
	.section	.rodata,"a",@progbits
	.p2align	6, 0x0
	.amdhsa_kernel _ZL40rocblas_trsm_block_backward_substitutionIffPKfPfLb1ELb0ELb1EEv18rocblas_operation_llT0_T1_lllT2_lllib
		.amdhsa_group_segment_fixed_size 0
		.amdhsa_private_segment_fixed_size 0
		.amdhsa_kernarg_size 360
		.amdhsa_user_sgpr_count 2
		.amdhsa_user_sgpr_dispatch_ptr 0
		.amdhsa_user_sgpr_queue_ptr 0
		.amdhsa_user_sgpr_kernarg_segment_ptr 1
		.amdhsa_user_sgpr_dispatch_id 0
		.amdhsa_user_sgpr_kernarg_preload_length 0
		.amdhsa_user_sgpr_kernarg_preload_offset 0
		.amdhsa_user_sgpr_private_segment_size 0
		.amdhsa_wavefront_size32 1
		.amdhsa_uses_dynamic_stack 0
		.amdhsa_enable_private_segment 0
		.amdhsa_system_sgpr_workgroup_id_x 1
		.amdhsa_system_sgpr_workgroup_id_y 1
		.amdhsa_system_sgpr_workgroup_id_z 1
		.amdhsa_system_sgpr_workgroup_info 0
		.amdhsa_system_vgpr_workitem_id 1
		.amdhsa_next_free_vgpr 18
		.amdhsa_next_free_sgpr 36
		.amdhsa_named_barrier_count 0
		.amdhsa_reserve_vcc 1
		.amdhsa_float_round_mode_32 0
		.amdhsa_float_round_mode_16_64 0
		.amdhsa_float_denorm_mode_32 3
		.amdhsa_float_denorm_mode_16_64 3
		.amdhsa_fp16_overflow 0
		.amdhsa_memory_ordered 1
		.amdhsa_forward_progress 1
		.amdhsa_inst_pref_size 7
		.amdhsa_round_robin_scheduling 0
		.amdhsa_exception_fp_ieee_invalid_op 0
		.amdhsa_exception_fp_denorm_src 0
		.amdhsa_exception_fp_ieee_div_zero 0
		.amdhsa_exception_fp_ieee_overflow 0
		.amdhsa_exception_fp_ieee_underflow 0
		.amdhsa_exception_fp_ieee_inexact 0
		.amdhsa_exception_int_div_zero 0
	.end_amdhsa_kernel
	.section	.text._ZL40rocblas_trsm_block_backward_substitutionIffPKfPfLb1ELb0ELb1EEv18rocblas_operation_llT0_T1_lllT2_lllib,"axG",@progbits,_ZL40rocblas_trsm_block_backward_substitutionIffPKfPfLb1ELb0ELb1EEv18rocblas_operation_llT0_T1_lllT2_lllib,comdat
.Lfunc_end61:
	.size	_ZL40rocblas_trsm_block_backward_substitutionIffPKfPfLb1ELb0ELb1EEv18rocblas_operation_llT0_T1_lllT2_lllib, .Lfunc_end61-_ZL40rocblas_trsm_block_backward_substitutionIffPKfPfLb1ELb0ELb1EEv18rocblas_operation_llT0_T1_lllT2_lllib
                                        ; -- End function
	.set _ZL40rocblas_trsm_block_backward_substitutionIffPKfPfLb1ELb0ELb1EEv18rocblas_operation_llT0_T1_lllT2_lllib.num_vgpr, 18
	.set _ZL40rocblas_trsm_block_backward_substitutionIffPKfPfLb1ELb0ELb1EEv18rocblas_operation_llT0_T1_lllT2_lllib.num_agpr, 0
	.set _ZL40rocblas_trsm_block_backward_substitutionIffPKfPfLb1ELb0ELb1EEv18rocblas_operation_llT0_T1_lllT2_lllib.numbered_sgpr, 36
	.set _ZL40rocblas_trsm_block_backward_substitutionIffPKfPfLb1ELb0ELb1EEv18rocblas_operation_llT0_T1_lllT2_lllib.num_named_barrier, 0
	.set _ZL40rocblas_trsm_block_backward_substitutionIffPKfPfLb1ELb0ELb1EEv18rocblas_operation_llT0_T1_lllT2_lllib.private_seg_size, 0
	.set _ZL40rocblas_trsm_block_backward_substitutionIffPKfPfLb1ELb0ELb1EEv18rocblas_operation_llT0_T1_lllT2_lllib.uses_vcc, 1
	.set _ZL40rocblas_trsm_block_backward_substitutionIffPKfPfLb1ELb0ELb1EEv18rocblas_operation_llT0_T1_lllT2_lllib.uses_flat_scratch, 0
	.set _ZL40rocblas_trsm_block_backward_substitutionIffPKfPfLb1ELb0ELb1EEv18rocblas_operation_llT0_T1_lllT2_lllib.has_dyn_sized_stack, 0
	.set _ZL40rocblas_trsm_block_backward_substitutionIffPKfPfLb1ELb0ELb1EEv18rocblas_operation_llT0_T1_lllT2_lllib.has_recursion, 0
	.set _ZL40rocblas_trsm_block_backward_substitutionIffPKfPfLb1ELb0ELb1EEv18rocblas_operation_llT0_T1_lllT2_lllib.has_indirect_call, 0
	.section	.AMDGPU.csdata,"",@progbits
; Kernel info:
; codeLenInByte = 868
; TotalNumSgprs: 38
; NumVgprs: 18
; ScratchSize: 0
; MemoryBound: 0
; FloatMode: 240
; IeeeMode: 1
; LDSByteSize: 0 bytes/workgroup (compile time only)
; SGPRBlocks: 0
; VGPRBlocks: 1
; NumSGPRsForWavesPerEU: 38
; NumVGPRsForWavesPerEU: 18
; NamedBarCnt: 0
; Occupancy: 16
; WaveLimiterHint : 0
; COMPUTE_PGM_RSRC2:SCRATCH_EN: 0
; COMPUTE_PGM_RSRC2:USER_SGPR: 2
; COMPUTE_PGM_RSRC2:TRAP_HANDLER: 0
; COMPUTE_PGM_RSRC2:TGID_X_EN: 1
; COMPUTE_PGM_RSRC2:TGID_Y_EN: 1
; COMPUTE_PGM_RSRC2:TGID_Z_EN: 1
; COMPUTE_PGM_RSRC2:TIDIG_COMP_CNT: 1
	.section	.text._ZL26setup_batched_array_kernelILi128EfEvPT0_lPS1_,"axG",@progbits,_ZL26setup_batched_array_kernelILi128EfEvPT0_lPS1_,comdat
	.globl	_ZL26setup_batched_array_kernelILi128EfEvPT0_lPS1_ ; -- Begin function _ZL26setup_batched_array_kernelILi128EfEvPT0_lPS1_
	.p2align	8
	.type	_ZL26setup_batched_array_kernelILi128EfEvPT0_lPS1_,@function
_ZL26setup_batched_array_kernelILi128EfEvPT0_lPS1_: ; @_ZL26setup_batched_array_kernelILi128EfEvPT0_lPS1_
; %bb.0:
	s_load_b128 s[4:7], s[0:1], 0x0
	s_bfe_u32 s2, ttmp6, 0x4000c
	s_wait_xcnt 0x0
	s_load_b64 s[0:1], s[0:1], 0x10
	s_add_co_i32 s2, s2, 1
	s_and_b32 s3, ttmp6, 15
	s_mul_i32 s2, ttmp9, s2
	s_getreg_b32 s8, hwreg(HW_REG_IB_STS2, 6, 4)
	s_add_co_i32 s2, s3, s2
	s_cmp_eq_u32 s8, 0
	s_mov_b32 s3, 0
	s_cselect_b32 s2, ttmp9, s2
	s_delay_alu instid0(SALU_CYCLE_1) | instskip(SKIP_2) | instid1(SALU_CYCLE_1)
	v_mov_b32_e32 v2, s2
	s_wait_kmcnt 0x0
	s_mul_u64 s[6:7], s[6:7], s[2:3]
	s_lshl_b64 s[6:7], s[6:7], 2
	s_delay_alu instid0(SALU_CYCLE_1) | instskip(NEXT) | instid1(SALU_CYCLE_1)
	s_add_nc_u64 s[4:5], s[4:5], s[6:7]
	v_mov_b64_e32 v[0:1], s[4:5]
	global_store_b64 v2, v[0:1], s[0:1] scale_offset
	s_endpgm
	.section	.rodata,"a",@progbits
	.p2align	6, 0x0
	.amdhsa_kernel _ZL26setup_batched_array_kernelILi128EfEvPT0_lPS1_
		.amdhsa_group_segment_fixed_size 0
		.amdhsa_private_segment_fixed_size 0
		.amdhsa_kernarg_size 24
		.amdhsa_user_sgpr_count 2
		.amdhsa_user_sgpr_dispatch_ptr 0
		.amdhsa_user_sgpr_queue_ptr 0
		.amdhsa_user_sgpr_kernarg_segment_ptr 1
		.amdhsa_user_sgpr_dispatch_id 0
		.amdhsa_user_sgpr_kernarg_preload_length 0
		.amdhsa_user_sgpr_kernarg_preload_offset 0
		.amdhsa_user_sgpr_private_segment_size 0
		.amdhsa_wavefront_size32 1
		.amdhsa_uses_dynamic_stack 0
		.amdhsa_enable_private_segment 0
		.amdhsa_system_sgpr_workgroup_id_x 1
		.amdhsa_system_sgpr_workgroup_id_y 0
		.amdhsa_system_sgpr_workgroup_id_z 0
		.amdhsa_system_sgpr_workgroup_info 0
		.amdhsa_system_vgpr_workitem_id 0
		.amdhsa_next_free_vgpr 3
		.amdhsa_next_free_sgpr 9
		.amdhsa_named_barrier_count 0
		.amdhsa_reserve_vcc 0
		.amdhsa_float_round_mode_32 0
		.amdhsa_float_round_mode_16_64 0
		.amdhsa_float_denorm_mode_32 3
		.amdhsa_float_denorm_mode_16_64 3
		.amdhsa_fp16_overflow 0
		.amdhsa_memory_ordered 1
		.amdhsa_forward_progress 1
		.amdhsa_inst_pref_size 1
		.amdhsa_round_robin_scheduling 0
		.amdhsa_exception_fp_ieee_invalid_op 0
		.amdhsa_exception_fp_denorm_src 0
		.amdhsa_exception_fp_ieee_div_zero 0
		.amdhsa_exception_fp_ieee_overflow 0
		.amdhsa_exception_fp_ieee_underflow 0
		.amdhsa_exception_fp_ieee_inexact 0
		.amdhsa_exception_int_div_zero 0
	.end_amdhsa_kernel
	.section	.text._ZL26setup_batched_array_kernelILi128EfEvPT0_lPS1_,"axG",@progbits,_ZL26setup_batched_array_kernelILi128EfEvPT0_lPS1_,comdat
.Lfunc_end62:
	.size	_ZL26setup_batched_array_kernelILi128EfEvPT0_lPS1_, .Lfunc_end62-_ZL26setup_batched_array_kernelILi128EfEvPT0_lPS1_
                                        ; -- End function
	.set _ZL26setup_batched_array_kernelILi128EfEvPT0_lPS1_.num_vgpr, 3
	.set _ZL26setup_batched_array_kernelILi128EfEvPT0_lPS1_.num_agpr, 0
	.set _ZL26setup_batched_array_kernelILi128EfEvPT0_lPS1_.numbered_sgpr, 9
	.set _ZL26setup_batched_array_kernelILi128EfEvPT0_lPS1_.num_named_barrier, 0
	.set _ZL26setup_batched_array_kernelILi128EfEvPT0_lPS1_.private_seg_size, 0
	.set _ZL26setup_batched_array_kernelILi128EfEvPT0_lPS1_.uses_vcc, 0
	.set _ZL26setup_batched_array_kernelILi128EfEvPT0_lPS1_.uses_flat_scratch, 0
	.set _ZL26setup_batched_array_kernelILi128EfEvPT0_lPS1_.has_dyn_sized_stack, 0
	.set _ZL26setup_batched_array_kernelILi128EfEvPT0_lPS1_.has_recursion, 0
	.set _ZL26setup_batched_array_kernelILi128EfEvPT0_lPS1_.has_indirect_call, 0
	.section	.AMDGPU.csdata,"",@progbits
; Kernel info:
; codeLenInByte = 108
; TotalNumSgprs: 9
; NumVgprs: 3
; ScratchSize: 0
; MemoryBound: 0
; FloatMode: 240
; IeeeMode: 1
; LDSByteSize: 0 bytes/workgroup (compile time only)
; SGPRBlocks: 0
; VGPRBlocks: 0
; NumSGPRsForWavesPerEU: 9
; NumVGPRsForWavesPerEU: 3
; NamedBarCnt: 0
; Occupancy: 16
; WaveLimiterHint : 0
; COMPUTE_PGM_RSRC2:SCRATCH_EN: 0
; COMPUTE_PGM_RSRC2:USER_SGPR: 2
; COMPUTE_PGM_RSRC2:TRAP_HANDLER: 0
; COMPUTE_PGM_RSRC2:TGID_X_EN: 1
; COMPUTE_PGM_RSRC2:TGID_Y_EN: 0
; COMPUTE_PGM_RSRC2:TGID_Z_EN: 0
; COMPUTE_PGM_RSRC2:TIDIG_COMP_CNT: 0
	.section	.text._ZL25rocblas_trtri_trsm_kernelILi128ELi16ELi8EfPKfPfEv13rocblas_fill_17rocblas_diagonal_T3_lilT4_lli,"axG",@progbits,_ZL25rocblas_trtri_trsm_kernelILi128ELi16ELi8EfPKfPfEv13rocblas_fill_17rocblas_diagonal_T3_lilT4_lli,comdat
	.globl	_ZL25rocblas_trtri_trsm_kernelILi128ELi16ELi8EfPKfPfEv13rocblas_fill_17rocblas_diagonal_T3_lilT4_lli ; -- Begin function _ZL25rocblas_trtri_trsm_kernelILi128ELi16ELi8EfPKfPfEv13rocblas_fill_17rocblas_diagonal_T3_lilT4_lli
	.p2align	8
	.type	_ZL25rocblas_trtri_trsm_kernelILi128ELi16ELi8EfPKfPfEv13rocblas_fill_17rocblas_diagonal_T3_lilT4_lli,@function
_ZL25rocblas_trtri_trsm_kernelILi128ELi16ELi8EfPKfPfEv13rocblas_fill_17rocblas_diagonal_T3_lilT4_lli: ; @_ZL25rocblas_trtri_trsm_kernelILi128ELi16ELi8EfPKfPfEv13rocblas_fill_17rocblas_diagonal_T3_lilT4_lli
; %bb.0:
	s_load_b32 s41, s[0:1], 0x40
	s_bfe_u32 s2, ttmp6, 0x40014
	s_lshr_b32 s3, ttmp7, 16
	s_add_co_i32 s2, s2, 1
	s_bfe_u32 s4, ttmp6, 0x40008
	s_mul_i32 s2, s3, s2
	s_getreg_b32 s8, hwreg(HW_REG_IB_STS2, 6, 4)
	s_add_co_i32 s4, s4, s2
	s_cmp_eq_u32 s8, 0
	s_mov_b32 s53, 0
	s_cselect_b32 s42, s3, s4
	s_wait_kmcnt 0x0
	s_cmp_ge_u32 s42, s41
	s_cbranch_scc1 .LBB63_153
; %bb.1:
	s_clause 0x3
	s_load_b32 s54, s[0:1], 0x18
	s_load_b128 s[4:7], s[0:1], 0x8
	s_load_b64 s[2:3], s[0:1], 0x0
	s_load_b256 s[44:51], s[0:1], 0x20
	s_wait_xcnt 0x0
	v_cmp_gt_u32_e64 s1, 32, v0
	v_cmp_gt_u32_e32 vcc_lo, 16, v0
	v_dual_lshrrev_b32 v14, 4, v0 :: v_dual_bitop2_b32 v13, 15, v0 bitop3:0x40
	s_bfe_u32 s10, ttmp6, 0x4000c
	v_cndmask_b32_e64 v1, 0, 0xc00, s1
	s_add_co_i32 s10, s10, 1
	s_delay_alu instid0(VALU_DEP_2)
	v_lshlrev_b32_e32 v16, 2, v13
	s_and_b32 s9, ttmp6, 15
	s_mul_i32 s10, ttmp9, s10
	v_cndmask_b32_e64 v9, v1, 0x800, vcc_lo
	v_cndmask_b32_e64 v1, 0xffffffe0, -16, s1
	s_add_co_i32 s9, s9, s10
	v_cmp_lt_u32_e64 s0, 31, v0
	v_bitop3_b32 v10, v0, 0xf0, v0 bitop3:0xc
	v_lshl_or_b32 v17, v0, 2, 0x400
	v_cndmask_b32_e64 v1, v1, 0, vcc_lo
	s_wait_kmcnt 0x0
	s_ashr_i32 s55, s54, 31
	s_cmp_eq_u32 s8, 0
	v_cndmask_b32_e64 v6, 0x810, 0, vcc_lo
	s_cselect_b32 s43, ttmp9, s9
	v_dual_mov_b32 v1, 0 :: v_dual_add_nc_u32 v4, v0, v1
	s_lshl_b64 s[56:57], s[54:55], 4
	s_lshl_b32 s52, s43, 1
	s_add_nc_u64 s[8:9], s[56:57], 16
	s_and_b32 s12, s52, 6
	v_mov_b32_e32 v5, v1
	v_sub_nc_u32_e32 v7, 0xffffff10, v4
	v_sub_nc_u32_e32 v8, 0xffffff20, v4
	s_mul_u64 s[10:11], s[8:9], s[52:53]
	s_bfe_u32 s52, s43, 0x1d0002
	v_dual_lshlrev_b32 v18, 2, v4 :: v_dual_sub_nc_u32 v11, -16, v4
	v_lshl_add_u32 v19, v7, 2, v9
	v_sub_nc_u32_e32 v7, 0xffffff30, v4
	v_lshl_add_u32 v20, v8, 2, v9
	v_sub_nc_u32_e32 v8, 0xffffff40, v4
	s_lshl_b64 s[6:7], s[6:7], 2
	s_lshl_b64 s[90:91], s[48:49], 2
	v_lshl_add_u32 v21, v7, 2, v9
	v_sub_nc_u32_e32 v7, 0xffffff50, v4
	v_lshl_add_u32 v22, v8, 2, v9
	v_sub_nc_u32_e32 v8, 0xffffff60, v4
	s_lshl_b64 s[10:11], s[10:11], 2
	s_lshl_b64 s[92:93], s[52:53], 16
	v_lshl_add_u32 v23, v7, 2, v9
	v_sub_nc_u32_e32 v7, 0xffffff70, v4
	v_lshl_add_u32 v24, v8, 2, v9
	v_sub_nc_u32_e32 v8, 0xffffff80, v4
	s_cmp_lg_u32 s2, 0x7a
	s_mul_i32 s52, s12, 0x2040
	v_lshl_add_u32 v25, v7, 2, v9
	v_sub_nc_u32_e32 v7, 0xffffff90, v4
	v_lshl_add_u32 v26, v8, 2, v9
	v_sub_nc_u32_e32 v8, 0xffffffa0, v4
	s_cselect_b32 s96, -1, 0
	s_lshl_b64 s[60:61], s[54:55], 6
	v_lshl_add_u32 v27, v7, 2, v9
	v_sub_nc_u32_e32 v7, 0xffffffb0, v4
	v_lshl_add_u32 v28, v8, 2, v9
	v_sub_nc_u32_e32 v8, 0xffffffc0, v4
	s_lshl_b64 s[76:77], s[54:55], 5
	s_lshl_b64 s[86:87], s[54:55], 3
	v_lshl_add_u32 v29, v7, 2, v9
	v_sub_nc_u32_e32 v7, 0xffffffd0, v4
	v_lshl_add_u32 v30, v8, 2, v9
	v_sub_nc_u32_e32 v8, 0xffffffe0, v4
	s_add_nc_u64 s[12:13], s[46:47], s[92:93]
	v_cmp_gt_u32_e64 s2, 48, v0
	v_lshl_add_u32 v31, v7, 2, v9
	v_lshlrev_b32_e32 v7, 6, v4
	v_lshl_add_u32 v32, v8, 2, v9
	v_mul_i32_i24_e32 v8, 0x44, v4
	s_cmp_lg_u32 s3, 0x84
	v_cmp_gt_u32_e64 s3, 0x100, v0
	v_bitop3_b32 v0, v0, 15, v0 bitop3:0xc
	v_lshl_add_u32 v33, v11, 2, v9
	v_dual_sub_nc_u32 v11, 16, v4 :: v_dual_sub_nc_u32 v15, v8, v7
	v_or_b32_e32 v42, 4, v9
	s_add_nc_u64 s[4:5], s[4:5], s[10:11]
	s_add_nc_u64 s[10:11], s[12:13], s[52:53]
	s_cselect_b32 s97, -1, 0
	s_and_b32 s52, s43, 3
	v_mad_i32_i24 v36, 0x44, v4, v9
	s_mul_u64 s[94:95], s[52:53], 0x4080
	v_dual_add_nc_u32 v45, 1, v14 :: v_dual_bitop2_b32 v38, 30, v11 bitop3:0x40
	v_dual_add_nc_u32 v41, v9, v15 :: v_dual_lshlrev_b32 v49, 2, v0
	v_dual_lshlrev_b32 v0, 2, v6 :: v_dual_lshlrev_b32 v50, 6, v13
	s_or_b64 s[92:93], s[92:93], s[94:95]
	s_add_nc_u64 s[58:59], s[10:11], s[90:91]
	s_add_nc_u64 s[90:91], s[90:91], s[92:93]
	v_dual_sub_nc_u32 v37, v36, v7 :: v_dual_add_nc_u32 v39, 1, v4
	v_cndmask_b32_e64 v3, s9, 0, vcc_lo
	v_cndmask_b32_e64 v2, s8, 0, vcc_lo
	v_cmp_lt_u32_e32 vcc_lo, 1, v11
	v_cmp_ne_u32_e64 s38, v11, v38
	v_lshl_or_b32 v46, v10, 2, 0xc3c
	v_add_nc_u64_e32 v[10:11], s[90:91], v[0:1]
	v_dual_lshlrev_b32 v15, 6, v14 :: v_dual_bitop2_b32 v40, -2, v39 bitop3:0x40
	v_lshl_or_b32 v12, v14, 7, v13
	v_dual_sub_nc_u32 v34, v9, v18 :: v_dual_add_nc_u32 v35, v9, v18
	s_delay_alu instid0(VALU_DEP_3) | instskip(SKIP_4) | instid1(VALU_DEP_3)
	v_dual_lshlrev_b32 v51, 2, v14 :: v_dual_bitop2_b32 v47, v15, v16 bitop3:0x54
	v_lshl_add_u64 v[10:11], v[4:5], 2, v[10:11]
	v_dual_sub_nc_u32 v0, v49, v50 :: v_dual_add_nc_u32 v53, 1, v13
	s_add_nc_u64 s[48:49], s[4:5], s[6:7]
	v_cmp_gt_u32_e64 s4, 16, v4
	v_add_nc_u64_e32 v[10:11], s[46:47], v[10:11]
	v_cmp_gt_u32_e64 s5, 15, v4
	v_cmp_gt_u32_e64 s6, 14, v4
	;; [unrolled: 1-line block ×14, first 2 shown]
	v_cmp_eq_u32_e64 s19, 0, v4
	v_cmp_ne_u32_e64 s20, 0, v4
	v_cmp_lt_u32_e64 s21, 1, v4
	v_cmp_lt_u32_e64 s22, 2, v4
	;; [unrolled: 1-line block ×14, first 2 shown]
	v_cmp_gt_i32_e64 s36, 16, v4
	v_cmp_lt_i32_e64 s37, -1, v4
	v_dual_mov_b32 v8, v4 :: v_dual_mov_b32 v7, v4
	v_cmp_lt_u32_e64 s39, 1, v39
	v_cmp_ne_u32_e64 s40, v39, v40
	v_or_b32_e32 v43, 0x48, v9
	v_add_nc_u32_e32 v44, 0x80, v41
	v_dual_add_nc_u32 v48, -1, v14 :: v_dual_add_nc_u32 v50, -1, v13
	v_or3_b32 v49, v15, v51, 0x800
	v_or_b32_e32 v51, 0x400, v47
	v_add_nc_u32_e32 v52, 0xbc0, v0
	v_or_b32_e32 v54, 0x400, v15
	v_or_b32_e32 v55, 0xc00, v16
	v_add_nc_u32_e32 v56, 0x3fc, v34
	v_lshlrev_b32_e32 v12, 2, v12
	s_lshl_b64 s[88:89], s[54:55], 2
	s_mul_u64 s[62:63], s[54:55], 60
	s_mul_u64 s[64:65], s[54:55], 56
	;; [unrolled: 1-line block ×11, first 2 shown]
	s_and_b32 s98, vcc_lo, s4
	s_sub_nc_u64 s[46:47], 0, s[88:89]
	s_lshl_b64 s[90:91], s[50:51], 2
	s_branch .LBB63_3
.LBB63_2:                               ;   in Loop: Header=BB63_3 Depth=1
	s_or_b32 exec_lo, exec_lo, s43
	s_add_co_i32 s42, s42, 0x10000
	s_delay_alu instid0(SALU_CYCLE_1)
	s_cmp_lt_u32 s42, s41
	s_cbranch_scc0 .LBB63_153
.LBB63_3:                               ; =>This Loop Header: Depth=1
                                        ;     Child Loop BB63_86 Depth 2
                                        ;       Child Loop BB63_92 Depth 3
                                        ;       Child Loop BB63_101 Depth 3
                                        ;     Child Loop BB63_108 Depth 2
                                        ;     Child Loop BB63_114 Depth 2
	;; [unrolled: 1-line block ×8, first 2 shown]
	s_mov_b32 s43, s53
	s_delay_alu instid0(SALU_CYCLE_1) | instskip(NEXT) | instid1(SALU_CYCLE_1)
	s_mul_u64 s[92:93], s[44:45], s[42:43]
	s_lshl_b64 s[92:93], s[92:93], 2
	s_delay_alu instid0(SALU_CYCLE_1) | instskip(SKIP_1) | instid1(SALU_CYCLE_1)
	s_add_nc_u64 s[92:93], s[48:49], s[92:93]
	s_and_saveexec_b32 s52, s0
	s_xor_b32 s52, exec_lo, s52
	s_cbranch_execz .LBB63_10
; %bb.4:                                ;   in Loop: Header=BB63_3 Depth=1
	s_and_saveexec_b32 s94, s2
	s_cbranch_execz .LBB63_9
; %bb.5:                                ;   in Loop: Header=BB63_3 Depth=1
	s_and_not1_b32 vcc_lo, exec_lo, s96
	s_mov_b32 s95, -1
	s_cbranch_vccnz .LBB63_7
; %bb.6:                                ;   in Loop: Header=BB63_3 Depth=1
	s_add_nc_u64 s[100:101], s[92:93], s[60:61]
	s_mov_b32 s95, 0
	v_lshl_add_u64 v[14:15], v[4:5], 2, s[100:101]
	s_delay_alu instid0(VALU_DEP_1)
	v_add_nc_u64_e32 v[58:59], s[62:63], v[14:15]
	global_load_b32 v0, v[58:59], off
	s_wait_xcnt 0x0
	v_add_nc_u64_e32 v[58:59], s[46:47], v[58:59]
	global_load_b32 v13, v[58:59], off
	s_wait_xcnt 0x0
	v_add_nc_u64_e32 v[58:59], s[46:47], v[58:59]
	s_wait_loadcnt 0x0
	ds_store_2addr_b32 v18, v13, v0 offset0:224 offset1:240
	global_load_b32 v0, v[58:59], off
	s_wait_xcnt 0x0
	v_add_nc_u64_e32 v[58:59], s[46:47], v[58:59]
	global_load_b32 v13, v[58:59], off
	s_wait_xcnt 0x0
	v_add_nc_u64_e32 v[58:59], s[46:47], v[58:59]
	s_wait_loadcnt 0x0
	ds_store_2addr_b32 v18, v13, v0 offset0:192 offset1:208
	;; [unrolled: 8-line block ×7, first 2 shown]
	global_load_b32 v0, v[58:59], off
	global_load_b32 v13, v[14:15], off
	s_wait_loadcnt 0x0
	ds_store_2addr_b32 v18, v13, v0 offset1:16
.LBB63_7:                               ;   in Loop: Header=BB63_3 Depth=1
	s_and_not1_b32 vcc_lo, exec_lo, s95
	s_cbranch_vccnz .LBB63_9
; %bb.8:                                ;   in Loop: Header=BB63_3 Depth=1
	s_wait_xcnt 0x0
	v_lshl_add_u64 v[14:15], v[4:5], 2, s[92:93]
	global_load_b32 v0, v[14:15], off offset:64
	s_wait_xcnt 0x0
	v_lshl_add_u64 v[14:15], s[54:55], 2, v[14:15]
	global_load_b32 v13, v[14:15], off offset:64
	s_wait_xcnt 0x0
	v_add_nc_u64_e32 v[14:15], s[88:89], v[14:15]
	s_wait_loadcnt 0x0
	ds_store_2addr_b32 v18, v0, v13 offset1:16
	global_load_b32 v0, v[14:15], off offset:64
	s_wait_xcnt 0x0
	v_add_nc_u64_e32 v[14:15], s[88:89], v[14:15]
	global_load_b32 v13, v[14:15], off offset:64
	s_wait_xcnt 0x0
	v_add_nc_u64_e32 v[14:15], s[88:89], v[14:15]
	s_wait_loadcnt 0x0
	ds_store_2addr_b32 v18, v0, v13 offset0:32 offset1:48
	global_load_b32 v0, v[14:15], off offset:64
	s_wait_xcnt 0x0
	v_add_nc_u64_e32 v[14:15], s[88:89], v[14:15]
	global_load_b32 v13, v[14:15], off offset:64
	s_wait_xcnt 0x0
	v_add_nc_u64_e32 v[14:15], s[88:89], v[14:15]
	s_wait_loadcnt 0x0
	ds_store_2addr_b32 v18, v0, v13 offset0:64 offset1:80
	;; [unrolled: 8-line block ×6, first 2 shown]
	global_load_b32 v0, v[14:15], off offset:64
	s_wait_xcnt 0x0
	v_add_nc_u64_e32 v[14:15], s[88:89], v[14:15]
	global_load_b32 v13, v[14:15], off offset:64
	s_wait_loadcnt 0x0
	ds_store_2addr_b32 v18, v0, v13 offset0:224 offset1:240
.LBB63_9:                               ;   in Loop: Header=BB63_3 Depth=1
	s_wait_xcnt 0x0
	s_or_b32 exec_lo, exec_lo, s94
.LBB63_10:                              ;   in Loop: Header=BB63_3 Depth=1
	s_and_not1_saveexec_b32 s52, s52
	s_cbranch_execz .LBB63_77
; %bb.11:                               ;   in Loop: Header=BB63_3 Depth=1
	v_lshl_add_u64 v[14:15], v[2:3], 2, s[92:93]
	s_and_not1_b32 vcc_lo, exec_lo, s96
	s_mov_b32 s92, -1
	s_delay_alu instid0(VALU_DEP_1)
	v_lshl_add_u64 v[14:15], v[4:5], 2, v[14:15]
	s_cbranch_vccnz .LBB63_45
; %bb.12:                               ;   in Loop: Header=BB63_3 Depth=1
	v_dual_mov_b32 v0, 0 :: v_dual_mov_b32 v13, 0
	s_and_saveexec_b32 s92, s4
	s_cbranch_execz .LBB63_14
; %bb.13:                               ;   in Loop: Header=BB63_3 Depth=1
	v_add_nc_u64_e32 v[58:59], s[62:63], v[14:15]
	global_load_b32 v13, v[58:59], off
.LBB63_14:                              ;   in Loop: Header=BB63_3 Depth=1
	s_wait_xcnt 0x0
	s_or_b32 exec_lo, exec_lo, s92
	s_wait_loadcnt 0x0
	ds_store_b32 v19, v13 offset:1020
	s_and_saveexec_b32 s92, s5
	s_cbranch_execz .LBB63_16
; %bb.15:                               ;   in Loop: Header=BB63_3 Depth=1
	v_add_nc_u64_e32 v[58:59], s[64:65], v[14:15]
	global_load_b32 v0, v[58:59], off
.LBB63_16:                              ;   in Loop: Header=BB63_3 Depth=1
	s_wait_xcnt 0x0
	s_or_b32 exec_lo, exec_lo, s92
	v_dual_mov_b32 v13, 0 :: v_dual_mov_b32 v57, 0
	s_wait_loadcnt 0x0
	ds_store_b32 v20, v0 offset:1020
	s_and_saveexec_b32 s92, s6
	s_cbranch_execz .LBB63_18
; %bb.17:                               ;   in Loop: Header=BB63_3 Depth=1
	v_add_nc_u64_e32 v[58:59], s[66:67], v[14:15]
	global_load_b32 v57, v[58:59], off
.LBB63_18:                              ;   in Loop: Header=BB63_3 Depth=1
	s_wait_xcnt 0x0
	s_or_b32 exec_lo, exec_lo, s92
	s_wait_loadcnt 0x0
	ds_store_b32 v21, v57 offset:1020
	s_and_saveexec_b32 s92, s7
	s_cbranch_execz .LBB63_20
; %bb.19:                               ;   in Loop: Header=BB63_3 Depth=1
	v_add_nc_u64_e32 v[58:59], s[68:69], v[14:15]
	global_load_b32 v13, v[58:59], off
.LBB63_20:                              ;   in Loop: Header=BB63_3 Depth=1
	s_wait_xcnt 0x0
	s_or_b32 exec_lo, exec_lo, s92
	v_dual_mov_b32 v0, 0 :: v_dual_mov_b32 v57, 0
	s_wait_loadcnt 0x0
	ds_store_b32 v22, v13 offset:1020
	;; [unrolled: 21-line block ×7, first 2 shown]
	s_and_saveexec_b32 s92, s18
	s_cbranch_execz .LBB63_42
; %bb.41:                               ;   in Loop: Header=BB63_3 Depth=1
	v_lshl_add_u64 v[58:59], s[54:55], 2, v[14:15]
	global_load_b32 v57, v[58:59], off
.LBB63_42:                              ;   in Loop: Header=BB63_3 Depth=1
	s_wait_xcnt 0x0
	s_or_b32 exec_lo, exec_lo, s92
	s_wait_loadcnt 0x0
	ds_store_b32 v33, v57 offset:1020
	s_and_saveexec_b32 s92, s19
	s_cbranch_execz .LBB63_44
; %bb.43:                               ;   in Loop: Header=BB63_3 Depth=1
	global_load_b32 v13, v[14:15], off
.LBB63_44:                              ;   in Loop: Header=BB63_3 Depth=1
	s_wait_xcnt 0x0
	s_or_b32 exec_lo, exec_lo, s92
	s_mov_b32 s92, 0
	s_wait_loadcnt 0x0
	ds_store_b32 v34, v13 offset:1020
.LBB63_45:                              ;   in Loop: Header=BB63_3 Depth=1
	s_and_b32 vcc_lo, exec_lo, s92
	s_cbranch_vccz .LBB63_77
; %bb.46:                               ;   in Loop: Header=BB63_3 Depth=1
	global_load_b32 v57, v[14:15], off
	v_dual_mov_b32 v0, 0 :: v_dual_mov_b32 v13, 0
	s_wait_loadcnt 0x0
	ds_store_b32 v35, v57
	s_wait_xcnt 0x0
	s_and_saveexec_b32 s92, s20
	s_cbranch_execz .LBB63_48
; %bb.47:                               ;   in Loop: Header=BB63_3 Depth=1
	v_lshl_add_u64 v[58:59], s[54:55], 2, v[14:15]
	global_load_b32 v13, v[58:59], off
.LBB63_48:                              ;   in Loop: Header=BB63_3 Depth=1
	s_wait_xcnt 0x0
	s_or_b32 exec_lo, exec_lo, s92
	s_wait_loadcnt 0x0
	ds_store_b32 v35, v13 offset:64
	s_and_saveexec_b32 s92, s21
	s_cbranch_execz .LBB63_50
; %bb.49:                               ;   in Loop: Header=BB63_3 Depth=1
	v_add_nc_u64_e32 v[58:59], s[86:87], v[14:15]
	global_load_b32 v0, v[58:59], off
.LBB63_50:                              ;   in Loop: Header=BB63_3 Depth=1
	s_wait_xcnt 0x0
	s_or_b32 exec_lo, exec_lo, s92
	v_dual_mov_b32 v13, 0 :: v_dual_mov_b32 v57, 0
	s_wait_loadcnt 0x0
	ds_store_b32 v35, v0 offset:128
	s_and_saveexec_b32 s92, s22
	s_cbranch_execz .LBB63_52
; %bb.51:                               ;   in Loop: Header=BB63_3 Depth=1
	v_add_nc_u64_e32 v[58:59], s[84:85], v[14:15]
	global_load_b32 v57, v[58:59], off
.LBB63_52:                              ;   in Loop: Header=BB63_3 Depth=1
	s_wait_xcnt 0x0
	s_or_b32 exec_lo, exec_lo, s92
	s_wait_loadcnt 0x0
	ds_store_b32 v35, v57 offset:192
	s_and_saveexec_b32 s92, s23
	s_cbranch_execz .LBB63_54
; %bb.53:                               ;   in Loop: Header=BB63_3 Depth=1
	v_add_nc_u64_e32 v[58:59], s[56:57], v[14:15]
	global_load_b32 v13, v[58:59], off
.LBB63_54:                              ;   in Loop: Header=BB63_3 Depth=1
	s_wait_xcnt 0x0
	s_or_b32 exec_lo, exec_lo, s92
	v_dual_mov_b32 v0, 0 :: v_dual_mov_b32 v57, 0
	s_wait_loadcnt 0x0
	ds_store_b32 v35, v13 offset:256
	s_and_saveexec_b32 s92, s24
	s_cbranch_execz .LBB63_56
; %bb.55:                               ;   in Loop: Header=BB63_3 Depth=1
	v_add_nc_u64_e32 v[58:59], s[82:83], v[14:15]
	global_load_b32 v57, v[58:59], off
.LBB63_56:                              ;   in Loop: Header=BB63_3 Depth=1
	;; [unrolled: 21-line block ×6, first 2 shown]
	s_wait_xcnt 0x0
	s_or_b32 exec_lo, exec_lo, s92
	s_wait_loadcnt 0x0
	ds_store_b32 v35, v57 offset:832
	s_and_saveexec_b32 s92, s34
	s_cbranch_execz .LBB63_74
; %bb.73:                               ;   in Loop: Header=BB63_3 Depth=1
	v_add_nc_u64_e32 v[58:59], s[64:65], v[14:15]
	global_load_b32 v0, v[58:59], off
.LBB63_74:                              ;   in Loop: Header=BB63_3 Depth=1
	s_wait_xcnt 0x0
	s_or_b32 exec_lo, exec_lo, s92
	v_mov_b32_e32 v13, 0
	s_wait_loadcnt 0x0
	ds_store_b32 v35, v0 offset:896
	s_and_saveexec_b32 s92, s35
	s_cbranch_execz .LBB63_76
; %bb.75:                               ;   in Loop: Header=BB63_3 Depth=1
	v_add_nc_u64_e32 v[14:15], s[62:63], v[14:15]
	global_load_b32 v13, v[14:15], off
.LBB63_76:                              ;   in Loop: Header=BB63_3 Depth=1
	s_wait_xcnt 0x0
	s_or_b32 exec_lo, exec_lo, s92
	s_wait_loadcnt 0x0
	ds_store_b32 v35, v13 offset:960
.LBB63_77:                              ;   in Loop: Header=BB63_3 Depth=1
	s_or_b32 exec_lo, exec_lo, s52
	s_wait_dscnt 0x0
	s_barrier_signal -1
	s_barrier_wait -1
	s_and_saveexec_b32 s52, s1
	s_cbranch_execz .LBB63_83
; %bb.78:                               ;   in Loop: Header=BB63_3 Depth=1
	v_mov_b32_e32 v13, 1.0
	s_and_not1_b32 vcc_lo, exec_lo, s97
	s_cbranch_vccnz .LBB63_82
; %bb.79:                               ;   in Loop: Header=BB63_3 Depth=1
	ds_load_b32 v0, v36
	v_mov_b32_e32 v13, 1.0
	s_mov_b32 s92, exec_lo
	s_wait_dscnt 0x0
	v_cmpx_neq_f32_e32 0, v0
	s_cbranch_execz .LBB63_81
; %bb.80:                               ;   in Loop: Header=BB63_3 Depth=1
	v_div_scale_f32 v13, null, v0, v0, 1.0
	s_delay_alu instid0(VALU_DEP_1) | instskip(SKIP_1) | instid1(TRANS32_DEP_1)
	v_rcp_f32_e32 v14, v13
	v_nop
	v_fma_f32 v15, -v13, v14, 1.0
	s_delay_alu instid0(VALU_DEP_1) | instskip(SKIP_1) | instid1(VALU_DEP_1)
	v_fmac_f32_e32 v14, v15, v14
	v_div_scale_f32 v15, vcc_lo, 1.0, v0, 1.0
	v_mul_f32_e32 v57, v15, v14
	s_delay_alu instid0(VALU_DEP_1) | instskip(NEXT) | instid1(VALU_DEP_1)
	v_fma_f32 v58, -v13, v57, v15
	v_fmac_f32_e32 v57, v58, v14
	s_delay_alu instid0(VALU_DEP_1) | instskip(NEXT) | instid1(VALU_DEP_1)
	v_fma_f32 v13, -v13, v57, v15
	v_div_fmas_f32 v13, v13, v14, v57
	s_delay_alu instid0(VALU_DEP_1)
	v_div_fixup_f32 v13, v13, v0, 1.0
.LBB63_81:                              ;   in Loop: Header=BB63_3 Depth=1
	s_or_b32 exec_lo, exec_lo, s92
.LBB63_82:                              ;   in Loop: Header=BB63_3 Depth=1
	ds_store_b32 v36, v13
.LBB63_83:                              ;   in Loop: Header=BB63_3 Depth=1
	s_or_b32 exec_lo, exec_lo, s52
	s_wait_dscnt 0x0
	s_barrier_signal -1
	s_barrier_wait -1
	s_and_saveexec_b32 s52, s1
	s_cbranch_execz .LBB63_105
; %bb.84:                               ;   in Loop: Header=BB63_3 Depth=1
	v_dual_mov_b32 v0, v44 :: v_dual_add_nc_u32 v15, 64, v41
	v_dual_mov_b32 v13, v43 :: v_dual_mov_b32 v14, v42
	s_mov_b32 s92, 0
	s_branch .LBB63_86
.LBB63_85:                              ;   in Loop: Header=BB63_86 Depth=2
	v_add_nc_u32_e32 v15, 0x80, v15
	v_add_nc_u32_e32 v14, 0x88, v14
	;; [unrolled: 1-line block ×4, first 2 shown]
	s_cmp_eq_u32 s92, 16
	s_cbranch_scc1 .LBB63_105
.LBB63_86:                              ;   Parent Loop BB63_3 Depth=1
                                        ; =>  This Loop Header: Depth=2
                                        ;       Child Loop BB63_92 Depth 3
                                        ;       Child Loop BB63_101 Depth 3
	s_mov_b32 s93, exec_lo
                                        ; implicit-def: $sgpr94
	v_cmpx_ge_i32_e64 s92, v4
	s_xor_b32 s93, exec_lo, s93
; %bb.87:                               ;   in Loop: Header=BB63_86 Depth=2
	s_lshl_b32 s94, s92, 6
; %bb.88:                               ;   in Loop: Header=BB63_86 Depth=2
	s_or_saveexec_b32 s93, s93
	v_dual_mov_b32 v57, 0 :: v_dual_mov_b32 v58, s94
	s_xor_b32 exec_lo, exec_lo, s93
	s_cbranch_execz .LBB63_90
; %bb.89:                               ;   in Loop: Header=BB63_86 Depth=2
	v_mad_u32 v57, 0x44, s92, v9
	s_lshl_b32 s94, s92, 6
	s_delay_alu instid0(SALU_CYCLE_1)
	v_add_nc_u32_e32 v58, s94, v37
	ds_load_b32 v58, v58
	ds_load_b32 v57, v57
	s_wait_dscnt 0x0
	v_fma_f32 v57, v58, v57, 0
	v_mov_b32_e32 v58, s94
.LBB63_90:                              ;   in Loop: Header=BB63_86 Depth=2
	s_or_b32 exec_lo, exec_lo, s93
	s_delay_alu instid0(VALU_DEP_1) | instskip(SKIP_2) | instid1(SALU_CYCLE_1)
	v_dual_mov_b32 v59, v14 :: v_dual_add_nc_u32 v58, v37, v58
	v_mov_b32_e32 v60, v15
	s_or_b32 s93, s92, 1
	s_mov_b32 s94, s93
	s_branch .LBB63_92
.LBB63_91:                              ;   in Loop: Header=BB63_92 Depth=3
	s_or_b32 exec_lo, exec_lo, s95
	v_dual_add_nc_u32 v60, 64, v60 :: v_dual_add_nc_u32 v59, 4, v59
	s_add_co_i32 s94, s94, 1
	s_delay_alu instid0(SALU_CYCLE_1)
	s_cmp_eq_u32 s94, 16
	s_cbranch_scc1 .LBB63_96
.LBB63_92:                              ;   Parent Loop BB63_3 Depth=1
                                        ;     Parent Loop BB63_86 Depth=2
                                        ; =>    This Inner Loop Header: Depth=3
	s_mov_b32 s95, exec_lo
	v_cmpx_eq_u32_e64 s94, v4
	s_cbranch_execz .LBB63_94
; %bb.93:                               ;   in Loop: Header=BB63_92 Depth=3
	ds_load_b32 v61, v36
	s_wait_dscnt 0x0
	v_mul_f32_e64 v61, -v57, v61
	ds_store_b32 v58, v61
.LBB63_94:                              ;   in Loop: Header=BB63_92 Depth=3
	s_or_b32 exec_lo, exec_lo, s95
	s_delay_alu instid0(SALU_CYCLE_1)
	s_mov_b32 s95, exec_lo
	v_cmpx_lt_i32_e64 s94, v4
	s_cbranch_execz .LBB63_91
; %bb.95:                               ;   in Loop: Header=BB63_92 Depth=3
	ds_load_b32 v61, v60
	ds_load_b32 v62, v59
	s_wait_dscnt 0x0
	v_fmac_f32_e32 v57, v61, v62
	s_branch .LBB63_91
.LBB63_96:                              ;   in Loop: Header=BB63_86 Depth=2
	v_mov_b32_e32 v57, 0
	s_mov_b32 s94, exec_lo
	v_cmpx_lt_i32_e64 s93, v4
	s_cbranch_execz .LBB63_98
; %bb.97:                               ;   in Loop: Header=BB63_86 Depth=2
	v_mad_u32 v57, 0x44, s93, v9
	v_lshl_add_u32 v58, s93, 6, v37
	ds_load_b32 v58, v58
	ds_load_b32 v57, v57
	s_wait_dscnt 0x0
	v_fma_f32 v57, v58, v57, 0
.LBB63_98:                              ;   in Loop: Header=BB63_86 Depth=2
	s_or_b32 exec_lo, exec_lo, s94
	s_add_co_i32 s92, s92, 2
	s_cmp_gt_u32 s93, 14
	s_cbranch_scc1 .LBB63_85
; %bb.99:                               ;   in Loop: Header=BB63_86 Depth=2
	v_dual_mov_b32 v58, v0 :: v_dual_mov_b32 v59, v13
	s_lshl_b32 s93, s93, 6
	s_mov_b32 s94, s92
	s_branch .LBB63_101
.LBB63_100:                             ;   in Loop: Header=BB63_101 Depth=3
	s_or_b32 exec_lo, exec_lo, s95
	v_dual_add_nc_u32 v59, 4, v59 :: v_dual_add_nc_u32 v58, 64, v58
	s_add_co_i32 s94, s94, 1
	s_delay_alu instid0(SALU_CYCLE_1)
	s_cmp_lg_u32 s94, 16
	s_cbranch_scc0 .LBB63_85
.LBB63_101:                             ;   Parent Loop BB63_3 Depth=1
                                        ;     Parent Loop BB63_86 Depth=2
                                        ; =>    This Inner Loop Header: Depth=3
	s_mov_b32 s95, exec_lo
	v_cmpx_eq_u32_e64 s94, v4
	s_cbranch_execz .LBB63_103
; %bb.102:                              ;   in Loop: Header=BB63_101 Depth=3
	ds_load_b32 v60, v36
	s_wait_dscnt 0x0
	v_dual_add_nc_u32 v61, s93, v37 :: v_dual_mul_f32 v60, -v57, v60
	ds_store_b32 v61, v60
.LBB63_103:                             ;   in Loop: Header=BB63_101 Depth=3
	s_or_b32 exec_lo, exec_lo, s95
	s_delay_alu instid0(SALU_CYCLE_1)
	s_mov_b32 s95, exec_lo
	v_cmpx_lt_i32_e64 s94, v4
	s_cbranch_execz .LBB63_100
; %bb.104:                              ;   in Loop: Header=BB63_101 Depth=3
	ds_load_b32 v60, v58
	ds_load_b32 v61, v59
	s_wait_dscnt 0x0
	v_fmac_f32_e32 v57, v60, v61
	s_branch .LBB63_100
.LBB63_105:                             ;   in Loop: Header=BB63_3 Depth=1
	s_or_b32 exec_lo, exec_lo, s52
	s_delay_alu instid0(SALU_CYCLE_1)
	s_and_b32 vcc_lo, exec_lo, s96
	s_wait_dscnt 0x0
	s_barrier_signal -1
	s_barrier_wait -1
	s_cbranch_vccz .LBB63_110
; %bb.106:                              ;   in Loop: Header=BB63_3 Depth=1
	s_mov_b32 s92, 0
	s_mov_b32 s52, 0
                                        ; implicit-def: $vgpr0
	s_and_saveexec_b32 s93, s3
	s_cbranch_execz .LBB63_111
; %bb.107:                              ;   in Loop: Header=BB63_3 Depth=1
	v_dual_mov_b32 v0, 0 :: v_dual_mov_b32 v13, v16
	v_dual_mov_b32 v14, v46 :: v_dual_mov_b32 v15, v45
.LBB63_108:                             ;   Parent Loop BB63_3 Depth=1
                                        ; =>  This Inner Loop Header: Depth=2
	ds_load_b32 v57, v13
	ds_load_b32 v58, v14
	v_dual_add_nc_u32 v15, -1, v15 :: v_dual_add_nc_u32 v14, -4, v14
	v_add_nc_u32_e32 v13, 64, v13
	s_delay_alu instid0(VALU_DEP_2)
	v_cmp_eq_u32_e32 vcc_lo, 0, v15
	s_or_b32 s52, vcc_lo, s52
	s_wait_dscnt 0x0
	v_fmac_f32_e32 v0, v57, v58
	s_and_not1_b32 exec_lo, exec_lo, s52
	s_cbranch_execnz .LBB63_108
; %bb.109:                              ;   in Loop: Header=BB63_3 Depth=1
	s_or_b32 exec_lo, exec_lo, s52
	s_delay_alu instid0(SALU_CYCLE_1) | instskip(SKIP_1) | instid1(SALU_CYCLE_1)
	s_mov_b32 s52, exec_lo
	s_or_b32 exec_lo, exec_lo, s93
	s_and_b32 vcc_lo, exec_lo, s92
	s_cbranch_vccnz .LBB63_112
	s_branch .LBB63_117
.LBB63_110:                             ;   in Loop: Header=BB63_3 Depth=1
	s_mov_b32 s52, 0
                                        ; implicit-def: $vgpr0
	s_cbranch_execnz .LBB63_112
	s_branch .LBB63_117
.LBB63_111:                             ;   in Loop: Header=BB63_3 Depth=1
	s_or_b32 exec_lo, exec_lo, s93
	s_delay_alu instid0(SALU_CYCLE_1)
	s_and_b32 vcc_lo, exec_lo, s92
	s_cbranch_vccz .LBB63_117
.LBB63_112:                             ;   in Loop: Header=BB63_3 Depth=1
                                        ; implicit-def: $vgpr0
	s_and_saveexec_b32 s92, s3
	s_cbranch_execz .LBB63_116
; %bb.113:                              ;   in Loop: Header=BB63_3 Depth=1
	v_dual_mov_b32 v0, 0 :: v_dual_mov_b32 v13, v47
	v_dual_mov_b32 v14, v49 :: v_dual_mov_b32 v15, v48
	s_mov_b32 s93, 0
.LBB63_114:                             ;   Parent Loop BB63_3 Depth=1
                                        ; =>  This Inner Loop Header: Depth=2
	ds_load_b32 v57, v13
	ds_load_b32 v58, v14
	v_dual_add_nc_u32 v15, 1, v15 :: v_dual_add_nc_u32 v14, 4, v14
	v_add_nc_u32_e32 v13, 64, v13
	s_delay_alu instid0(VALU_DEP_2)
	v_cmp_lt_u32_e32 vcc_lo, 14, v15
	s_or_b32 s93, vcc_lo, s93
	s_wait_dscnt 0x0
	v_fmac_f32_e32 v0, v57, v58
	s_and_not1_b32 exec_lo, exec_lo, s93
	s_cbranch_execnz .LBB63_114
; %bb.115:                              ;   in Loop: Header=BB63_3 Depth=1
	s_or_b32 exec_lo, exec_lo, s93
	s_delay_alu instid0(SALU_CYCLE_1)
	s_or_b32 s52, s52, exec_lo
.LBB63_116:                             ;   in Loop: Header=BB63_3 Depth=1
	s_or_b32 exec_lo, exec_lo, s92
.LBB63_117:                             ;   in Loop: Header=BB63_3 Depth=1
	s_and_saveexec_b32 s92, s52
; %bb.118:                              ;   in Loop: Header=BB63_3 Depth=1
	ds_store_b32 v17, v0
; %bb.119:                              ;   in Loop: Header=BB63_3 Depth=1
	s_or_b32 exec_lo, exec_lo, s92
	s_delay_alu instid0(SALU_CYCLE_1)
	s_and_b32 vcc_lo, exec_lo, s96
	s_wait_dscnt 0x0
	s_barrier_signal -1
	s_barrier_wait -1
	s_cbranch_vccz .LBB63_125
; %bb.120:                              ;   in Loop: Header=BB63_3 Depth=1
	s_mov_b32 s92, 0
	s_mov_b32 s52, 0
                                        ; implicit-def: $vgpr0
	s_and_saveexec_b32 s93, s3
	s_cbranch_execz .LBB63_124
; %bb.121:                              ;   in Loop: Header=BB63_3 Depth=1
	v_dual_mov_b32 v0, 0 :: v_dual_mov_b32 v13, v52
	v_dual_mov_b32 v14, v51 :: v_dual_mov_b32 v15, v50
.LBB63_122:                             ;   Parent Loop BB63_3 Depth=1
                                        ; =>  This Inner Loop Header: Depth=2
	ds_load_b32 v57, v13
	ds_load_b32 v58, v14
	v_dual_add_nc_u32 v15, 1, v15 :: v_dual_add_nc_u32 v14, 4, v14
	v_subrev_nc_u32_e32 v13, 64, v13
	s_delay_alu instid0(VALU_DEP_2)
	v_cmp_lt_u32_e32 vcc_lo, 14, v15
	s_or_b32 s52, vcc_lo, s52
	s_wait_dscnt 0x0
	v_fma_f32 v0, -v57, v58, v0
	s_and_not1_b32 exec_lo, exec_lo, s52
	s_cbranch_execnz .LBB63_122
; %bb.123:                              ;   in Loop: Header=BB63_3 Depth=1
	s_or_b32 exec_lo, exec_lo, s52
	s_delay_alu instid0(SALU_CYCLE_1)
	s_mov_b32 s52, exec_lo
.LBB63_124:                             ;   in Loop: Header=BB63_3 Depth=1
	s_or_b32 exec_lo, exec_lo, s93
	s_mov_b64 s[94:95], 0x2000
	s_and_b32 vcc_lo, exec_lo, s92
	s_cbranch_vccnz .LBB63_126
	s_branch .LBB63_131
.LBB63_125:                             ;   in Loop: Header=BB63_3 Depth=1
	s_mov_b32 s52, 0
                                        ; implicit-def: $vgpr0
	s_mov_b64 s[94:95], 0x2000
	s_cbranch_execz .LBB63_131
.LBB63_126:                             ;   in Loop: Header=BB63_3 Depth=1
                                        ; implicit-def: $vgpr0
	s_and_saveexec_b32 s92, s3
	s_cbranch_execz .LBB63_130
; %bb.127:                              ;   in Loop: Header=BB63_3 Depth=1
	v_dual_mov_b32 v0, 0 :: v_dual_mov_b32 v13, v55
	v_dual_mov_b32 v14, v54 :: v_dual_mov_b32 v15, v53
	s_mov_b32 s93, 0
.LBB63_128:                             ;   Parent Loop BB63_3 Depth=1
                                        ; =>  This Inner Loop Header: Depth=2
	ds_load_b32 v57, v13
	ds_load_b32 v58, v14
	v_dual_add_nc_u32 v15, -1, v15 :: v_dual_add_nc_u32 v14, 4, v14
	v_add_nc_u32_e32 v13, 64, v13
	s_delay_alu instid0(VALU_DEP_2)
	v_cmp_eq_u32_e32 vcc_lo, 0, v15
	s_or_b32 s93, vcc_lo, s93
	s_wait_dscnt 0x0
	v_fma_f32 v0, -v57, v58, v0
	s_and_not1_b32 exec_lo, exec_lo, s93
	s_cbranch_execnz .LBB63_128
; %bb.129:                              ;   in Loop: Header=BB63_3 Depth=1
	s_or_b32 exec_lo, exec_lo, s93
	s_delay_alu instid0(SALU_CYCLE_1)
	s_or_b32 s52, s52, exec_lo
.LBB63_130:                             ;   in Loop: Header=BB63_3 Depth=1
	s_or_b32 exec_lo, exec_lo, s92
	s_mov_b64 s[94:95], 64
.LBB63_131:                             ;   in Loop: Header=BB63_3 Depth=1
	s_mul_u64 s[92:93], s[50:51], s[42:43]
	s_delay_alu instid0(SALU_CYCLE_1) | instskip(NEXT) | instid1(SALU_CYCLE_1)
	s_lshl_b64 s[92:93], s[92:93], 2
	s_add_nc_u64 s[92:93], s[58:59], s[92:93]
	s_and_saveexec_b32 s43, s52
	s_cbranch_execz .LBB63_133
; %bb.132:                              ;   in Loop: Header=BB63_3 Depth=1
	v_mov_b32_e32 v13, v1
	s_delay_alu instid0(VALU_DEP_1) | instskip(NEXT) | instid1(VALU_DEP_1)
	v_add_nc_u64_e32 v[14:15], s[92:93], v[12:13]
	v_add_nc_u64_e32 v[14:15], s[94:95], v[14:15]
	global_store_b32 v[14:15], v0, off
.LBB63_133:                             ;   in Loop: Header=BB63_3 Depth=1
	s_wait_xcnt 0x0
	s_or_b32 exec_lo, exec_lo, s43
	s_and_saveexec_b32 s43, s1
	s_cbranch_execz .LBB63_2
; %bb.134:                              ;   in Loop: Header=BB63_3 Depth=1
	s_and_not1_b32 vcc_lo, exec_lo, s96
	s_mov_b32 s52, -1
	s_cbranch_vccnz .LBB63_144
; %bb.135:                              ;   in Loop: Header=BB63_3 Depth=1
	s_and_saveexec_b32 s99, s36
	s_cbranch_execz .LBB63_143
; %bb.136:                              ;   in Loop: Header=BB63_3 Depth=1
	v_lshlrev_b32_e32 v0, 2, v6
	s_delay_alu instid0(VALU_DEP_1) | instskip(SKIP_1) | instid1(VALU_DEP_2)
	v_add_nc_u64_e32 v[14:15], s[92:93], v[0:1]
	v_mov_b32_e32 v0, 15
	v_lshl_add_u64 v[14:15], v[4:5], 2, v[14:15]
	s_and_saveexec_b32 s100, s98
	s_cbranch_execz .LBB63_140
; %bb.137:                              ;   in Loop: Header=BB63_3 Depth=1
	v_mov_b32_e32 v0, v38
	s_mov_b32 s94, 14
	s_mov_b32 s52, 15
	s_mov_b32 s101, 0
.LBB63_138:                             ;   Parent Loop BB63_3 Depth=1
                                        ; =>  This Inner Loop Header: Depth=2
	s_lshl_b32 s95, s52, 4
	s_lshl_b32 s102, s94, 4
	v_add_lshl_u32 v13, s95, v8, 2
	v_add_lshl_u32 v57, s102, v7, 2
	s_mov_b32 s95, s53
	s_lshl_b64 s[102:103], s[52:53], 9
	s_lshl_b64 vcc, s[94:95], 9
	v_dual_sub_nc_u32 v13, v9, v13 :: v_dual_add_nc_u32 v0, -2, v0
	v_sub_nc_u32_e32 v57, v9, v57
	v_add_nc_u64_e32 v[58:59], s[102:103], v[14:15]
	v_add_nc_u64_e32 v[60:61], vcc, v[14:15]
	ds_load_b32 v13, v13 offset:1020
	ds_load_b32 v57, v57 offset:1020
	v_cmp_eq_u32_e32 vcc_lo, 0, v0
	s_add_co_i32 s52, s52, -2
	s_add_co_i32 s94, s94, -2
	s_wait_dscnt 0x1
	global_store_b32 v[58:59], v13, off
	s_wait_dscnt 0x0
	global_store_b32 v[60:61], v57, off
	s_or_b32 s101, vcc_lo, s101
	s_wait_xcnt 0x0
	s_and_not1_b32 exec_lo, exec_lo, s101
	s_cbranch_execnz .LBB63_138
; %bb.139:                              ;   in Loop: Header=BB63_3 Depth=1
	s_or_b32 exec_lo, exec_lo, s101
	v_sub_nc_u32_e32 v0, 15, v38
	s_or_not1_b32 s52, s38, exec_lo
.LBB63_140:                             ;   in Loop: Header=BB63_3 Depth=1
	s_or_b32 exec_lo, exec_lo, s100
	s_delay_alu instid0(SALU_CYCLE_1)
	s_and_b32 exec_lo, exec_lo, s52
	s_cbranch_execz .LBB63_143
; %bb.141:                              ;   in Loop: Header=BB63_3 Depth=1
	v_lshlrev_b32_e32 v13, 6, v0
	s_mov_b32 s52, 0
	s_delay_alu instid0(VALU_DEP_1)
	v_sub_nc_u32_e32 v13, v56, v13
.LBB63_142:                             ;   Parent Loop BB63_3 Depth=1
                                        ; =>  This Inner Loop Header: Depth=2
	ds_load_b32 v57, v13
	v_lshlrev_b64_e32 v[58:59], 9, v[0:1]
	v_dual_add_nc_u32 v60, -1, v0 :: v_dual_add_nc_u32 v13, 64, v13
	v_cmp_le_i32_e32 vcc_lo, v0, v4
	s_delay_alu instid0(VALU_DEP_2) | instskip(NEXT) | instid1(VALU_DEP_4)
	v_mov_b32_e32 v0, v60
	v_add_nc_u64_e32 v[58:59], v[14:15], v[58:59]
	s_or_b32 s52, vcc_lo, s52
	s_wait_dscnt 0x0
	global_store_b32 v[58:59], v57, off
	s_wait_xcnt 0x0
	s_and_not1_b32 exec_lo, exec_lo, s52
	s_cbranch_execnz .LBB63_142
.LBB63_143:                             ;   in Loop: Header=BB63_3 Depth=1
	s_or_b32 exec_lo, exec_lo, s99
	s_mov_b32 s52, 0
.LBB63_144:                             ;   in Loop: Header=BB63_3 Depth=1
	s_delay_alu instid0(SALU_CYCLE_1)
	s_and_not1_b32 vcc_lo, exec_lo, s52
	s_cbranch_vccnz .LBB63_2
; %bb.145:                              ;   in Loop: Header=BB63_3 Depth=1
	s_and_b32 exec_lo, exec_lo, s37
	s_cbranch_execz .LBB63_2
; %bb.146:                              ;   in Loop: Header=BB63_3 Depth=1
	v_mov_b32_e32 v0, 0
	s_mov_b32 s52, -1
	s_and_saveexec_b32 s94, s39
	s_cbranch_execz .LBB63_150
; %bb.147:                              ;   in Loop: Header=BB63_3 Depth=1
	v_lshlrev_b32_e32 v0, 2, v6
	s_mov_b32 s95, 0
	s_delay_alu instid0(SALU_CYCLE_1) | instskip(NEXT) | instid1(VALU_DEP_1)
	s_mov_b32 s52, s95
	v_add_nc_u64_e32 v[14:15], s[92:93], v[0:1]
	v_mov_b32_e32 v0, v40
	s_mov_b32 s92, 1
	s_delay_alu instid0(VALU_DEP_2)
	v_lshl_add_u64 v[14:15], v[4:5], 2, v[14:15]
.LBB63_148:                             ;   Parent Loop BB63_3 Depth=1
                                        ; =>  This Inner Loop Header: Depth=2
	v_lshl_add_u32 v13, s52, 6, v37
	v_lshl_add_u32 v57, s92, 6, v37
	v_add_nc_u32_e32 v0, -2, v0
	s_mov_b32 s93, s53
	s_lshl_b64 s[100:101], s[52:53], 9
	ds_load_b32 v13, v13
	ds_load_b32 v57, v57
	s_lshl_b64 s[102:103], s[92:93], 9
	v_add_nc_u64_e32 v[58:59], s[100:101], v[14:15]
	v_cmp_eq_u32_e32 vcc_lo, 0, v0
	v_add_nc_u64_e32 v[60:61], s[102:103], v[14:15]
	s_add_co_i32 s52, s52, 2
	s_add_co_i32 s92, s92, 2
	s_wait_dscnt 0x1
	global_store_b32 v[58:59], v13, off
	s_wait_dscnt 0x0
	global_store_b32 v[60:61], v57, off
	s_or_b32 s95, vcc_lo, s95
	s_wait_xcnt 0x0
	s_and_not1_b32 exec_lo, exec_lo, s95
	s_cbranch_execnz .LBB63_148
; %bb.149:                              ;   in Loop: Header=BB63_3 Depth=1
	s_or_b32 exec_lo, exec_lo, s95
	v_mov_b32_e32 v0, v40
	s_or_not1_b32 s52, s40, exec_lo
.LBB63_150:                             ;   in Loop: Header=BB63_3 Depth=1
	s_or_b32 exec_lo, exec_lo, s94
	s_delay_alu instid0(SALU_CYCLE_1)
	s_and_b32 exec_lo, exec_lo, s52
	s_cbranch_execz .LBB63_2
; %bb.151:                              ;   in Loop: Header=BB63_3 Depth=1
	v_lshlrev_b64_e32 v[14:15], 9, v[0:1]
	v_sub_nc_u32_e32 v13, v39, v0
	v_lshl_add_u32 v0, v0, 6, v41
	s_mov_b32 s52, 0
	s_delay_alu instid0(VALU_DEP_3) | instskip(NEXT) | instid1(VALU_DEP_1)
	v_mad_nc_u64_u32 v[14:15], s90, s42, v[14:15]
	v_mad_u32 v15, s91, s42, v15
	s_delay_alu instid0(VALU_DEP_1)
	v_add_nc_u64_e32 v[14:15], v[10:11], v[14:15]
.LBB63_152:                             ;   Parent Loop BB63_3 Depth=1
                                        ; =>  This Inner Loop Header: Depth=2
	ds_load_b32 v57, v0
	v_dual_add_nc_u32 v13, -1, v13 :: v_dual_add_nc_u32 v0, 64, v0
	s_delay_alu instid0(VALU_DEP_1)
	v_cmp_eq_u32_e32 vcc_lo, 0, v13
	s_or_b32 s52, vcc_lo, s52
	s_wait_dscnt 0x0
	global_store_b32 v[14:15], v57, off
	s_wait_xcnt 0x0
	v_add_nc_u64_e32 v[14:15], 0x200, v[14:15]
	s_and_not1_b32 exec_lo, exec_lo, s52
	s_cbranch_execnz .LBB63_152
	s_branch .LBB63_2
.LBB63_153:
	s_endpgm
	.section	.rodata,"a",@progbits
	.p2align	6, 0x0
	.amdhsa_kernel _ZL25rocblas_trtri_trsm_kernelILi128ELi16ELi8EfPKfPfEv13rocblas_fill_17rocblas_diagonal_T3_lilT4_lli
		.amdhsa_group_segment_fixed_size 4096
		.amdhsa_private_segment_fixed_size 0
		.amdhsa_kernarg_size 68
		.amdhsa_user_sgpr_count 2
		.amdhsa_user_sgpr_dispatch_ptr 0
		.amdhsa_user_sgpr_queue_ptr 0
		.amdhsa_user_sgpr_kernarg_segment_ptr 1
		.amdhsa_user_sgpr_dispatch_id 0
		.amdhsa_user_sgpr_kernarg_preload_length 0
		.amdhsa_user_sgpr_kernarg_preload_offset 0
		.amdhsa_user_sgpr_private_segment_size 0
		.amdhsa_wavefront_size32 1
		.amdhsa_uses_dynamic_stack 0
		.amdhsa_enable_private_segment 0
		.amdhsa_system_sgpr_workgroup_id_x 1
		.amdhsa_system_sgpr_workgroup_id_y 0
		.amdhsa_system_sgpr_workgroup_id_z 1
		.amdhsa_system_sgpr_workgroup_info 0
		.amdhsa_system_vgpr_workitem_id 0
		.amdhsa_next_free_vgpr 63
		.amdhsa_next_free_sgpr 104
		.amdhsa_named_barrier_count 0
		.amdhsa_reserve_vcc 1
		.amdhsa_float_round_mode_32 0
		.amdhsa_float_round_mode_16_64 0
		.amdhsa_float_denorm_mode_32 3
		.amdhsa_float_denorm_mode_16_64 3
		.amdhsa_fp16_overflow 0
		.amdhsa_memory_ordered 1
		.amdhsa_forward_progress 1
		.amdhsa_inst_pref_size 47
		.amdhsa_round_robin_scheduling 0
		.amdhsa_exception_fp_ieee_invalid_op 0
		.amdhsa_exception_fp_denorm_src 0
		.amdhsa_exception_fp_ieee_div_zero 0
		.amdhsa_exception_fp_ieee_overflow 0
		.amdhsa_exception_fp_ieee_underflow 0
		.amdhsa_exception_fp_ieee_inexact 0
		.amdhsa_exception_int_div_zero 0
	.end_amdhsa_kernel
	.section	.text._ZL25rocblas_trtri_trsm_kernelILi128ELi16ELi8EfPKfPfEv13rocblas_fill_17rocblas_diagonal_T3_lilT4_lli,"axG",@progbits,_ZL25rocblas_trtri_trsm_kernelILi128ELi16ELi8EfPKfPfEv13rocblas_fill_17rocblas_diagonal_T3_lilT4_lli,comdat
.Lfunc_end63:
	.size	_ZL25rocblas_trtri_trsm_kernelILi128ELi16ELi8EfPKfPfEv13rocblas_fill_17rocblas_diagonal_T3_lilT4_lli, .Lfunc_end63-_ZL25rocblas_trtri_trsm_kernelILi128ELi16ELi8EfPKfPfEv13rocblas_fill_17rocblas_diagonal_T3_lilT4_lli
                                        ; -- End function
	.set _ZL25rocblas_trtri_trsm_kernelILi128ELi16ELi8EfPKfPfEv13rocblas_fill_17rocblas_diagonal_T3_lilT4_lli.num_vgpr, 63
	.set _ZL25rocblas_trtri_trsm_kernelILi128ELi16ELi8EfPKfPfEv13rocblas_fill_17rocblas_diagonal_T3_lilT4_lli.num_agpr, 0
	.set _ZL25rocblas_trtri_trsm_kernelILi128ELi16ELi8EfPKfPfEv13rocblas_fill_17rocblas_diagonal_T3_lilT4_lli.numbered_sgpr, 104
	.set _ZL25rocblas_trtri_trsm_kernelILi128ELi16ELi8EfPKfPfEv13rocblas_fill_17rocblas_diagonal_T3_lilT4_lli.num_named_barrier, 0
	.set _ZL25rocblas_trtri_trsm_kernelILi128ELi16ELi8EfPKfPfEv13rocblas_fill_17rocblas_diagonal_T3_lilT4_lli.private_seg_size, 0
	.set _ZL25rocblas_trtri_trsm_kernelILi128ELi16ELi8EfPKfPfEv13rocblas_fill_17rocblas_diagonal_T3_lilT4_lli.uses_vcc, 1
	.set _ZL25rocblas_trtri_trsm_kernelILi128ELi16ELi8EfPKfPfEv13rocblas_fill_17rocblas_diagonal_T3_lilT4_lli.uses_flat_scratch, 0
	.set _ZL25rocblas_trtri_trsm_kernelILi128ELi16ELi8EfPKfPfEv13rocblas_fill_17rocblas_diagonal_T3_lilT4_lli.has_dyn_sized_stack, 0
	.set _ZL25rocblas_trtri_trsm_kernelILi128ELi16ELi8EfPKfPfEv13rocblas_fill_17rocblas_diagonal_T3_lilT4_lli.has_recursion, 0
	.set _ZL25rocblas_trtri_trsm_kernelILi128ELi16ELi8EfPKfPfEv13rocblas_fill_17rocblas_diagonal_T3_lilT4_lli.has_indirect_call, 0
	.section	.AMDGPU.csdata,"",@progbits
; Kernel info:
; codeLenInByte = 5936
; TotalNumSgprs: 106
; NumVgprs: 63
; ScratchSize: 0
; MemoryBound: 0
; FloatMode: 240
; IeeeMode: 1
; LDSByteSize: 4096 bytes/workgroup (compile time only)
; SGPRBlocks: 0
; VGPRBlocks: 3
; NumSGPRsForWavesPerEU: 106
; NumVGPRsForWavesPerEU: 63
; NamedBarCnt: 0
; Occupancy: 16
; WaveLimiterHint : 0
; COMPUTE_PGM_RSRC2:SCRATCH_EN: 0
; COMPUTE_PGM_RSRC2:USER_SGPR: 2
; COMPUTE_PGM_RSRC2:TRAP_HANDLER: 0
; COMPUTE_PGM_RSRC2:TGID_X_EN: 1
; COMPUTE_PGM_RSRC2:TGID_Y_EN: 0
; COMPUTE_PGM_RSRC2:TGID_Z_EN: 1
; COMPUTE_PGM_RSRC2:TIDIG_COMP_CNT: 0
	.section	.text._ZL18rocblas_trtri_fillILi128EfPfEvP15_rocblas_handle13rocblas_fill_ililT1_llii,"axG",@progbits,_ZL18rocblas_trtri_fillILi128EfPfEvP15_rocblas_handle13rocblas_fill_ililT1_llii,comdat
	.globl	_ZL18rocblas_trtri_fillILi128EfPfEvP15_rocblas_handle13rocblas_fill_ililT1_llii ; -- Begin function _ZL18rocblas_trtri_fillILi128EfPfEvP15_rocblas_handle13rocblas_fill_ililT1_llii
	.p2align	8
	.type	_ZL18rocblas_trtri_fillILi128EfPfEvP15_rocblas_handle13rocblas_fill_ililT1_llii,@function
_ZL18rocblas_trtri_fillILi128EfPfEvP15_rocblas_handle13rocblas_fill_ililT1_llii: ; @_ZL18rocblas_trtri_fillILi128EfPfEvP15_rocblas_handle13rocblas_fill_ililT1_llii
; %bb.0:
	s_load_b64 s[2:3], s[0:1], 0x40
	s_bfe_u32 s4, ttmp6, 0x40014
	s_lshr_b32 s5, ttmp7, 16
	s_add_co_i32 s4, s4, 1
	s_bfe_u32 s6, ttmp6, 0x40008
	s_mul_i32 s4, s5, s4
	s_getreg_b32 s17, hwreg(HW_REG_IB_STS2, 6, 4)
	s_add_co_i32 s6, s6, s4
	s_cmp_eq_u32 s17, 0
	s_mov_b32 s19, 0
	s_cselect_b32 s16, s5, s6
	s_wait_kmcnt 0x0
	s_cmp_ge_u32 s16, s3
	s_cbranch_scc1 .LBB64_17
; %bb.1:
	s_clause 0x2
	s_load_b32 s20, s[0:1], 0x18
	s_load_b128 s[12:15], s[0:1], 0x8
	s_load_b256 s[4:11], s[0:1], 0x20
	s_ashr_i32 s23, s2, 31
	s_mov_b32 s22, s2
	s_bfe_u32 s2, ttmp6, 0x4000c
	s_and_b32 s18, ttmp6, 15
	s_add_co_i32 s2, s2, 1
	s_mov_b64 s[28:29], 0xffffffff
	s_mul_i32 s2, ttmp9, s2
	s_add_nc_u64 s[34:35], s[0:1], 0x48
	s_add_co_i32 s18, s18, s2
	s_wait_kmcnt 0x0
	s_ashr_i32 s21, s20, 31
	v_cvt_f32_u32_e32 v1, s14
	s_lshl_b64 s[24:25], s[8:9], 2
	s_cmp_eq_u32 s17, 0
	s_cvt_f32_u32 s2, s14
	s_cvt_f32_u32 s8, s15
	v_rcp_iflag_f32_e32 v1, v1
	s_cselect_b32 s18, ttmp9, s18
	s_add_co_i32 s9, s13, -2
	s_fmamk_f32 s2, s8, 0x4f800000, s2
	v_cvt_f64_i32_e32 v[2:3], s9
	s_sub_co_i32 s17, 0, s14
	s_mul_u64 s[8:9], s[14:15], s[22:23]
	v_mul_f32_e32 v1, 0x4f7ffffe, v1
	v_s_rcp_f32 s2, s2
	s_lshl_b64 s[22:23], s[18:19], 7
	s_add_nc_u64 s[6:7], s[6:7], s[24:25]
	v_or_b32_e32 v0, s22, v0
	v_cvt_u32_f32_e32 v5, v1
	v_mov_b32_e32 v1, s23
	s_ashr_i32 s23, s13, 31
	s_add_co_i32 s24, s13, -1
	s_mov_b32 s22, s13
	v_mul_lo_u32 v4, s17, v5
	s_mul_f32 s17, s2, 0x5f7ffffc
	s_ashr_i32 s25, s24, 31
	s_sub_nc_u64 s[36:37], 0, s[14:15]
	s_mul_u64 s[26:27], s[24:25], s[22:23]
	s_mul_f32 s2, s17, 0x2f800000
	s_lshl_b64 s[24:25], s[26:27], 2
	s_lshr_b64 s[26:27], s[26:27], 1
	s_add_nc_u64 s[24:25], s[24:25], -7
	s_trunc_f32 s13, s2
	v_cmp_gt_u64_e64 s2, s[8:9], v[0:1]
	v_mul_hi_u32 v6, v5, v4
	v_mov_b32_e32 v4, 0
	s_fmamk_f32 s17, s13, 0xcf800000, s17
	s_cvt_u32_f32 s31, s13
	s_delay_alu instid0(SALU_CYCLE_2) | instskip(NEXT) | instid1(VALU_DEP_2)
	s_cvt_u32_f32 s30, s17
	v_add_nc_u32_e32 v12, v5, v6
	s_branch .LBB64_3
.LBB64_2:                               ;   in Loop: Header=BB64_3 Depth=1
	s_or_b32 exec_lo, exec_lo, s1
	s_add_co_i32 s16, s16, 0x10000
	s_delay_alu instid0(SALU_CYCLE_1)
	s_cmp_lt_u32 s16, s3
	s_cbranch_scc0 .LBB64_17
.LBB64_3:                               ; =>This Loop Header: Depth=1
                                        ;     Child Loop BB64_6 Depth 2
	s_and_saveexec_b32 s1, s2
	s_cbranch_execz .LBB64_2
; %bb.4:                                ;   in Loop: Header=BB64_3 Depth=1
	s_clause 0x1
	s_load_b32 s0, s[34:35], 0xc
	s_load_b32 s18, s[34:35], 0x0
	s_mov_b32 s17, s19
	v_mov_b64_e32 v[6:7], v[0:1]
	s_mul_u64 s[38:39], s[10:11], s[16:17]
	s_mov_b32 s41, s19
	s_lshl_b64 s[38:39], s[38:39], 2
	s_mov_b32 s13, 0
	s_add_nc_u64 s[38:39], s[6:7], s[38:39]
	s_wait_kmcnt 0x0
	s_and_b32 s40, s0, 0xffff
	s_delay_alu instid0(SALU_CYCLE_1)
	s_mul_u64 s[40:41], s[40:41], s[18:19]
	s_branch .LBB64_6
.LBB64_5:                               ;   in Loop: Header=BB64_6 Depth=2
	v_add_nc_u64_e32 v[6:7], s[40:41], v[6:7]
	s_delay_alu instid0(VALU_DEP_1)
	v_cmp_le_u64_e32 vcc_lo, s[8:9], v[6:7]
	s_or_b32 s13, vcc_lo, s13
	s_wait_xcnt 0x0
	s_and_not1_b32 exec_lo, exec_lo, s13
	s_cbranch_execz .LBB64_2
.LBB64_6:                               ;   Parent Loop BB64_3 Depth=1
                                        ; =>  This Inner Loop Header: Depth=2
	v_or_b32_e32 v5, s15, v7
                                        ; implicit-def: $vgpr8_vgpr9
	s_mov_b32 s0, exec_lo
	s_delay_alu instid0(VALU_DEP_1)
	v_cmpx_ne_u64_e32 0, v[4:5]
	s_xor_b32 s17, exec_lo, s0
	s_cbranch_execz .LBB64_8
; %bb.7:                                ;   in Loop: Header=BB64_6 Depth=2
	s_mul_u64 s[42:43], s[36:37], s[30:31]
	v_dual_mov_b32 v8, v6 :: v_dual_mov_b32 v9, v4
	s_mul_hi_u32 s45, s30, s43
	s_mul_i32 s44, s30, s43
	s_mul_hi_u32 s18, s30, s42
	s_mul_hi_u32 s0, s31, s42
	s_add_nc_u64 s[44:45], s[18:19], s[44:45]
	s_mul_i32 s18, s31, s42
	s_mul_hi_u32 s33, s31, s43
	s_add_co_u32 s18, s44, s18
	s_add_co_ci_u32 s18, s45, s0
	s_add_co_ci_u32 s45, s33, 0
	s_mul_i32 s44, s31, s43
	v_dual_mov_b32 v10, v7 :: v_dual_mov_b32 v11, v4
	s_add_nc_u64 s[42:43], s[18:19], s[44:45]
	v_mov_b32_e32 v17, v4
	s_add_co_u32 s42, s30, s42
	s_cselect_b32 s0, -1, 0
	s_delay_alu instid0(SALU_CYCLE_1) | instskip(SKIP_1) | instid1(SALU_CYCLE_1)
	s_cmp_lg_u32 s0, 0
	s_add_co_ci_u32 s43, s31, s43
	s_mul_u64 s[44:45], s[36:37], s[42:43]
	s_delay_alu instid0(SALU_CYCLE_1)
	s_mul_hi_u32 s47, s42, s45
	s_mul_i32 s46, s42, s45
	s_mul_hi_u32 s18, s42, s44
	s_mul_i32 s33, s43, s44
	s_add_nc_u64 s[46:47], s[18:19], s[46:47]
	s_mul_hi_u32 s0, s43, s44
	s_mul_hi_u32 s48, s43, s45
	s_add_co_u32 s18, s46, s33
	s_add_co_ci_u32 s18, s47, s0
	s_mul_i32 s44, s43, s45
	s_add_co_ci_u32 s45, s48, 0
	s_delay_alu instid0(SALU_CYCLE_1) | instskip(NEXT) | instid1(SALU_CYCLE_1)
	s_add_nc_u64 s[44:45], s[18:19], s[44:45]
	s_add_co_u32 s0, s42, s44
	s_cselect_b32 s18, -1, 0
	v_mul_hi_u32 v16, v6, s0
	s_cmp_lg_u32 s18, 0
	s_add_co_ci_u32 s18, s43, s45
	s_and_b64 s[42:43], s[0:1], s[28:29]
	v_mul_u64_e32 v[8:9], s[18:19], v[8:9]
	v_mul_u64_e32 v[14:15], s[42:43], v[10:11]
	;; [unrolled: 1-line block ×3, first 2 shown]
	s_delay_alu instid0(VALU_DEP_3) | instskip(NEXT) | instid1(VALU_DEP_1)
	v_add_nc_u64_e32 v[8:9], v[16:17], v[8:9]
	v_add_co_u32 v5, vcc_lo, v8, v14
	s_delay_alu instid0(VALU_DEP_2) | instskip(NEXT) | instid1(VALU_DEP_4)
	v_add_co_ci_u32_e32 v16, vcc_lo, v9, v15, vcc_lo
	v_add_co_ci_u32_e32 v11, vcc_lo, 0, v11, vcc_lo
	s_delay_alu instid0(VALU_DEP_1) | instskip(NEXT) | instid1(VALU_DEP_1)
	v_add_nc_u64_e32 v[8:9], v[16:17], v[10:11]
	v_mul_u64_e32 v[10:11], s[14:15], v[8:9]
	v_add_nc_u64_e32 v[14:15], 2, v[8:9]
	s_delay_alu instid0(VALU_DEP_2) | instskip(NEXT) | instid1(VALU_DEP_3)
	v_sub_nc_u32_e32 v5, v7, v11
	v_sub_co_u32 v10, vcc_lo, v6, v10
	s_delay_alu instid0(VALU_DEP_1) | instskip(NEXT) | instid1(VALU_DEP_3)
	v_sub_co_ci_u32_e64 v17, null, v7, v11, vcc_lo
	v_subrev_co_ci_u32_e64 v5, null, s15, v5, vcc_lo
	s_delay_alu instid0(VALU_DEP_3) | instskip(SKIP_1) | instid1(VALU_DEP_3)
	v_sub_co_u32 v13, s0, v10, s14
	v_cmp_le_u32_e32 vcc_lo, s14, v10
	v_subrev_co_ci_u32_e64 v5, null, 0, v5, s0
	s_delay_alu instid0(VALU_DEP_3) | instskip(SKIP_2) | instid1(VALU_DEP_4)
	v_cmp_le_u32_e64 s0, s14, v13
	v_add_nc_u64_e32 v[10:11], 1, v[8:9]
	v_cndmask_b32_e64 v18, 0, -1, vcc_lo
	v_cmp_eq_u32_e32 vcc_lo, s15, v5
	s_delay_alu instid0(VALU_DEP_4) | instskip(SKIP_1) | instid1(VALU_DEP_1)
	v_cndmask_b32_e64 v13, 0, -1, s0
	v_cmp_le_u32_e64 s0, s15, v5
	v_cndmask_b32_e64 v16, 0, -1, s0
	v_cmp_eq_u32_e64 s0, s15, v17
	s_delay_alu instid0(VALU_DEP_2) | instskip(SKIP_2) | instid1(VALU_DEP_3)
	v_cndmask_b32_e32 v5, v16, v13, vcc_lo
	v_cmp_le_u32_e32 vcc_lo, s15, v17
	v_cndmask_b32_e64 v13, 0, -1, vcc_lo
	v_cmp_ne_u32_e32 vcc_lo, 0, v5
	s_delay_alu instid0(VALU_DEP_2) | instskip(SKIP_1) | instid1(VALU_DEP_2)
	v_dual_cndmask_b32 v5, v13, v18, s0 :: v_dual_cndmask_b32 v11, v11, v15, vcc_lo
	v_cndmask_b32_e32 v10, v10, v14, vcc_lo
	v_cmp_ne_u32_e32 vcc_lo, 0, v5
	s_delay_alu instid0(VALU_DEP_2)
	v_dual_cndmask_b32 v9, v9, v11 :: v_dual_cndmask_b32 v8, v8, v10
.LBB64_8:                               ;   in Loop: Header=BB64_6 Depth=2
	s_and_not1_saveexec_b32 s0, s17
	s_cbranch_execz .LBB64_10
; %bb.9:                                ;   in Loop: Header=BB64_6 Depth=2
	v_mul_hi_u32 v5, v6, v12
	s_delay_alu instid0(VALU_DEP_1) | instskip(NEXT) | instid1(VALU_DEP_1)
	v_mul_lo_u32 v8, v5, s14
	v_dual_add_nc_u32 v9, 1, v5 :: v_dual_sub_nc_u32 v8, v6, v8
	s_delay_alu instid0(VALU_DEP_1) | instskip(SKIP_1) | instid1(VALU_DEP_2)
	v_subrev_nc_u32_e32 v10, s14, v8
	v_cmp_le_u32_e32 vcc_lo, s14, v8
	v_dual_cndmask_b32 v8, v8, v10 :: v_dual_cndmask_b32 v5, v5, v9
	s_delay_alu instid0(VALU_DEP_1) | instskip(NEXT) | instid1(VALU_DEP_2)
	v_cmp_le_u32_e32 vcc_lo, s14, v8
	v_add_nc_u32_e32 v9, 1, v5
	s_delay_alu instid0(VALU_DEP_1)
	v_dual_cndmask_b32 v8, v5, v9 :: v_dual_mov_b32 v9, v4
.LBB64_10:                              ;   in Loop: Header=BB64_6 Depth=2
	s_or_b32 exec_lo, exec_lo, s0
	s_delay_alu instid0(VALU_DEP_1) | instskip(SKIP_2) | instid1(VALU_DEP_1)
	v_mul_u64_e32 v[10:11], s[14:15], v[8:9]
	s_cmp_lt_i32 s12, 0x7a
	s_mov_b32 s0, -1
	v_sub_nc_u64_e32 v[10:11], v[6:7], v[10:11]
	s_cbranch_scc1 .LBB64_14
; %bb.11:                               ;   in Loop: Header=BB64_6 Depth=2
	s_cmp_eq_u32 s12, 0x7a
	s_cbranch_scc0 .LBB64_13
; %bb.12:                               ;   in Loop: Header=BB64_6 Depth=2
	s_delay_alu instid0(VALU_DEP_1) | instskip(NEXT) | instid1(VALU_DEP_1)
	v_lshlrev_b64_e32 v[14:15], 3, v[10:11]
	v_sub_nc_u64_e32 v[14:15], s[24:25], v[14:15]
	s_delay_alu instid0(VALU_DEP_1) | instskip(NEXT) | instid1(VALU_DEP_2)
	v_cvt_f64_u32_e32 v[16:17], v15
	v_cvt_f64_u32_e32 v[14:15], v14
	s_delay_alu instid0(VALU_DEP_2) | instskip(NEXT) | instid1(VALU_DEP_1)
	v_ldexp_f64 v[16:17], v[16:17], 32
	v_add_f64_e32 v[14:15], v[16:17], v[14:15]
	s_delay_alu instid0(VALU_DEP_1) | instskip(SKIP_1) | instid1(VALU_DEP_1)
	v_cmp_gt_f64_e32 vcc_lo, 0x10000000, v[14:15]
	v_cndmask_b32_e64 v5, 0, 0x100, vcc_lo
	v_ldexp_f64 v[14:15], v[14:15], v5
	v_cndmask_b32_e64 v5, 0, 0xffffff80, vcc_lo
	s_delay_alu instid0(VALU_DEP_2) | instskip(SKIP_1) | instid1(TRANS32_DEP_1)
	v_rsq_f64_e32 v[16:17], v[14:15]
	v_cmp_class_f64_e64 vcc_lo, v[14:15], 0x260
	v_mul_f64_e32 v[18:19], v[14:15], v[16:17]
	v_mul_f64_e32 v[16:17], 0.5, v[16:17]
	s_delay_alu instid0(VALU_DEP_1) | instskip(NEXT) | instid1(VALU_DEP_1)
	v_fma_f64 v[20:21], -v[16:17], v[18:19], 0.5
	v_fmac_f64_e32 v[18:19], v[18:19], v[20:21]
	v_fmac_f64_e32 v[16:17], v[16:17], v[20:21]
	s_delay_alu instid0(VALU_DEP_2) | instskip(NEXT) | instid1(VALU_DEP_1)
	v_fma_f64 v[20:21], -v[18:19], v[18:19], v[14:15]
	v_fmac_f64_e32 v[18:19], v[20:21], v[16:17]
	s_delay_alu instid0(VALU_DEP_1) | instskip(NEXT) | instid1(VALU_DEP_1)
	v_fma_f64 v[20:21], -v[18:19], v[18:19], v[14:15]
	v_fmac_f64_e32 v[18:19], v[20:21], v[16:17]
	s_delay_alu instid0(VALU_DEP_1) | instskip(SKIP_1) | instid1(VALU_DEP_2)
	v_ldexp_f64 v[16:17], v[18:19], v5
	v_mul_u64_e32 v[18:19], s[4:5], v[8:9]
	v_dual_cndmask_b32 v15, v17, v15 :: v_dual_cndmask_b32 v14, v16, v14
	s_delay_alu instid0(VALU_DEP_2) | instskip(NEXT) | instid1(VALU_DEP_2)
	v_lshl_add_u64 v[18:19], v[18:19], 2, s[38:39]
	v_fma_f64 v[14:15], v[14:15], 0.5, -0.5
	s_delay_alu instid0(VALU_DEP_1) | instskip(NEXT) | instid1(VALU_DEP_1)
	v_floor_f64_e32 v[14:15], v[14:15]
	v_add_f64_e64 v[14:15], v[2:3], -v[14:15]
	s_delay_alu instid0(VALU_DEP_1) | instskip(NEXT) | instid1(VALU_DEP_1)
	v_trunc_f64_e32 v[14:15], v[14:15]
	v_ldexp_f64 v[16:17], v[14:15], 0xffffffe0
	s_delay_alu instid0(VALU_DEP_1) | instskip(NEXT) | instid1(VALU_DEP_1)
	v_floor_f64_e32 v[16:17], v[16:17]
	v_fmac_f64_e32 v[14:15], 0xc1f00000, v[16:17]
	s_delay_alu instid0(VALU_DEP_1) | instskip(SKIP_1) | instid1(VALU_DEP_1)
	v_cvt_u32_f64_e32 v14, v[14:15]
	v_cvt_u32_f64_e32 v15, v[16:17]
	v_sub_nc_u64_e32 v[16:17], s[22:23], v[14:15]
	v_mul_u64_e32 v[22:23], s[20:21], v[14:15]
	s_delay_alu instid0(VALU_DEP_2) | instskip(NEXT) | instid1(VALU_DEP_1)
	v_add_nc_u64_e32 v[20:21], -1, v[16:17]
	v_mul_u64_e32 v[16:17], v[20:21], v[16:17]
	v_sub_nc_u64_e64 v[20:21], v[10:11], s[26:27]
	s_delay_alu instid0(VALU_DEP_4) | instskip(NEXT) | instid1(VALU_DEP_1)
	v_lshl_add_u64 v[18:19], v[22:23], 2, v[18:19]
	v_lshl_add_u64 v[18:19], v[20:21], 2, v[18:19]
	s_delay_alu instid0(VALU_DEP_1) | instskip(SKIP_1) | instid1(VALU_DEP_1)
	v_lshl_add_u64 v[14:15], v[14:15], 2, v[18:19]
	v_lshlrev_b64_e32 v[16:17], 1, v[16:17]
	v_and_b32_e32 v16, -4, v16
	s_delay_alu instid0(VALU_DEP_1)
	v_add_nc_u64_e32 v[14:15], v[14:15], v[16:17]
	global_store_b32 v[14:15], v4, off offset:4
.LBB64_13:                              ;   in Loop: Header=BB64_6 Depth=2
	s_mov_b32 s0, 0
.LBB64_14:                              ;   in Loop: Header=BB64_6 Depth=2
	s_delay_alu instid0(SALU_CYCLE_1)
	s_and_not1_b32 vcc_lo, exec_lo, s0
	s_cbranch_vccnz .LBB64_5
; %bb.15:                               ;   in Loop: Header=BB64_6 Depth=2
	s_cmp_lg_u32 s12, 0x79
	s_cbranch_scc1 .LBB64_5
; %bb.16:                               ;   in Loop: Header=BB64_6 Depth=2
	s_wait_xcnt 0x0
	v_lshlrev_b64_e32 v[14:15], 3, v[10:11]
	v_mul_u64_e32 v[8:9], s[4:5], v[8:9]
	s_delay_alu instid0(VALU_DEP_2) | instskip(NEXT) | instid1(VALU_DEP_3)
	v_cvt_f64_u32_e32 v[16:17], v15
	v_or_b32_e32 v5, 1, v14
	s_delay_alu instid0(VALU_DEP_1) | instskip(NEXT) | instid1(VALU_DEP_4)
	v_cvt_f64_u32_e32 v[14:15], v5
	v_lshl_add_u64 v[8:9], v[8:9], 2, s[38:39]
	s_delay_alu instid0(VALU_DEP_4) | instskip(NEXT) | instid1(VALU_DEP_1)
	v_ldexp_f64 v[16:17], v[16:17], 32
	v_add_f64_e32 v[14:15], v[16:17], v[14:15]
	s_delay_alu instid0(VALU_DEP_1) | instskip(SKIP_1) | instid1(VALU_DEP_1)
	v_cmp_gt_f64_e32 vcc_lo, 0x10000000, v[14:15]
	v_cndmask_b32_e64 v5, 0, 0x100, vcc_lo
	v_ldexp_f64 v[14:15], v[14:15], v5
	v_cndmask_b32_e64 v5, 0, 0xffffff80, vcc_lo
	s_delay_alu instid0(VALU_DEP_2) | instskip(SKIP_1) | instid1(TRANS32_DEP_1)
	v_rsq_f64_e32 v[16:17], v[14:15]
	v_cmp_class_f64_e64 vcc_lo, v[14:15], 0x260
	v_mul_f64_e32 v[18:19], v[14:15], v[16:17]
	v_mul_f64_e32 v[16:17], 0.5, v[16:17]
	s_delay_alu instid0(VALU_DEP_1) | instskip(NEXT) | instid1(VALU_DEP_1)
	v_fma_f64 v[20:21], -v[16:17], v[18:19], 0.5
	v_fmac_f64_e32 v[18:19], v[18:19], v[20:21]
	v_fmac_f64_e32 v[16:17], v[16:17], v[20:21]
	s_delay_alu instid0(VALU_DEP_2) | instskip(NEXT) | instid1(VALU_DEP_1)
	v_fma_f64 v[20:21], -v[18:19], v[18:19], v[14:15]
	v_fmac_f64_e32 v[18:19], v[20:21], v[16:17]
	s_delay_alu instid0(VALU_DEP_1) | instskip(NEXT) | instid1(VALU_DEP_1)
	v_fma_f64 v[20:21], -v[18:19], v[18:19], v[14:15]
	v_fmac_f64_e32 v[18:19], v[20:21], v[16:17]
	s_delay_alu instid0(VALU_DEP_1) | instskip(NEXT) | instid1(VALU_DEP_1)
	v_ldexp_f64 v[16:17], v[18:19], v5
	v_dual_cndmask_b32 v15, v17, v15 :: v_dual_cndmask_b32 v14, v16, v14
	s_delay_alu instid0(VALU_DEP_1) | instskip(NEXT) | instid1(VALU_DEP_1)
	v_add_f64_e32 v[14:15], -1.0, v[14:15]
	v_mul_f64_e32 v[14:15], 0.5, v[14:15]
	s_delay_alu instid0(VALU_DEP_1) | instskip(NEXT) | instid1(VALU_DEP_1)
	v_trunc_f64_e32 v[14:15], v[14:15]
	v_ldexp_f64 v[16:17], v[14:15], 0xffffffe0
	s_delay_alu instid0(VALU_DEP_1) | instskip(NEXT) | instid1(VALU_DEP_1)
	v_floor_f64_e32 v[16:17], v[16:17]
	v_fmac_f64_e32 v[14:15], 0xc1f00000, v[16:17]
	s_delay_alu instid0(VALU_DEP_1) | instskip(SKIP_1) | instid1(VALU_DEP_2)
	v_cvt_u32_f64_e32 v14, v[14:15]
	v_cvt_u32_f64_e32 v15, v[16:17]
	v_mad_nc_u64_u32 v[16:17], s20, v14, s[20:21]
	s_delay_alu instid0(VALU_DEP_2) | instskip(SKIP_1) | instid1(VALU_DEP_3)
	v_mad_nc_u64_u32 v[18:19], v14, v14, v[14:15]
	v_mul_lo_u32 v5, v14, v15
	v_mad_u32 v13, s21, v14, v17
	s_delay_alu instid0(VALU_DEP_2) | instskip(NEXT) | instid1(VALU_DEP_2)
	v_add3_u32 v19, v5, v19, v5
	v_mad_u32 v17, s20, v15, v13
	s_delay_alu instid0(VALU_DEP_2) | instskip(NEXT) | instid1(VALU_DEP_1)
	v_lshrrev_b64 v[14:15], 1, v[18:19]
	v_sub_nc_u64_e32 v[10:11], v[10:11], v[14:15]
	s_delay_alu instid0(VALU_DEP_3) | instskip(NEXT) | instid1(VALU_DEP_1)
	v_lshl_add_u64 v[8:9], v[16:17], 2, v[8:9]
	v_lshl_add_u64 v[8:9], v[10:11], 2, v[8:9]
	global_store_b32 v[8:9], v4, off
	s_branch .LBB64_5
.LBB64_17:
	s_endpgm
	.section	.rodata,"a",@progbits
	.p2align	6, 0x0
	.amdhsa_kernel _ZL18rocblas_trtri_fillILi128EfPfEvP15_rocblas_handle13rocblas_fill_ililT1_llii
		.amdhsa_group_segment_fixed_size 0
		.amdhsa_private_segment_fixed_size 0
		.amdhsa_kernarg_size 328
		.amdhsa_user_sgpr_count 2
		.amdhsa_user_sgpr_dispatch_ptr 0
		.amdhsa_user_sgpr_queue_ptr 0
		.amdhsa_user_sgpr_kernarg_segment_ptr 1
		.amdhsa_user_sgpr_dispatch_id 0
		.amdhsa_user_sgpr_kernarg_preload_length 0
		.amdhsa_user_sgpr_kernarg_preload_offset 0
		.amdhsa_user_sgpr_private_segment_size 0
		.amdhsa_wavefront_size32 1
		.amdhsa_uses_dynamic_stack 0
		.amdhsa_enable_private_segment 0
		.amdhsa_system_sgpr_workgroup_id_x 1
		.amdhsa_system_sgpr_workgroup_id_y 0
		.amdhsa_system_sgpr_workgroup_id_z 1
		.amdhsa_system_sgpr_workgroup_info 0
		.amdhsa_system_vgpr_workitem_id 0
		.amdhsa_next_free_vgpr 24
		.amdhsa_next_free_sgpr 49
		.amdhsa_named_barrier_count 0
		.amdhsa_reserve_vcc 1
		.amdhsa_float_round_mode_32 0
		.amdhsa_float_round_mode_16_64 0
		.amdhsa_float_denorm_mode_32 3
		.amdhsa_float_denorm_mode_16_64 3
		.amdhsa_fp16_overflow 0
		.amdhsa_memory_ordered 1
		.amdhsa_forward_progress 1
		.amdhsa_inst_pref_size 15
		.amdhsa_round_robin_scheduling 0
		.amdhsa_exception_fp_ieee_invalid_op 0
		.amdhsa_exception_fp_denorm_src 0
		.amdhsa_exception_fp_ieee_div_zero 0
		.amdhsa_exception_fp_ieee_overflow 0
		.amdhsa_exception_fp_ieee_underflow 0
		.amdhsa_exception_fp_ieee_inexact 0
		.amdhsa_exception_int_div_zero 0
	.end_amdhsa_kernel
	.section	.text._ZL18rocblas_trtri_fillILi128EfPfEvP15_rocblas_handle13rocblas_fill_ililT1_llii,"axG",@progbits,_ZL18rocblas_trtri_fillILi128EfPfEvP15_rocblas_handle13rocblas_fill_ililT1_llii,comdat
.Lfunc_end64:
	.size	_ZL18rocblas_trtri_fillILi128EfPfEvP15_rocblas_handle13rocblas_fill_ililT1_llii, .Lfunc_end64-_ZL18rocblas_trtri_fillILi128EfPfEvP15_rocblas_handle13rocblas_fill_ililT1_llii
                                        ; -- End function
	.set _ZL18rocblas_trtri_fillILi128EfPfEvP15_rocblas_handle13rocblas_fill_ililT1_llii.num_vgpr, 24
	.set _ZL18rocblas_trtri_fillILi128EfPfEvP15_rocblas_handle13rocblas_fill_ililT1_llii.num_agpr, 0
	.set _ZL18rocblas_trtri_fillILi128EfPfEvP15_rocblas_handle13rocblas_fill_ililT1_llii.numbered_sgpr, 49
	.set _ZL18rocblas_trtri_fillILi128EfPfEvP15_rocblas_handle13rocblas_fill_ililT1_llii.num_named_barrier, 0
	.set _ZL18rocblas_trtri_fillILi128EfPfEvP15_rocblas_handle13rocblas_fill_ililT1_llii.private_seg_size, 0
	.set _ZL18rocblas_trtri_fillILi128EfPfEvP15_rocblas_handle13rocblas_fill_ililT1_llii.uses_vcc, 1
	.set _ZL18rocblas_trtri_fillILi128EfPfEvP15_rocblas_handle13rocblas_fill_ililT1_llii.uses_flat_scratch, 0
	.set _ZL18rocblas_trtri_fillILi128EfPfEvP15_rocblas_handle13rocblas_fill_ililT1_llii.has_dyn_sized_stack, 0
	.set _ZL18rocblas_trtri_fillILi128EfPfEvP15_rocblas_handle13rocblas_fill_ililT1_llii.has_recursion, 0
	.set _ZL18rocblas_trtri_fillILi128EfPfEvP15_rocblas_handle13rocblas_fill_ililT1_llii.has_indirect_call, 0
	.section	.AMDGPU.csdata,"",@progbits
; Kernel info:
; codeLenInByte = 1816
; TotalNumSgprs: 51
; NumVgprs: 24
; ScratchSize: 0
; MemoryBound: 0
; FloatMode: 240
; IeeeMode: 1
; LDSByteSize: 0 bytes/workgroup (compile time only)
; SGPRBlocks: 0
; VGPRBlocks: 1
; NumSGPRsForWavesPerEU: 51
; NumVGPRsForWavesPerEU: 24
; NamedBarCnt: 0
; Occupancy: 16
; WaveLimiterHint : 0
; COMPUTE_PGM_RSRC2:SCRATCH_EN: 0
; COMPUTE_PGM_RSRC2:USER_SGPR: 2
; COMPUTE_PGM_RSRC2:TRAP_HANDLER: 0
; COMPUTE_PGM_RSRC2:TGID_X_EN: 1
; COMPUTE_PGM_RSRC2:TGID_Y_EN: 0
; COMPUTE_PGM_RSRC2:TGID_Z_EN: 1
; COMPUTE_PGM_RSRC2:TIDIG_COMP_CNT: 0
	.section	.text._ZL24rocblas_copy_matrix_trsmILi128ELi8EfPKfPfEviiiT2_ilT3_illli,"axG",@progbits,_ZL24rocblas_copy_matrix_trsmILi128ELi8EfPKfPfEviiiT2_ilT3_illli,comdat
	.globl	_ZL24rocblas_copy_matrix_trsmILi128ELi8EfPKfPfEviiiT2_ilT3_illli ; -- Begin function _ZL24rocblas_copy_matrix_trsmILi128ELi8EfPKfPfEviiiT2_ilT3_illli
	.p2align	8
	.type	_ZL24rocblas_copy_matrix_trsmILi128ELi8EfPKfPfEviiiT2_ilT3_illli,@function
_ZL24rocblas_copy_matrix_trsmILi128ELi8EfPKfPfEviiiT2_ilT3_illli: ; @_ZL24rocblas_copy_matrix_trsmILi128ELi8EfPKfPfEviiiT2_ilT3_illli
; %bb.0:
	s_load_b32 s18, s[0:1], 0x50
	s_bfe_u32 s2, ttmp6, 0x40014
	s_lshr_b32 s3, ttmp7, 16
	s_add_co_i32 s2, s2, 1
	s_bfe_u32 s5, ttmp6, 0x40008
	s_mul_i32 s4, s3, s2
	s_getreg_b32 s2, hwreg(HW_REG_IB_STS2, 6, 4)
	s_add_co_i32 s5, s5, s4
	s_cmp_eq_u32 s2, 0
	s_cselect_b32 s19, s3, s5
	s_mov_b32 s3, 0
	s_wait_kmcnt 0x0
	s_cmp_ge_u32 s19, s18
	s_cbranch_scc1 .LBB65_6
; %bb.1:
	s_clause 0x1
	s_load_b96 s[4:6], s[0:1], 0x10
	s_load_b32 s16, s[0:1], 0x30
	s_bfe_u32 s8, ttmp6, 0x40010
	s_bfe_u32 s11, ttmp6, 0x4000c
	s_and_b32 s7, ttmp7, 0xffff
	s_add_co_i32 s8, s8, 1
	s_add_co_i32 s11, s11, 1
	s_bfe_u32 s9, ttmp6, 0x40004
	s_and_b32 s10, ttmp6, 15
	s_mul_i32 s8, s7, s8
	s_mul_i32 s11, ttmp9, s11
	v_mov_b32_e32 v1, 0
	v_bfe_u32 v2, v0, 10, 10
	s_add_co_i32 s9, s9, s8
	s_add_co_i32 s12, s10, s11
	v_and_b32_e32 v0, 0x3ff, v0
	v_mov_b32_e32 v3, v1
	s_wait_kmcnt 0x0
	s_ashr_i32 s23, s6, 31
	s_ashr_i32 s17, s16, 31
	s_cmp_eq_u32 s2, 0
	s_mov_b32 s22, s6
	s_cselect_b32 s2, s7, s9
	s_clause 0x2
	s_load_b64 s[20:21], s[0:1], 0x0
	s_load_b64 s[24:25], s[0:1], 0x48
	s_load_b128 s[8:11], s[0:1], 0x38
	v_lshl_add_u32 v2, s2, 3, v2
	s_cselect_b32 s2, ttmp9, s12
	s_load_b128 s[12:15], s[0:1], 0x20
	v_lshl_add_u32 v0, s2, 7, v0
	s_wait_xcnt 0x0
	s_add_nc_u64 s[0:1], s[0:1], 0x58
	v_mul_u64_e32 v[4:5], s[16:17], v[2:3]
	v_mul_u64_e32 v[6:7], s[22:23], v[2:3]
	v_lshlrev_b64_e32 v[8:9], 2, v[0:1]
	s_wait_kmcnt 0x0
	s_mov_b32 s6, s21
	s_lshl_b64 s[24:25], s[24:25], 2
	s_lshl_b64 s[10:11], s[10:11], 2
	s_ashr_i32 s7, s21, 31
	s_ashr_i32 s21, s20, 31
	v_cmp_gt_u64_e64 s2, s[6:7], v[2:3]
	v_cmp_gt_u64_e32 vcc_lo, s[20:21], v[0:1]
	s_and_b32 s20, vcc_lo, s2
	v_lshl_add_u64 v[4:5], v[4:5], 2, s[24:25]
	v_lshl_add_u64 v[6:7], v[6:7], 2, s[10:11]
	s_lshl_b64 s[10:11], s[12:13], 2
	s_lshl_b64 s[12:13], s[22:23], 2
	s_delay_alu instid0(VALU_DEP_2) | instskip(NEXT) | instid1(VALU_DEP_2)
	v_add_nc_u64_e32 v[0:1], v[4:5], v[8:9]
	v_add_nc_u64_e32 v[4:5], v[6:7], v[8:9]
	s_delay_alu instid0(VALU_DEP_2) | instskip(NEXT) | instid1(VALU_DEP_2)
	v_add_nc_u64_e32 v[0:1], s[14:15], v[0:1]
	v_add_nc_u64_e32 v[4:5], s[4:5], v[4:5]
	s_lshl_b64 s[4:5], s[8:9], 2
	s_lshl_b64 s[8:9], s[16:17], 2
	s_branch .LBB65_3
.LBB65_2:                               ;   in Loop: Header=BB65_3 Depth=1
	s_or_b32 exec_lo, exec_lo, s21
	s_add_co_i32 s19, s19, 0x10000
	s_delay_alu instid0(SALU_CYCLE_1)
	s_cmp_ge_u32 s19, s18
	s_cbranch_scc1 .LBB65_6
.LBB65_3:                               ; =>This Loop Header: Depth=1
                                        ;     Child Loop BB65_5 Depth 2
	s_and_saveexec_b32 s21, s20
	s_cbranch_execz .LBB65_2
; %bb.4:                                ;   in Loop: Header=BB65_3 Depth=1
	s_load_b32 s2, s[0:1], 0x4
	v_mad_nc_u64_u32 v[6:7], s4, s19, v[0:1]
	v_mad_nc_u64_u32 v[8:9], s10, s19, v[4:5]
	v_mov_b64_e32 v[10:11], v[2:3]
	s_mov_b32 s22, 0
	s_delay_alu instid0(VALU_DEP_3) | instskip(NEXT) | instid1(VALU_DEP_3)
	v_mad_u32 v7, s5, s19, v7
	v_mad_u32 v9, s11, s19, v9
	s_wait_kmcnt 0x0
	s_lshl_b32 s2, s2, 3
	s_delay_alu instid0(SALU_CYCLE_1)
	s_mul_u64 s[14:15], s[8:9], s[2:3]
	s_mul_u64 s[16:17], s[12:13], s[2:3]
.LBB65_5:                               ;   Parent Loop BB65_3 Depth=1
                                        ; =>  This Inner Loop Header: Depth=2
	global_load_b32 v12, v[8:9], off
	v_add_nc_u64_e32 v[10:11], s[2:3], v[10:11]
	s_wait_xcnt 0x0
	v_add_nc_u64_e32 v[8:9], s[16:17], v[8:9]
	s_delay_alu instid0(VALU_DEP_2)
	v_cmp_le_u64_e32 vcc_lo, s[6:7], v[10:11]
	s_or_b32 s22, vcc_lo, s22
	s_wait_loadcnt 0x0
	global_store_b32 v[6:7], v12, off
	s_wait_xcnt 0x0
	v_add_nc_u64_e32 v[6:7], s[14:15], v[6:7]
	s_and_not1_b32 exec_lo, exec_lo, s22
	s_cbranch_execnz .LBB65_5
	s_branch .LBB65_2
.LBB65_6:
	s_endpgm
	.section	.rodata,"a",@progbits
	.p2align	6, 0x0
	.amdhsa_kernel _ZL24rocblas_copy_matrix_trsmILi128ELi8EfPKfPfEviiiT2_ilT3_illli
		.amdhsa_group_segment_fixed_size 0
		.amdhsa_private_segment_fixed_size 0
		.amdhsa_kernarg_size 344
		.amdhsa_user_sgpr_count 2
		.amdhsa_user_sgpr_dispatch_ptr 0
		.amdhsa_user_sgpr_queue_ptr 0
		.amdhsa_user_sgpr_kernarg_segment_ptr 1
		.amdhsa_user_sgpr_dispatch_id 0
		.amdhsa_user_sgpr_kernarg_preload_length 0
		.amdhsa_user_sgpr_kernarg_preload_offset 0
		.amdhsa_user_sgpr_private_segment_size 0
		.amdhsa_wavefront_size32 1
		.amdhsa_uses_dynamic_stack 0
		.amdhsa_enable_private_segment 0
		.amdhsa_system_sgpr_workgroup_id_x 1
		.amdhsa_system_sgpr_workgroup_id_y 1
		.amdhsa_system_sgpr_workgroup_id_z 1
		.amdhsa_system_sgpr_workgroup_info 0
		.amdhsa_system_vgpr_workitem_id 1
		.amdhsa_next_free_vgpr 13
		.amdhsa_next_free_sgpr 26
		.amdhsa_named_barrier_count 0
		.amdhsa_reserve_vcc 1
		.amdhsa_float_round_mode_32 0
		.amdhsa_float_round_mode_16_64 0
		.amdhsa_float_denorm_mode_32 3
		.amdhsa_float_denorm_mode_16_64 3
		.amdhsa_fp16_overflow 0
		.amdhsa_memory_ordered 1
		.amdhsa_forward_progress 1
		.amdhsa_inst_pref_size 5
		.amdhsa_round_robin_scheduling 0
		.amdhsa_exception_fp_ieee_invalid_op 0
		.amdhsa_exception_fp_denorm_src 0
		.amdhsa_exception_fp_ieee_div_zero 0
		.amdhsa_exception_fp_ieee_overflow 0
		.amdhsa_exception_fp_ieee_underflow 0
		.amdhsa_exception_fp_ieee_inexact 0
		.amdhsa_exception_int_div_zero 0
	.end_amdhsa_kernel
	.section	.text._ZL24rocblas_copy_matrix_trsmILi128ELi8EfPKfPfEviiiT2_ilT3_illli,"axG",@progbits,_ZL24rocblas_copy_matrix_trsmILi128ELi8EfPKfPfEviiiT2_ilT3_illli,comdat
.Lfunc_end65:
	.size	_ZL24rocblas_copy_matrix_trsmILi128ELi8EfPKfPfEviiiT2_ilT3_illli, .Lfunc_end65-_ZL24rocblas_copy_matrix_trsmILi128ELi8EfPKfPfEviiiT2_ilT3_illli
                                        ; -- End function
	.set _ZL24rocblas_copy_matrix_trsmILi128ELi8EfPKfPfEviiiT2_ilT3_illli.num_vgpr, 13
	.set _ZL24rocblas_copy_matrix_trsmILi128ELi8EfPKfPfEviiiT2_ilT3_illli.num_agpr, 0
	.set _ZL24rocblas_copy_matrix_trsmILi128ELi8EfPKfPfEviiiT2_ilT3_illli.numbered_sgpr, 26
	.set _ZL24rocblas_copy_matrix_trsmILi128ELi8EfPKfPfEviiiT2_ilT3_illli.num_named_barrier, 0
	.set _ZL24rocblas_copy_matrix_trsmILi128ELi8EfPKfPfEviiiT2_ilT3_illli.private_seg_size, 0
	.set _ZL24rocblas_copy_matrix_trsmILi128ELi8EfPKfPfEviiiT2_ilT3_illli.uses_vcc, 1
	.set _ZL24rocblas_copy_matrix_trsmILi128ELi8EfPKfPfEviiiT2_ilT3_illli.uses_flat_scratch, 0
	.set _ZL24rocblas_copy_matrix_trsmILi128ELi8EfPKfPfEviiiT2_ilT3_illli.has_dyn_sized_stack, 0
	.set _ZL24rocblas_copy_matrix_trsmILi128ELi8EfPKfPfEviiiT2_ilT3_illli.has_recursion, 0
	.set _ZL24rocblas_copy_matrix_trsmILi128ELi8EfPKfPfEviiiT2_ilT3_illli.has_indirect_call, 0
	.section	.AMDGPU.csdata,"",@progbits
; Kernel info:
; codeLenInByte = 556
; TotalNumSgprs: 28
; NumVgprs: 13
; ScratchSize: 0
; MemoryBound: 0
; FloatMode: 240
; IeeeMode: 1
; LDSByteSize: 0 bytes/workgroup (compile time only)
; SGPRBlocks: 0
; VGPRBlocks: 0
; NumSGPRsForWavesPerEU: 28
; NumVGPRsForWavesPerEU: 13
; NamedBarCnt: 0
; Occupancy: 16
; WaveLimiterHint : 0
; COMPUTE_PGM_RSRC2:SCRATCH_EN: 0
; COMPUTE_PGM_RSRC2:USER_SGPR: 2
; COMPUTE_PGM_RSRC2:TRAP_HANDLER: 0
; COMPUTE_PGM_RSRC2:TGID_X_EN: 1
; COMPUTE_PGM_RSRC2:TGID_Y_EN: 1
; COMPUTE_PGM_RSRC2:TGID_Z_EN: 1
; COMPUTE_PGM_RSRC2:TIDIG_COMP_CNT: 1
	.section	.text._ZL23rocblas_set_matrix_trsmILi128ELi8EdPdEvlliT2_llT1_li,"axG",@progbits,_ZL23rocblas_set_matrix_trsmILi128ELi8EdPdEvlliT2_llT1_li,comdat
	.globl	_ZL23rocblas_set_matrix_trsmILi128ELi8EdPdEvlliT2_llT1_li ; -- Begin function _ZL23rocblas_set_matrix_trsmILi128ELi8EdPdEvlliT2_llT1_li
	.p2align	8
	.type	_ZL23rocblas_set_matrix_trsmILi128ELi8EdPdEvlliT2_llT1_li,@function
_ZL23rocblas_set_matrix_trsmILi128ELi8EdPdEvlliT2_llT1_li: ; @_ZL23rocblas_set_matrix_trsmILi128ELi8EdPdEvlliT2_llT1_li
; %bb.0:
	s_load_b32 s8, s[0:1], 0x40
	s_bfe_u32 s2, ttmp6, 0x40014
	s_lshr_b32 s3, ttmp7, 16
	s_add_co_i32 s2, s2, 1
	s_bfe_u32 s4, ttmp6, 0x40008
	s_mul_i32 s2, s3, s2
	s_getreg_b32 s9, hwreg(HW_REG_IB_STS2, 6, 4)
	s_add_co_i32 s4, s4, s2
	s_cmp_eq_u32 s9, 0
	s_cselect_b32 s2, s3, s4
	s_mov_b32 s3, 0
	s_wait_kmcnt 0x0
	s_cmp_ge_u32 s2, s8
	s_cbranch_scc1 .LBB66_5
; %bb.1:
	s_clause 0x1
	s_load_b64 s[10:11], s[0:1], 0x38
	s_load_b128 s[4:7], s[0:1], 0x18
	s_bfe_u32 s13, ttmp6, 0x4000c
	s_bfe_u32 s15, ttmp6, 0x40010
	s_and_b32 s14, ttmp7, 0xffff
	s_add_co_i32 s13, s13, 1
	s_add_co_i32 s15, s15, 1
	s_and_b32 s12, ttmp6, 15
	s_bfe_u32 s16, ttmp6, 0x40004
	s_mul_i32 s13, ttmp9, s13
	s_mul_i32 s15, s14, s15
	v_bfe_u32 v1, v0, 10, 10
	s_add_co_i32 s17, s12, s13
	s_add_co_i32 s16, s16, s15
	v_mov_b32_e32 v3, 0
	v_and_b32_e32 v0, 0x3ff, v0
	s_delay_alu instid0(VALU_DEP_2)
	v_mov_b32_e32 v7, v3
	s_wait_kmcnt 0x0
	s_lshl_b64 s[10:11], s[10:11], 3
	s_cmp_eq_u32 s9, 0
	s_cselect_b32 s9, s14, s16
	s_load_b128 s[12:15], s[0:1], 0x0
	v_lshl_add_u32 v2, s9, 3, v1
	s_delay_alu instid0(VALU_DEP_1) | instskip(SKIP_3) | instid1(SALU_CYCLE_1)
	v_mul_u64_e32 v[4:5], s[6:7], v[2:3]
	s_load_b64 s[6:7], s[0:1], 0x28
	s_wait_xcnt 0x0
	s_cselect_b32 s0, ttmp9, s17
	v_lshl_add_u32 v6, s0, 7, v0
	s_add_nc_u64 s[0:1], s[4:5], s[10:11]
	v_mov_b64_e32 v[0:1], 0
	s_wait_kmcnt 0x0
	s_delay_alu instid0(VALU_DEP_2) | instskip(NEXT) | instid1(VALU_DEP_4)
	v_cmp_gt_u64_e32 vcc_lo, s[12:13], v[6:7]
	v_lshl_add_u64 v[4:5], v[4:5], 3, s[0:1]
	v_cmp_gt_u64_e64 s0, s[14:15], v[2:3]
	s_delay_alu instid0(VALU_DEP_2)
	v_lshl_add_u64 v[2:3], v[6:7], 3, v[4:5]
	s_and_b32 s0, vcc_lo, s0
	s_branch .LBB66_3
.LBB66_2:                               ;   in Loop: Header=BB66_3 Depth=1
	s_wait_xcnt 0x0
	s_or_b32 exec_lo, exec_lo, s1
	s_add_co_i32 s2, s2, 0x10000
	s_delay_alu instid0(SALU_CYCLE_1)
	s_cmp_lt_u32 s2, s8
	s_cbranch_scc0 .LBB66_5
.LBB66_3:                               ; =>This Inner Loop Header: Depth=1
	s_and_saveexec_b32 s1, s0
	s_cbranch_execz .LBB66_2
; %bb.4:                                ;   in Loop: Header=BB66_3 Depth=1
	s_mul_u64 s[4:5], s[6:7], s[2:3]
	s_delay_alu instid0(SALU_CYCLE_1)
	v_lshl_add_u64 v[4:5], s[4:5], 3, v[2:3]
	global_store_b64 v[4:5], v[0:1], off
	s_branch .LBB66_2
.LBB66_5:
	s_endpgm
	.section	.rodata,"a",@progbits
	.p2align	6, 0x0
	.amdhsa_kernel _ZL23rocblas_set_matrix_trsmILi128ELi8EdPdEvlliT2_llT1_li
		.amdhsa_group_segment_fixed_size 0
		.amdhsa_private_segment_fixed_size 0
		.amdhsa_kernarg_size 68
		.amdhsa_user_sgpr_count 2
		.amdhsa_user_sgpr_dispatch_ptr 0
		.amdhsa_user_sgpr_queue_ptr 0
		.amdhsa_user_sgpr_kernarg_segment_ptr 1
		.amdhsa_user_sgpr_dispatch_id 0
		.amdhsa_user_sgpr_kernarg_preload_length 0
		.amdhsa_user_sgpr_kernarg_preload_offset 0
		.amdhsa_user_sgpr_private_segment_size 0
		.amdhsa_wavefront_size32 1
		.amdhsa_uses_dynamic_stack 0
		.amdhsa_enable_private_segment 0
		.amdhsa_system_sgpr_workgroup_id_x 1
		.amdhsa_system_sgpr_workgroup_id_y 1
		.amdhsa_system_sgpr_workgroup_id_z 1
		.amdhsa_system_sgpr_workgroup_info 0
		.amdhsa_system_vgpr_workitem_id 1
		.amdhsa_next_free_vgpr 8
		.amdhsa_next_free_sgpr 18
		.amdhsa_named_barrier_count 0
		.amdhsa_reserve_vcc 1
		.amdhsa_float_round_mode_32 0
		.amdhsa_float_round_mode_16_64 0
		.amdhsa_float_denorm_mode_32 3
		.amdhsa_float_denorm_mode_16_64 3
		.amdhsa_fp16_overflow 0
		.amdhsa_memory_ordered 1
		.amdhsa_forward_progress 1
		.amdhsa_inst_pref_size 3
		.amdhsa_round_robin_scheduling 0
		.amdhsa_exception_fp_ieee_invalid_op 0
		.amdhsa_exception_fp_denorm_src 0
		.amdhsa_exception_fp_ieee_div_zero 0
		.amdhsa_exception_fp_ieee_overflow 0
		.amdhsa_exception_fp_ieee_underflow 0
		.amdhsa_exception_fp_ieee_inexact 0
		.amdhsa_exception_int_div_zero 0
	.end_amdhsa_kernel
	.section	.text._ZL23rocblas_set_matrix_trsmILi128ELi8EdPdEvlliT2_llT1_li,"axG",@progbits,_ZL23rocblas_set_matrix_trsmILi128ELi8EdPdEvlliT2_llT1_li,comdat
.Lfunc_end66:
	.size	_ZL23rocblas_set_matrix_trsmILi128ELi8EdPdEvlliT2_llT1_li, .Lfunc_end66-_ZL23rocblas_set_matrix_trsmILi128ELi8EdPdEvlliT2_llT1_li
                                        ; -- End function
	.set _ZL23rocblas_set_matrix_trsmILi128ELi8EdPdEvlliT2_llT1_li.num_vgpr, 8
	.set _ZL23rocblas_set_matrix_trsmILi128ELi8EdPdEvlliT2_llT1_li.num_agpr, 0
	.set _ZL23rocblas_set_matrix_trsmILi128ELi8EdPdEvlliT2_llT1_li.numbered_sgpr, 18
	.set _ZL23rocblas_set_matrix_trsmILi128ELi8EdPdEvlliT2_llT1_li.num_named_barrier, 0
	.set _ZL23rocblas_set_matrix_trsmILi128ELi8EdPdEvlliT2_llT1_li.private_seg_size, 0
	.set _ZL23rocblas_set_matrix_trsmILi128ELi8EdPdEvlliT2_llT1_li.uses_vcc, 1
	.set _ZL23rocblas_set_matrix_trsmILi128ELi8EdPdEvlliT2_llT1_li.uses_flat_scratch, 0
	.set _ZL23rocblas_set_matrix_trsmILi128ELi8EdPdEvlliT2_llT1_li.has_dyn_sized_stack, 0
	.set _ZL23rocblas_set_matrix_trsmILi128ELi8EdPdEvlliT2_llT1_li.has_recursion, 0
	.set _ZL23rocblas_set_matrix_trsmILi128ELi8EdPdEvlliT2_llT1_li.has_indirect_call, 0
	.section	.AMDGPU.csdata,"",@progbits
; Kernel info:
; codeLenInByte = 368
; TotalNumSgprs: 20
; NumVgprs: 8
; ScratchSize: 0
; MemoryBound: 0
; FloatMode: 240
; IeeeMode: 1
; LDSByteSize: 0 bytes/workgroup (compile time only)
; SGPRBlocks: 0
; VGPRBlocks: 0
; NumSGPRsForWavesPerEU: 20
; NumVGPRsForWavesPerEU: 8
; NamedBarCnt: 0
; Occupancy: 16
; WaveLimiterHint : 0
; COMPUTE_PGM_RSRC2:SCRATCH_EN: 0
; COMPUTE_PGM_RSRC2:USER_SGPR: 2
; COMPUTE_PGM_RSRC2:TRAP_HANDLER: 0
; COMPUTE_PGM_RSRC2:TGID_X_EN: 1
; COMPUTE_PGM_RSRC2:TGID_Y_EN: 1
; COMPUTE_PGM_RSRC2:TGID_Z_EN: 1
; COMPUTE_PGM_RSRC2:TIDIG_COMP_CNT: 1
	.section	.text._ZL38rocblas_trsm_small_left_device_sharedBILi4ELi4ELb0EddPKdPdEv13rocblas_fill_18rocblas_operation_17rocblas_diagonal_iiT3_T4_lilT5_lili,"axG",@progbits,_ZL38rocblas_trsm_small_left_device_sharedBILi4ELi4ELb0EddPKdPdEv13rocblas_fill_18rocblas_operation_17rocblas_diagonal_iiT3_T4_lilT5_lili,comdat
	.globl	_ZL38rocblas_trsm_small_left_device_sharedBILi4ELi4ELb0EddPKdPdEv13rocblas_fill_18rocblas_operation_17rocblas_diagonal_iiT3_T4_lilT5_lili ; -- Begin function _ZL38rocblas_trsm_small_left_device_sharedBILi4ELi4ELb0EddPKdPdEv13rocblas_fill_18rocblas_operation_17rocblas_diagonal_iiT3_T4_lilT5_lili
	.p2align	8
	.type	_ZL38rocblas_trsm_small_left_device_sharedBILi4ELi4ELb0EddPKdPdEv13rocblas_fill_18rocblas_operation_17rocblas_diagonal_iiT3_T4_lilT5_lili,@function
_ZL38rocblas_trsm_small_left_device_sharedBILi4ELi4ELb0EddPKdPdEv13rocblas_fill_18rocblas_operation_17rocblas_diagonal_iiT3_T4_lilT5_lili: ; @_ZL38rocblas_trsm_small_left_device_sharedBILi4ELi4ELb0EddPKdPdEv13rocblas_fill_18rocblas_operation_17rocblas_diagonal_iiT3_T4_lilT5_lili
; %bb.0:
	s_load_b32 s19, s[0:1], 0x60
	s_bfe_u32 s2, ttmp6, 0x40014
	s_lshr_b32 s3, ttmp7, 16
	s_add_co_i32 s2, s2, 1
	s_bfe_u32 s5, ttmp6, 0x40008
	s_mul_i32 s4, s3, s2
	s_getreg_b32 s2, hwreg(HW_REG_IB_STS2, 6, 4)
	s_add_co_i32 s5, s5, s4
	s_cmp_eq_u32 s2, 0
	s_cselect_b32 s20, s3, s5
	s_wait_kmcnt 0x0
	s_cmp_ge_u32 s20, s19
	s_cbranch_scc1 .LBB67_57
; %bb.1:
	s_clause 0x4
	s_load_b96 s[12:14], s[0:1], 0x28
	s_load_b96 s[16:18], s[0:1], 0x48
	s_load_b128 s[24:27], s[0:1], 0x4
	s_load_b32 s15, s[0:1], 0x68
	s_load_b64 s[28:29], s[0:1], 0x58
	s_bfe_u32 s3, ttmp6, 0x4000c
	s_and_b32 s21, ttmp6, 15
	s_add_co_i32 s3, s3, 1
	s_clause 0x1
	s_load_b128 s[4:7], s[0:1], 0x18
	s_load_b128 s[8:11], s[0:1], 0x38
	s_mul_i32 s3, ttmp9, s3
	v_dual_mov_b32 v19, 0 :: v_dual_lshlrev_b32 v18, 3, v0
	s_wait_xcnt 0x0
	s_add_co_i32 s0, s21, s3
	v_lshlrev_b32_e32 v10, 5, v0
	s_delay_alu instid0(VALU_DEP_2)
	v_or_b32_e32 v26, 0x80, v18
	v_dual_mov_b32 v2, v19 :: v_dual_mov_b32 v3, v19
	v_mov_b32_e32 v4, v19
	s_wait_kmcnt 0x0
	s_ashr_i32 s3, s14, 31
	s_ashr_i32 s30, s18, 31
	s_min_i32 s21, s26, 4
	s_add_co_i32 s15, s15, -1
	s_add_co_i32 s22, s21, -1
	s_cmp_eq_u32 s2, 0
	v_dual_mov_b32 v8, v19 :: v_dual_mov_b32 v9, v19
	s_cselect_b32 s1, ttmp9, s0
	v_mov_b32_e32 v7, v19
	s_lshl_b32 s0, s1, 2
	s_delay_alu instid0(SALU_CYCLE_1)
	s_sub_co_i32 s2, s27, s0
	s_cmp_ge_u32 s1, s15
	s_cselect_b32 s2, s2, 4
	s_ashr_i32 s1, s0, 31
	s_cmp_lg_u32 s25, 0x84
	v_cmp_gt_i32_e32 vcc_lo, s2, v0
	s_cselect_b32 s23, -1, 0
	s_cmp_gt_i32 s26, 0
	s_mov_b32 s2, s14
	s_cselect_b32 s15, -1, 0
	s_cmp_lg_u32 s24, 0x6f
	s_cselect_b32 s24, -1, 0
	s_lshl_b64 s[0:1], s[0:1], 3
	s_lshl_b64 s[16:17], s[16:17], 3
	v_or_b32_e32 v5, s0, v18
	s_add_nc_u64 s[10:11], s[10:11], s[16:17]
	v_cmp_gt_i32_e64 s0, s21, v0
	s_lshl_b64 s[8:9], s[8:9], 3
	v_mad_nc_u64_u32 v[20:21], v5, s18, s[10:11]
	s_lshl_b64 s[10:11], s[12:13], 3
	s_lshl_b64 s[12:13], s[28:29], 3
	s_add_nc_u64 s[10:11], s[6:7], s[10:11]
	s_lshl_b64 s[6:7], s[2:3], 3
	v_add_nc_u64_e32 v[0:1], s[10:11], v[18:19]
	s_get_pc_i64 s[10:11]
	s_add_nc_u64 s[10:11], s[10:11], __const._ZL38rocblas_trsm_small_left_device_sharedBILi4ELi4ELb0EddPKdPdEv13rocblas_fill_18rocblas_operation_17rocblas_diagonal_iiT3_T4_lilT5_lili.step_sizes@rel64+4
	s_delay_alu instid0(VALU_DEP_2) | instskip(SKIP_3) | instid1(VALU_DEP_1)
	v_mad_u32 v6, s1, s18, v21
	s_lshl_b32 s1, s21, 5
	s_and_b32 s18, vcc_lo, s15
	s_sub_co_i32 s25, s1, 32
	v_mad_u32 v21, v5, s30, v6
	v_dual_mov_b32 v5, v19 :: v_dual_mov_b32 v6, v19
	v_add_nc_u32_e32 v19, v18, v10
	s_branch .LBB67_3
.LBB67_2:                               ;   in Loop: Header=BB67_3 Depth=1
	s_or_b32 exec_lo, exec_lo, s1
	s_delay_alu instid0(VALU_DEP_1) | instskip(SKIP_4) | instid1(SALU_CYCLE_1)
	v_mov_b64_e32 v[2:3], v[10:11]
	v_mov_b64_e32 v[4:5], v[12:13]
	v_mov_b64_e32 v[6:7], v[14:15]
	v_mov_b64_e32 v[8:9], v[16:17]
	s_add_co_i32 s20, s20, 0x10000
	s_cmp_lt_u32 s20, s19
	s_cbranch_scc0 .LBB67_57
.LBB67_3:                               ; =>This Loop Header: Depth=1
                                        ;     Child Loop BB67_5 Depth 2
                                        ;     Child Loop BB67_11 Depth 2
	;; [unrolled: 1-line block ×3, first 2 shown]
                                        ;       Child Loop BB67_17 Depth 3
                                        ;         Child Loop BB67_18 Depth 4
                                        ;         Child Loop BB67_21 Depth 4
                                        ;           Child Loop BB67_22 Depth 5
                                        ;         Child Loop BB67_27 Depth 4
                                        ;           Child Loop BB67_29 Depth 5
                                        ;     Child Loop BB67_38 Depth 2
                                        ;       Child Loop BB67_39 Depth 3
                                        ;       Child Loop BB67_41 Depth 3
                                        ;         Child Loop BB67_42 Depth 4
                                        ;       Child Loop BB67_47 Depth 3
                                        ;         Child Loop BB67_49 Depth 4
                                        ;     Child Loop BB67_51 Depth 2
                                        ;     Child Loop BB67_56 Depth 2
	s_and_saveexec_b32 s1, s0
	s_cbranch_execz .LBB67_9
; %bb.4:                                ;   in Loop: Header=BB67_3 Depth=1
	v_mad_nc_u64_u32 v[10:11], s8, s20, v[0:1]
	v_mov_b32_e32 v12, v18
	s_mov_b32 s2, s21
	s_delay_alu instid0(VALU_DEP_2)
	v_mad_u32 v11, s9, s20, v11
.LBB67_5:                               ;   Parent Loop BB67_3 Depth=1
                                        ; =>  This Inner Loop Header: Depth=2
	global_load_b64 v[14:15], v[10:11], off
	s_wait_xcnt 0x0
	v_add_nc_u64_e32 v[10:11], s[6:7], v[10:11]
	s_add_co_i32 s2, s2, -1
	s_delay_alu instid0(SALU_CYCLE_1)
	s_cmp_eq_u32 s2, 0
	s_wait_loadcnt 0x0
	ds_store_b64 v12, v[14:15]
	v_add_nc_u32_e32 v12, 32, v12
	s_cbranch_scc0 .LBB67_5
; %bb.6:                                ;   in Loop: Header=BB67_3 Depth=1
	v_mov_b64_e32 v[10:11], 1.0
	s_and_b32 vcc_lo, exec_lo, s23
	s_cbranch_vccz .LBB67_8
; %bb.7:                                ;   in Loop: Header=BB67_3 Depth=1
	ds_load_b64 v[10:11], v19
	s_wait_dscnt 0x0
	v_div_scale_f64 v[12:13], null, v[10:11], v[10:11], 1.0
	s_delay_alu instid0(VALU_DEP_1) | instskip(SKIP_1) | instid1(TRANS32_DEP_1)
	v_rcp_f64_e32 v[14:15], v[12:13]
	v_nop
	v_fma_f64 v[16:17], -v[12:13], v[14:15], 1.0
	s_delay_alu instid0(VALU_DEP_1) | instskip(NEXT) | instid1(VALU_DEP_1)
	v_fmac_f64_e32 v[14:15], v[14:15], v[16:17]
	v_fma_f64 v[16:17], -v[12:13], v[14:15], 1.0
	s_delay_alu instid0(VALU_DEP_1) | instskip(SKIP_1) | instid1(VALU_DEP_1)
	v_fmac_f64_e32 v[14:15], v[14:15], v[16:17]
	v_div_scale_f64 v[16:17], vcc_lo, 1.0, v[10:11], 1.0
	v_mul_f64_e32 v[22:23], v[16:17], v[14:15]
	s_delay_alu instid0(VALU_DEP_1) | instskip(NEXT) | instid1(VALU_DEP_1)
	v_fma_f64 v[12:13], -v[12:13], v[22:23], v[16:17]
	v_div_fmas_f64 v[12:13], v[12:13], v[14:15], v[22:23]
	s_delay_alu instid0(VALU_DEP_1)
	v_div_fixup_f64 v[10:11], v[12:13], v[10:11], 1.0
.LBB67_8:                               ;   in Loop: Header=BB67_3 Depth=1
	ds_store_b64 v19, v[10:11]
.LBB67_9:                               ;   in Loop: Header=BB67_3 Depth=1
	s_or_b32 exec_lo, exec_lo, s1
	s_delay_alu instid0(VALU_DEP_3) | instskip(NEXT) | instid1(VALU_DEP_1)
	v_mad_nc_u64_u32 v[22:23], s12, s20, v[20:21]
	v_mad_u32 v23, s13, s20, v23
	s_and_saveexec_b32 s1, s18
	s_cbranch_execz .LBB67_12
; %bb.10:                               ;   in Loop: Header=BB67_3 Depth=1
	s_delay_alu instid0(VALU_DEP_1)
	v_mov_b64_e32 v[10:11], v[22:23]
	v_mov_b32_e32 v12, v26
	s_mov_b32 s2, s21
.LBB67_11:                              ;   Parent Loop BB67_3 Depth=1
                                        ; =>  This Inner Loop Header: Depth=2
	global_load_b64 v[14:15], v[10:11], off
	s_wait_xcnt 0x0
	v_add_nc_u64_e32 v[10:11], 8, v[10:11]
	s_add_co_i32 s2, s2, -1
	s_delay_alu instid0(SALU_CYCLE_1)
	s_cmp_lg_u32 s2, 0
	s_wait_loadcnt 0x0
	v_mul_f64_e32 v[14:15], s[4:5], v[14:15]
	ds_store_b64 v12, v[14:15]
	v_add_nc_u32_e32 v12, 32, v12
	s_cbranch_scc1 .LBB67_11
.LBB67_12:                              ;   in Loop: Header=BB67_3 Depth=1
	s_or_b32 exec_lo, exec_lo, s1
	s_delay_alu instid0(SALU_CYCLE_1)
	s_and_not1_b32 vcc_lo, exec_lo, s24
	s_mov_b32 s1, -1
	s_wait_dscnt 0x0
	; wave barrier
                                        ; implicit-def: $vgpr10_vgpr11_vgpr12_vgpr13_vgpr14_vgpr15_vgpr16_vgpr17
	s_cbranch_vccnz .LBB67_34
; %bb.13:                               ;   in Loop: Header=BB67_3 Depth=1
	v_mov_b64_e32 v[16:17], v[8:9]
	v_mov_b64_e32 v[14:15], v[6:7]
	;; [unrolled: 1-line block ×4, first 2 shown]
	s_wait_xcnt 0x0
	s_mov_b32 s27, 0
	s_mov_b32 s26, 0
.LBB67_14:                              ;   Parent Loop BB67_3 Depth=1
                                        ; =>  This Loop Header: Depth=2
                                        ;       Child Loop BB67_17 Depth 3
                                        ;         Child Loop BB67_18 Depth 4
                                        ;         Child Loop BB67_21 Depth 4
                                        ;           Child Loop BB67_22 Depth 5
                                        ;         Child Loop BB67_27 Depth 4
                                        ;           Child Loop BB67_29 Depth 5
	s_load_b32 s28, s[10:11], s27 offset:0x0 scale_offset
	s_wait_kmcnt 0x0
	s_add_co_i32 s29, s28, -1
	s_delay_alu instid0(SALU_CYCLE_1) | instskip(NEXT) | instid1(SALU_CYCLE_1)
	s_add_co_i32 s1, s29, s26
	s_cmp_ge_i32 s1, s21
	s_cbranch_scc1 .LBB67_31
; %bb.15:                               ;   in Loop: Header=BB67_14 Depth=2
	s_lshl_b32 s30, s26, 5
	s_max_i32 s31, s28, 1
	v_add_nc_u32_e32 v27, s30, v26
	s_lshl_b32 s33, s28, 5
	s_mul_i32 s34, s26, 40
	s_mul_i32 s35, s28, 40
	s_branch .LBB67_17
.LBB67_16:                              ;   in Loop: Header=BB67_17 Depth=3
	s_add_co_i32 s26, s26, s28
	v_add_nc_u32_e32 v27, s33, v27
	s_add_co_i32 s1, s29, s26
	s_add_co_i32 s30, s30, s33
	s_add_co_i32 s34, s34, s35
	s_cmp_ge_i32 s1, s21
	s_cbranch_scc1 .LBB67_31
.LBB67_17:                              ;   Parent Loop BB67_3 Depth=1
                                        ;     Parent Loop BB67_14 Depth=2
                                        ; =>    This Loop Header: Depth=3
                                        ;         Child Loop BB67_18 Depth 4
                                        ;         Child Loop BB67_21 Depth 4
                                        ;           Child Loop BB67_22 Depth 5
                                        ;         Child Loop BB67_27 Depth 4
                                        ;           Child Loop BB67_29 Depth 5
	v_mov_b32_e32 v24, v27
	s_mov_b64 s[14:15], 0
.LBB67_18:                              ;   Parent Loop BB67_3 Depth=1
                                        ;     Parent Loop BB67_14 Depth=2
                                        ;       Parent Loop BB67_17 Depth=3
                                        ; =>      This Inner Loop Header: Depth=4
	ds_load_b64 v[28:29], v24
	s_cmp_eq_u32 s14, 3
	s_cselect_b32 vcc_lo, -1, 0
	s_cmp_eq_u32 s14, 2
	v_add_nc_u32_e32 v24, 32, v24
	s_cselect_b32 s1, -1, 0
	s_cmp_eq_u32 s14, 1
	s_cselect_b32 s2, -1, 0
	s_cmp_eq_u32 s14, 0
	s_add_nc_u64 s[14:15], s[14:15], 1
	s_cselect_b32 s3, -1, 0
	s_cmp_eq_u32 s31, s14
	s_wait_dscnt 0x0
	v_dual_cndmask_b32 v17, v17, v29 :: v_dual_cndmask_b32 v16, v16, v28
	v_dual_cndmask_b32 v15, v15, v29, s1 :: v_dual_cndmask_b32 v14, v14, v28, s1
	v_dual_cndmask_b32 v13, v13, v29, s2 :: v_dual_cndmask_b32 v12, v12, v28, s2
	;; [unrolled: 1-line block ×3, first 2 shown]
	s_cbranch_scc0 .LBB67_18
; %bb.19:                               ;   in Loop: Header=BB67_17 Depth=3
	s_cmp_lt_i32 s26, 1
	s_cbranch_scc1 .LBB67_24
; %bb.20:                               ;   in Loop: Header=BB67_17 Depth=3
	s_mov_b32 s16, 0
	s_mov_b32 s17, s30
.LBB67_21:                              ;   Parent Loop BB67_3 Depth=1
                                        ;     Parent Loop BB67_14 Depth=2
                                        ;       Parent Loop BB67_17 Depth=3
                                        ; =>      This Loop Header: Depth=4
                                        ;           Child Loop BB67_22 Depth 5
	v_lshl_add_u32 v24, s16, 5, v26
	s_mov_b64 s[14:15], 0
	s_mov_b32 s36, s17
	ds_load_b64 v[24:25], v24
.LBB67_22:                              ;   Parent Loop BB67_3 Depth=1
                                        ;     Parent Loop BB67_14 Depth=2
                                        ;       Parent Loop BB67_17 Depth=3
                                        ;         Parent Loop BB67_21 Depth=4
                                        ; =>        This Inner Loop Header: Depth=5
	s_cmp_eq_u32 s14, 1
	s_cselect_b32 vcc_lo, -1, 0
	s_delay_alu instid0(VALU_DEP_1) | instid1(SALU_CYCLE_1)
	v_dual_mov_b32 v28, s36 :: v_dual_cndmask_b32 v30, v11, v13, vcc_lo
	s_cmp_eq_u32 s14, 2
	s_cselect_b32 s1, -1, 0
	ds_load_b64 v[28:29], v28
	s_cmp_eq_u32 s14, 3
	s_cselect_b32 s2, -1, 0
	v_cndmask_b32_e32 v31, v10, v12, vcc_lo
	v_cndmask_b32_e64 v30, v30, v15, s1
	s_cmp_eq_u32 s14, 0
	s_add_nc_u64 s[14:15], s[14:15], 1
	s_cselect_b32 s3, -1, 0
	s_delay_alu instid0(VALU_DEP_1) | instskip(SKIP_2) | instid1(VALU_DEP_1)
	v_dual_cndmask_b32 v32, v31, v14, s1 :: v_dual_cndmask_b32 v31, v30, v17, s2
	s_add_co_i32 s36, s36, 32
	s_cmp_eq_u32 s31, s14
	v_cndmask_b32_e64 v30, v32, v16, s2
	s_wait_dscnt 0x0
	s_delay_alu instid0(VALU_DEP_1) | instskip(NEXT) | instid1(VALU_DEP_1)
	v_fma_f64 v[28:29], -v[24:25], v[28:29], v[30:31]
	v_dual_cndmask_b32 v17, v17, v29, s2 :: v_dual_cndmask_b32 v16, v16, v28, s2
	v_dual_cndmask_b32 v15, v15, v29, s1 :: v_dual_cndmask_b32 v14, v14, v28, s1
	v_dual_cndmask_b32 v13, v13, v29 :: v_dual_cndmask_b32 v12, v12, v28
	v_dual_cndmask_b32 v11, v11, v29, s3 :: v_dual_cndmask_b32 v10, v10, v28, s3
	s_cbranch_scc0 .LBB67_22
; %bb.23:                               ;   in Loop: Header=BB67_21 Depth=4
	s_add_co_i32 s16, s16, 1
	s_add_co_i32 s17, s17, 8
	s_cmp_eq_u32 s16, s26
	s_cbranch_scc0 .LBB67_21
.LBB67_24:                              ;   in Loop: Header=BB67_17 Depth=3
	s_lshl_b32 s36, s26, 5
	s_mov_b64 s[14:15], 0
	s_mov_b32 s37, s34
	s_branch .LBB67_27
.LBB67_25:                              ;   in Loop: Header=BB67_27 Depth=4
	s_mov_b32 s39, s26
	s_mov_b64 s[16:17], 0
	s_mov_b32 s38, s36
.LBB67_26:                              ;   in Loop: Header=BB67_27 Depth=4
	s_mul_i32 s1, s39, 40
	s_cmp_eq_u32 s16, 1
	s_add_nc_u64 s[14:15], s[14:15], 1
	s_cselect_b32 vcc_lo, -1, 0
	s_delay_alu instid0(SALU_CYCLE_1)
	v_dual_mov_b32 v24, s1 :: v_dual_cndmask_b32 v28, v11, v13, vcc_lo
	s_cmp_eq_u32 s16, 2
	s_cselect_b32 s1, -1, 0
	ds_load_b64 v[24:25], v24
	v_dual_cndmask_b32 v29, v10, v12, vcc_lo :: v_dual_cndmask_b32 v28, v28, v15, s1
	s_cmp_eq_u32 s16, 3
	s_cselect_b32 s2, -1, 0
	s_delay_alu instid0(VALU_DEP_1) | instid1(SALU_CYCLE_1)
	v_dual_cndmask_b32 v30, v29, v14, s1 :: v_dual_cndmask_b32 v29, v28, v17, s2
	s_cmp_eq_u32 s16, 0
	s_delay_alu instid0(VALU_DEP_1) | instskip(SKIP_1) | instid1(VALU_DEP_1)
	v_cndmask_b32_e64 v28, v30, v16, s2
	s_wait_dscnt 0x0
	v_dual_mul_f64 v[24:25], v[28:29], v[24:25] :: v_dual_add_nc_u32 v28, s38, v26
	s_delay_alu instid0(VALU_DEP_1)
	v_dual_cndmask_b32 v14, v14, v24, s1 :: v_dual_cndmask_b32 v13, v13, v25, vcc_lo
	v_cndmask_b32_e32 v12, v12, v24, vcc_lo
	s_cselect_b32 vcc_lo, -1, 0
	v_dual_cndmask_b32 v17, v17, v25, s2 :: v_dual_cndmask_b32 v16, v16, v24, s2
	v_cndmask_b32_e64 v15, v15, v25, s1
	v_dual_cndmask_b32 v11, v11, v25 :: v_dual_cndmask_b32 v10, v10, v24
	s_add_co_i32 s37, s37, 32
	s_cmp_eq_u32 s14, s31
	ds_store_b64 v28, v[24:25]
	s_cbranch_scc1 .LBB67_16
.LBB67_27:                              ;   Parent Loop BB67_3 Depth=1
                                        ;     Parent Loop BB67_14 Depth=2
                                        ;       Parent Loop BB67_17 Depth=3
                                        ; =>      This Loop Header: Depth=4
                                        ;           Child Loop BB67_29 Depth 5
	s_cmp_eq_u32 s14, 0
	s_cbranch_scc1 .LBB67_25
; %bb.28:                               ;   in Loop: Header=BB67_27 Depth=4
	s_add_co_i32 s39, s14, s26
	s_mov_b64 s[16:17], 0
	s_lshl_b32 s38, s39, 5
	s_mov_b32 s40, s37
.LBB67_29:                              ;   Parent Loop BB67_3 Depth=1
                                        ;     Parent Loop BB67_14 Depth=2
                                        ;       Parent Loop BB67_17 Depth=3
                                        ;         Parent Loop BB67_27 Depth=4
                                        ; =>        This Inner Loop Header: Depth=5
	s_cmp_eq_u32 s16, 1
	s_cselect_b32 vcc_lo, -1, 0
	s_delay_alu instid0(VALU_DEP_1) | instid1(SALU_CYCLE_1)
	v_dual_mov_b32 v24, s40 :: v_dual_cndmask_b32 v28, v11, v13, vcc_lo
	s_cmp_eq_u32 s16, 2
	s_cselect_b32 s1, -1, 0
	s_delay_alu instid0(VALU_DEP_1) | instid1(SALU_CYCLE_1)
	v_dual_cndmask_b32 v29, v10, v12, vcc_lo :: v_dual_cndmask_b32 v28, v28, v15, s1
	s_cmp_eq_u32 s16, 3
	ds_load_b64 v[24:25], v24
	s_cselect_b32 vcc_lo, -1, 0
	s_cmp_eq_u32 s14, 1
	v_cndmask_b32_e64 v30, v29, v14, s1
	s_cselect_b32 s1, -1, 0
	s_cmp_eq_u32 s14, 2
	v_dual_cndmask_b32 v31, v11, v13, s1 :: v_dual_cndmask_b32 v32, v10, v12, s1
	v_cndmask_b32_e32 v29, v28, v17, vcc_lo
	s_cselect_b32 s2, -1, 0
	s_cmp_eq_u32 s14, 3
	s_delay_alu instid0(VALU_DEP_2)
	v_dual_cndmask_b32 v28, v30, v16, vcc_lo :: v_dual_cndmask_b32 v30, v31, v15, s2
	s_cselect_b32 vcc_lo, -1, 0
	v_cndmask_b32_e64 v32, v32, v14, s2
	s_cmp_eq_u32 s14, 0
	s_add_nc_u64 s[16:17], s[16:17], 1
	v_cndmask_b32_e32 v31, v30, v17, vcc_lo
	s_cselect_b32 s3, -1, 0
	v_cndmask_b32_e32 v30, v32, v16, vcc_lo
	s_add_co_i32 s40, s40, 8
	s_cmp_eq_u32 s14, s16
	s_wait_dscnt 0x0
	s_delay_alu instid0(VALU_DEP_1) | instskip(NEXT) | instid1(VALU_DEP_1)
	v_fma_f64 v[24:25], -v[28:29], v[24:25], v[30:31]
	v_dual_cndmask_b32 v17, v17, v25 :: v_dual_cndmask_b32 v16, v16, v24
	v_dual_cndmask_b32 v15, v15, v25, s2 :: v_dual_cndmask_b32 v14, v14, v24, s2
	v_dual_cndmask_b32 v13, v13, v25, s1 :: v_dual_cndmask_b32 v12, v12, v24, s1
	;; [unrolled: 1-line block ×3, first 2 shown]
	s_cbranch_scc0 .LBB67_29
; %bb.30:                               ;   in Loop: Header=BB67_27 Depth=4
	s_mov_b64 s[16:17], s[14:15]
	s_branch .LBB67_26
.LBB67_31:                              ;   in Loop: Header=BB67_14 Depth=2
	s_cmp_lt_i32 s26, s21
	s_cselect_b32 s2, -1, 0
	s_add_co_i32 s1, s27, 1
	s_cmp_lt_u32 s27, 2
	s_cselect_b32 s3, -1, 0
	s_delay_alu instid0(SALU_CYCLE_1) | instskip(NEXT) | instid1(SALU_CYCLE_1)
	s_and_b32 s2, s2, s3
	s_and_b32 vcc_lo, exec_lo, s2
	s_cbranch_vccz .LBB67_33
; %bb.32:                               ;   in Loop: Header=BB67_14 Depth=2
	s_wait_xcnt 0x0
	s_mov_b32 s27, s1
	s_branch .LBB67_14
.LBB67_33:                              ;   in Loop: Header=BB67_3 Depth=1
	s_mov_b32 s1, 0
.LBB67_34:                              ;   in Loop: Header=BB67_3 Depth=1
	s_delay_alu instid0(SALU_CYCLE_1)
	s_and_b32 vcc_lo, exec_lo, s1
	s_cbranch_vccz .LBB67_54
; %bb.35:                               ;   in Loop: Header=BB67_3 Depth=1
	s_wait_xcnt 0x0
	s_mov_b32 s27, 0
	s_mov_b32 s26, s22
	s_load_b32 s28, s[10:11], s27 offset:0x0 scale_offset
	s_wait_kmcnt 0x0
	s_add_co_i32 s29, s28, -1
	s_delay_alu instid0(SALU_CYCLE_1)
	s_cmp_lt_i32 s26, s29
	s_cbranch_scc1 .LBB67_51
.LBB67_36:                              ;   in Loop: Header=BB67_3 Depth=1
	s_lshl_b32 s1, s28, 5
	v_lshl_add_u32 v12, s26, 5, v26
	s_sub_co_i32 s31, 0, s1
	s_lshl_b32 s1, s26, 3
	s_lshl_b32 s2, s28, 3
	s_max_i32 s30, s28, 1
	s_add_co_i32 s33, s25, s1
	s_sub_co_i32 s34, 0, s2
	s_mul_i32 s35, s26, 40
	s_mul_i32 s36, s28, 0xffffffd8
	s_branch .LBB67_38
.LBB67_37:                              ;   in Loop: Header=BB67_38 Depth=2
	v_add_nc_u32_e32 v12, s31, v12
	s_sub_co_i32 s26, s26, s28
	s_add_co_i32 s33, s33, s34
	s_add_co_i32 s35, s35, s36
	s_cmp_lt_i32 s26, s29
	s_cbranch_scc1 .LBB67_51
.LBB67_38:                              ;   Parent Loop BB67_3 Depth=1
                                        ; =>  This Loop Header: Depth=2
                                        ;       Child Loop BB67_39 Depth 3
                                        ;       Child Loop BB67_41 Depth 3
                                        ;         Child Loop BB67_42 Depth 4
                                        ;       Child Loop BB67_47 Depth 3
                                        ;         Child Loop BB67_49 Depth 4
	v_mov_b32_e32 v10, v12
	s_mov_b64 s[14:15], 0
.LBB67_39:                              ;   Parent Loop BB67_3 Depth=1
                                        ;     Parent Loop BB67_38 Depth=2
                                        ; =>    This Inner Loop Header: Depth=3
	ds_load_b64 v[14:15], v10
	s_cmp_eq_u32 s14, 3
	v_subrev_nc_u32_e32 v10, 32, v10
	s_cselect_b32 vcc_lo, -1, 0
	s_cmp_eq_u32 s14, 2
	s_cselect_b32 s1, -1, 0
	s_cmp_eq_u32 s14, 1
	s_cselect_b32 s2, -1, 0
	s_cmp_eq_u32 s14, 0
	s_add_nc_u64 s[14:15], s[14:15], 1
	s_cselect_b32 s3, -1, 0
	s_cmp_eq_u32 s30, s14
	s_wait_dscnt 0x0
	v_dual_cndmask_b32 v9, v9, v15 :: v_dual_cndmask_b32 v8, v8, v14
	v_dual_cndmask_b32 v7, v7, v15, s1 :: v_dual_cndmask_b32 v6, v6, v14, s1
	v_dual_cndmask_b32 v5, v5, v15, s2 :: v_dual_cndmask_b32 v4, v4, v14, s2
	;; [unrolled: 1-line block ×3, first 2 shown]
	s_cbranch_scc0 .LBB67_39
; %bb.40:                               ;   in Loop: Header=BB67_38 Depth=2
	s_cmp_le_i32 s22, s26
	s_mov_b32 s16, s33
	s_mov_b32 s17, s22
	s_cbranch_scc1 .LBB67_44
.LBB67_41:                              ;   Parent Loop BB67_3 Depth=1
                                        ;     Parent Loop BB67_38 Depth=2
                                        ; =>    This Loop Header: Depth=3
                                        ;         Child Loop BB67_42 Depth 4
	v_lshl_add_u32 v10, s17, 5, v26
	s_mov_b64 s[14:15], 0
	s_mov_b32 s37, s16
	ds_load_b64 v[10:11], v10
.LBB67_42:                              ;   Parent Loop BB67_3 Depth=1
                                        ;     Parent Loop BB67_38 Depth=2
                                        ;       Parent Loop BB67_41 Depth=3
                                        ; =>      This Inner Loop Header: Depth=4
	s_cmp_eq_u32 s14, 1
	s_cselect_b32 vcc_lo, -1, 0
	s_delay_alu instid0(VALU_DEP_1)
	v_dual_mov_b32 v13, s37 :: v_dual_cndmask_b32 v16, v3, v5
	s_cmp_eq_u32 s14, 2
	s_cselect_b32 s1, -1, 0
	ds_load_b64 v[14:15], v13
	v_dual_cndmask_b32 v17, v2, v4, vcc_lo :: v_dual_cndmask_b32 v13, v16, v7, s1
	s_cmp_eq_u32 s14, 3
	s_cselect_b32 s2, -1, 0
	s_delay_alu instid0(VALU_DEP_1) | instskip(NEXT) | instid1(VALU_DEP_2)
	v_cndmask_b32_e64 v16, v17, v6, s1
	v_cndmask_b32_e64 v17, v13, v9, s2
	s_cmp_eq_u32 s14, 0
	s_add_nc_u64 s[14:15], s[14:15], 1
	s_cselect_b32 s3, -1, 0
	v_cndmask_b32_e64 v16, v16, v8, s2
	s_add_co_i32 s37, s37, -8
	s_cmp_eq_u32 s30, s14
	s_wait_dscnt 0x0
	s_delay_alu instid0(VALU_DEP_1) | instskip(NEXT) | instid1(VALU_DEP_1)
	v_fma_f64 v[14:15], -v[10:11], v[14:15], v[16:17]
	v_dual_cndmask_b32 v9, v9, v15, s2 :: v_dual_cndmask_b32 v8, v8, v14, s2
	v_dual_cndmask_b32 v7, v7, v15, s1 :: v_dual_cndmask_b32 v6, v6, v14, s1
	v_dual_cndmask_b32 v5, v5, v15 :: v_dual_cndmask_b32 v4, v4, v14
	v_dual_cndmask_b32 v3, v3, v15, s3 :: v_dual_cndmask_b32 v2, v2, v14, s3
	s_cbranch_scc0 .LBB67_42
; %bb.43:                               ;   in Loop: Header=BB67_41 Depth=3
	s_add_co_i32 s17, s17, -1
	s_sub_co_i32 s16, s16, 32
	s_cmp_le_i32 s17, s26
	s_cbranch_scc0 .LBB67_41
.LBB67_44:                              ;   in Loop: Header=BB67_38 Depth=2
	s_mov_b64 s[14:15], 0
	s_mov_b32 s37, s35
	s_branch .LBB67_47
.LBB67_45:                              ;   in Loop: Header=BB67_47 Depth=3
	s_mov_b32 s38, s26
	s_mov_b64 s[16:17], 0
.LBB67_46:                              ;   in Loop: Header=BB67_47 Depth=3
	s_mul_i32 s1, s38, 40
	s_cmp_eq_u32 s16, 1
	s_add_nc_u64 s[14:15], s[14:15], 1
	s_cselect_b32 vcc_lo, -1, 0
	v_dual_mov_b32 v10, s1 :: v_dual_cndmask_b32 v13, v3, v5
	s_cmp_eq_u32 s16, 2
	s_cselect_b32 s1, -1, 0
	ds_load_b64 v[10:11], v10
	v_dual_cndmask_b32 v14, v2, v4, vcc_lo :: v_dual_cndmask_b32 v13, v13, v7, s1
	s_cmp_eq_u32 s16, 3
	s_cselect_b32 s2, -1, 0
	s_delay_alu instid0(VALU_DEP_1) | instid1(SALU_CYCLE_1)
	v_dual_cndmask_b32 v14, v14, v6, s1 :: v_dual_cndmask_b32 v15, v13, v9, s2
	s_cmp_eq_u32 s16, 0
	v_lshl_add_u32 v13, s38, 5, v26
	s_delay_alu instid0(VALU_DEP_2) | instskip(SKIP_1) | instid1(VALU_DEP_1)
	v_cndmask_b32_e64 v14, v14, v8, s2
	s_wait_dscnt 0x0
	v_mul_f64_e32 v[10:11], v[14:15], v[10:11]
	s_delay_alu instid0(VALU_DEP_1)
	v_dual_cndmask_b32 v6, v6, v10, s1 :: v_dual_cndmask_b32 v5, v5, v11, vcc_lo
	v_cndmask_b32_e32 v4, v4, v10, vcc_lo
	s_cselect_b32 vcc_lo, -1, 0
	v_dual_cndmask_b32 v9, v9, v11, s2 :: v_dual_cndmask_b32 v8, v8, v10, s2
	v_cndmask_b32_e64 v7, v7, v11, s1
	v_dual_cndmask_b32 v3, v3, v11 :: v_dual_cndmask_b32 v2, v2, v10
	s_add_co_i32 s37, s37, -8
	s_cmp_eq_u32 s14, s30
	ds_store_b64 v13, v[10:11]
	s_cbranch_scc1 .LBB67_37
.LBB67_47:                              ;   Parent Loop BB67_3 Depth=1
                                        ;     Parent Loop BB67_38 Depth=2
                                        ; =>    This Loop Header: Depth=3
                                        ;         Child Loop BB67_49 Depth 4
	s_cmp_eq_u32 s14, 0
	s_cbranch_scc1 .LBB67_45
; %bb.48:                               ;   in Loop: Header=BB67_47 Depth=3
	s_sub_co_i32 s38, s26, s14
	s_mov_b64 s[16:17], 0
	s_mov_b32 s39, s37
.LBB67_49:                              ;   Parent Loop BB67_3 Depth=1
                                        ;     Parent Loop BB67_38 Depth=2
                                        ;       Parent Loop BB67_47 Depth=3
                                        ; =>      This Inner Loop Header: Depth=4
	s_cmp_eq_u32 s16, 1
	s_cselect_b32 vcc_lo, -1, 0
	s_delay_alu instid0(VALU_DEP_1)
	v_dual_mov_b32 v10, s39 :: v_dual_cndmask_b32 v13, v3, v5
	s_cmp_eq_u32 s16, 2
	s_cselect_b32 s1, -1, 0
	s_delay_alu instid0(VALU_DEP_1) | instid1(SALU_CYCLE_1)
	v_dual_cndmask_b32 v14, v2, v4, vcc_lo :: v_dual_cndmask_b32 v13, v13, v7, s1
	s_cmp_eq_u32 s16, 3
	ds_load_b64 v[10:11], v10
	s_cselect_b32 vcc_lo, -1, 0
	s_cmp_eq_u32 s14, 1
	v_cndmask_b32_e64 v14, v14, v6, s1
	s_cselect_b32 s1, -1, 0
	s_cmp_eq_u32 s14, 2
	v_dual_cndmask_b32 v16, v3, v5, s1 :: v_dual_cndmask_b32 v17, v2, v4, s1
	v_cndmask_b32_e32 v15, v13, v9, vcc_lo
	s_cselect_b32 s2, -1, 0
	s_delay_alu instid0(VALU_DEP_2) | instid1(SALU_CYCLE_1)
	v_dual_cndmask_b32 v14, v14, v8, vcc_lo :: v_dual_cndmask_b32 v13, v16, v7, s2
	s_delay_alu instid0(VALU_DEP_3)
	v_cndmask_b32_e64 v16, v17, v6, s2
	s_cmp_eq_u32 s14, 3
	s_add_nc_u64 s[16:17], s[16:17], 1
	s_cselect_b32 vcc_lo, -1, 0
	s_cmp_eq_u32 s14, 0
	v_dual_cndmask_b32 v17, v13, v9 :: v_dual_cndmask_b32 v16, v16, v8
	s_cselect_b32 s3, -1, 0
	s_sub_co_i32 s39, s39, 32
	s_cmp_eq_u32 s14, s16
	s_wait_dscnt 0x0
	v_fma_f64 v[10:11], -v[14:15], v[10:11], v[16:17]
	s_delay_alu instid0(VALU_DEP_1)
	v_dual_cndmask_b32 v9, v9, v11 :: v_dual_cndmask_b32 v8, v8, v10
	v_dual_cndmask_b32 v7, v7, v11, s2 :: v_dual_cndmask_b32 v6, v6, v10, s2
	v_dual_cndmask_b32 v5, v5, v11, s1 :: v_dual_cndmask_b32 v4, v4, v10, s1
	;; [unrolled: 1-line block ×3, first 2 shown]
	s_cbranch_scc0 .LBB67_49
; %bb.50:                               ;   in Loop: Header=BB67_47 Depth=3
	s_mov_b64 s[16:17], s[14:15]
	s_branch .LBB67_46
.LBB67_51:                              ;   Parent Loop BB67_3 Depth=1
                                        ; =>  This Inner Loop Header: Depth=2
	s_cmp_gt_i32 s26, -1
	s_cselect_b32 s2, -1, 0
	s_add_co_i32 s1, s27, 1
	s_cmp_lt_u32 s27, 2
	s_cselect_b32 s3, -1, 0
	s_delay_alu instid0(SALU_CYCLE_1) | instskip(NEXT) | instid1(SALU_CYCLE_1)
	s_and_b32 s2, s2, s3
	s_and_not1_b32 vcc_lo, exec_lo, s2
	s_cbranch_vccnz .LBB67_53
; %bb.52:                               ;   in Loop: Header=BB67_51 Depth=2
	s_wait_xcnt 0x0
	s_mov_b32 s27, s1
	s_load_b32 s28, s[10:11], s27 offset:0x0 scale_offset
	s_wait_kmcnt 0x0
	s_add_co_i32 s29, s28, -1
	s_delay_alu instid0(SALU_CYCLE_1)
	s_cmp_lt_i32 s26, s29
	s_cbranch_scc0 .LBB67_36
	s_branch .LBB67_51
.LBB67_53:                              ;   in Loop: Header=BB67_3 Depth=1
	v_mov_b64_e32 v[16:17], v[8:9]
	v_mov_b64_e32 v[14:15], v[6:7]
	;; [unrolled: 1-line block ×4, first 2 shown]
.LBB67_54:                              ;   in Loop: Header=BB67_3 Depth=1
	s_wait_dscnt 0x0
	; wave barrier
	s_and_saveexec_b32 s1, s18
	s_cbranch_execz .LBB67_2
; %bb.55:                               ;   in Loop: Header=BB67_3 Depth=1
	v_mov_b32_e32 v2, v26
	s_mov_b32 s2, s21
.LBB67_56:                              ;   Parent Loop BB67_3 Depth=1
                                        ; =>  This Inner Loop Header: Depth=2
	ds_load_b64 v[4:5], v2
	v_add_nc_u32_e32 v2, 32, v2
	s_add_co_i32 s2, s2, -1
	s_delay_alu instid0(SALU_CYCLE_1)
	s_cmp_lg_u32 s2, 0
	s_wait_dscnt 0x0
	global_store_b64 v[22:23], v[4:5], off
	s_wait_xcnt 0x0
	v_add_nc_u64_e32 v[22:23], 8, v[22:23]
	s_cbranch_scc1 .LBB67_56
	s_branch .LBB67_2
.LBB67_57:
	s_endpgm
	.section	.rodata,"a",@progbits
	.p2align	6, 0x0
	.amdhsa_kernel _ZL38rocblas_trsm_small_left_device_sharedBILi4ELi4ELb0EddPKdPdEv13rocblas_fill_18rocblas_operation_17rocblas_diagonal_iiT3_T4_lilT5_lili
		.amdhsa_group_segment_fixed_size 256
		.amdhsa_private_segment_fixed_size 0
		.amdhsa_kernarg_size 360
		.amdhsa_user_sgpr_count 2
		.amdhsa_user_sgpr_dispatch_ptr 0
		.amdhsa_user_sgpr_queue_ptr 0
		.amdhsa_user_sgpr_kernarg_segment_ptr 1
		.amdhsa_user_sgpr_dispatch_id 0
		.amdhsa_user_sgpr_kernarg_preload_length 0
		.amdhsa_user_sgpr_kernarg_preload_offset 0
		.amdhsa_user_sgpr_private_segment_size 0
		.amdhsa_wavefront_size32 1
		.amdhsa_uses_dynamic_stack 0
		.amdhsa_enable_private_segment 0
		.amdhsa_system_sgpr_workgroup_id_x 1
		.amdhsa_system_sgpr_workgroup_id_y 0
		.amdhsa_system_sgpr_workgroup_id_z 1
		.amdhsa_system_sgpr_workgroup_info 0
		.amdhsa_system_vgpr_workitem_id 0
		.amdhsa_next_free_vgpr 33
		.amdhsa_next_free_sgpr 41
		.amdhsa_named_barrier_count 0
		.amdhsa_reserve_vcc 1
		.amdhsa_float_round_mode_32 0
		.amdhsa_float_round_mode_16_64 0
		.amdhsa_float_denorm_mode_32 3
		.amdhsa_float_denorm_mode_16_64 3
		.amdhsa_fp16_overflow 0
		.amdhsa_memory_ordered 1
		.amdhsa_forward_progress 1
		.amdhsa_inst_pref_size 23
		.amdhsa_round_robin_scheduling 0
		.amdhsa_exception_fp_ieee_invalid_op 0
		.amdhsa_exception_fp_denorm_src 0
		.amdhsa_exception_fp_ieee_div_zero 0
		.amdhsa_exception_fp_ieee_overflow 0
		.amdhsa_exception_fp_ieee_underflow 0
		.amdhsa_exception_fp_ieee_inexact 0
		.amdhsa_exception_int_div_zero 0
	.end_amdhsa_kernel
	.section	.text._ZL38rocblas_trsm_small_left_device_sharedBILi4ELi4ELb0EddPKdPdEv13rocblas_fill_18rocblas_operation_17rocblas_diagonal_iiT3_T4_lilT5_lili,"axG",@progbits,_ZL38rocblas_trsm_small_left_device_sharedBILi4ELi4ELb0EddPKdPdEv13rocblas_fill_18rocblas_operation_17rocblas_diagonal_iiT3_T4_lilT5_lili,comdat
.Lfunc_end67:
	.size	_ZL38rocblas_trsm_small_left_device_sharedBILi4ELi4ELb0EddPKdPdEv13rocblas_fill_18rocblas_operation_17rocblas_diagonal_iiT3_T4_lilT5_lili, .Lfunc_end67-_ZL38rocblas_trsm_small_left_device_sharedBILi4ELi4ELb0EddPKdPdEv13rocblas_fill_18rocblas_operation_17rocblas_diagonal_iiT3_T4_lilT5_lili
                                        ; -- End function
	.set _ZL38rocblas_trsm_small_left_device_sharedBILi4ELi4ELb0EddPKdPdEv13rocblas_fill_18rocblas_operation_17rocblas_diagonal_iiT3_T4_lilT5_lili.num_vgpr, 33
	.set _ZL38rocblas_trsm_small_left_device_sharedBILi4ELi4ELb0EddPKdPdEv13rocblas_fill_18rocblas_operation_17rocblas_diagonal_iiT3_T4_lilT5_lili.num_agpr, 0
	.set _ZL38rocblas_trsm_small_left_device_sharedBILi4ELi4ELb0EddPKdPdEv13rocblas_fill_18rocblas_operation_17rocblas_diagonal_iiT3_T4_lilT5_lili.numbered_sgpr, 41
	.set _ZL38rocblas_trsm_small_left_device_sharedBILi4ELi4ELb0EddPKdPdEv13rocblas_fill_18rocblas_operation_17rocblas_diagonal_iiT3_T4_lilT5_lili.num_named_barrier, 0
	.set _ZL38rocblas_trsm_small_left_device_sharedBILi4ELi4ELb0EddPKdPdEv13rocblas_fill_18rocblas_operation_17rocblas_diagonal_iiT3_T4_lilT5_lili.private_seg_size, 0
	.set _ZL38rocblas_trsm_small_left_device_sharedBILi4ELi4ELb0EddPKdPdEv13rocblas_fill_18rocblas_operation_17rocblas_diagonal_iiT3_T4_lilT5_lili.uses_vcc, 1
	.set _ZL38rocblas_trsm_small_left_device_sharedBILi4ELi4ELb0EddPKdPdEv13rocblas_fill_18rocblas_operation_17rocblas_diagonal_iiT3_T4_lilT5_lili.uses_flat_scratch, 0
	.set _ZL38rocblas_trsm_small_left_device_sharedBILi4ELi4ELb0EddPKdPdEv13rocblas_fill_18rocblas_operation_17rocblas_diagonal_iiT3_T4_lilT5_lili.has_dyn_sized_stack, 0
	.set _ZL38rocblas_trsm_small_left_device_sharedBILi4ELi4ELb0EddPKdPdEv13rocblas_fill_18rocblas_operation_17rocblas_diagonal_iiT3_T4_lilT5_lili.has_recursion, 0
	.set _ZL38rocblas_trsm_small_left_device_sharedBILi4ELi4ELb0EddPKdPdEv13rocblas_fill_18rocblas_operation_17rocblas_diagonal_iiT3_T4_lilT5_lili.has_indirect_call, 0
	.section	.AMDGPU.csdata,"",@progbits
; Kernel info:
; codeLenInByte = 2876
; TotalNumSgprs: 43
; NumVgprs: 33
; ScratchSize: 0
; MemoryBound: 0
; FloatMode: 240
; IeeeMode: 1
; LDSByteSize: 256 bytes/workgroup (compile time only)
; SGPRBlocks: 0
; VGPRBlocks: 2
; NumSGPRsForWavesPerEU: 43
; NumVGPRsForWavesPerEU: 33
; NamedBarCnt: 0
; Occupancy: 16
; WaveLimiterHint : 0
; COMPUTE_PGM_RSRC2:SCRATCH_EN: 0
; COMPUTE_PGM_RSRC2:USER_SGPR: 2
; COMPUTE_PGM_RSRC2:TRAP_HANDLER: 0
; COMPUTE_PGM_RSRC2:TGID_X_EN: 1
; COMPUTE_PGM_RSRC2:TGID_Y_EN: 0
; COMPUTE_PGM_RSRC2:TGID_Z_EN: 1
; COMPUTE_PGM_RSRC2:TIDIG_COMP_CNT: 0
	.section	.text._ZL30rocblas_trsm_small_left_deviceILi4ELi4ELb0EddPKdPdEv13rocblas_fill_18rocblas_operation_17rocblas_diagonal_iiT3_T4_lilT5_lili,"axG",@progbits,_ZL30rocblas_trsm_small_left_deviceILi4ELi4ELb0EddPKdPdEv13rocblas_fill_18rocblas_operation_17rocblas_diagonal_iiT3_T4_lilT5_lili,comdat
	.globl	_ZL30rocblas_trsm_small_left_deviceILi4ELi4ELb0EddPKdPdEv13rocblas_fill_18rocblas_operation_17rocblas_diagonal_iiT3_T4_lilT5_lili ; -- Begin function _ZL30rocblas_trsm_small_left_deviceILi4ELi4ELb0EddPKdPdEv13rocblas_fill_18rocblas_operation_17rocblas_diagonal_iiT3_T4_lilT5_lili
	.p2align	8
	.type	_ZL30rocblas_trsm_small_left_deviceILi4ELi4ELb0EddPKdPdEv13rocblas_fill_18rocblas_operation_17rocblas_diagonal_iiT3_T4_lilT5_lili,@function
_ZL30rocblas_trsm_small_left_deviceILi4ELi4ELb0EddPKdPdEv13rocblas_fill_18rocblas_operation_17rocblas_diagonal_iiT3_T4_lilT5_lili: ; @_ZL30rocblas_trsm_small_left_deviceILi4ELi4ELb0EddPKdPdEv13rocblas_fill_18rocblas_operation_17rocblas_diagonal_iiT3_T4_lilT5_lili
; %bb.0:
	s_load_b32 s33, s[0:1], 0x60
	s_bfe_u32 s2, ttmp6, 0x40014
	s_lshr_b32 s3, ttmp7, 16
	s_add_co_i32 s2, s2, 1
	s_bfe_u32 s5, ttmp6, 0x40008
	s_mul_i32 s4, s3, s2
	s_getreg_b32 s2, hwreg(HW_REG_IB_STS2, 6, 4)
	s_add_co_i32 s5, s5, s4
	s_cmp_eq_u32 s2, 0
	s_mov_b32 s19, 0
	s_cselect_b32 s20, s3, s5
	s_wait_kmcnt 0x0
	s_cmp_ge_u32 s20, s33
	s_cbranch_scc1 .LBB68_53
; %bb.1:
	s_clause 0x4
	s_load_b96 s[16:18], s[0:1], 0x28
	s_load_b96 s[24:26], s[0:1], 0x48
	s_load_b128 s[4:7], s[0:1], 0x4
	s_load_b32 s21, s[0:1], 0x68
	s_load_b64 s[22:23], s[0:1], 0x58
	s_bfe_u32 s3, ttmp6, 0x4000c
	s_and_b32 s27, ttmp6, 15
	s_add_co_i32 s3, s3, 1
	s_clause 0x1
	s_load_b128 s[8:11], s[0:1], 0x18
	s_load_b128 s[12:15], s[0:1], 0x38
	s_mul_i32 s3, ttmp9, s3
	s_mov_b32 s43, 0
	s_add_co_i32 s27, s27, s3
	v_dual_mov_b32 v19, 0 :: v_dual_lshlrev_b32 v1, 5, v0
	s_delay_alu instid0(VALU_DEP_1)
	v_dual_mov_b32 v5, v19 :: v_dual_lshlrev_b32 v18, 3, v0
	v_mov_b32_e32 v6, v19
	s_wait_kmcnt 0x0
	s_ashr_i32 s3, s18, 31
	s_ashr_i32 s1, s26, 31
	s_min_i32 s38, s6, 4
	s_lshl_b64 s[24:25], s[24:25], 3
	s_add_co_i32 s21, s21, -1
	s_add_co_i32 s39, s38, -1
	s_cmp_eq_u32 s2, 0
	s_mov_b32 s0, s26
	s_cselect_b32 s6, ttmp9, s27
	s_mov_b32 s2, s18
	s_lshl_b32 s27, s6, 2
	s_add_nc_u64 s[14:15], s[14:15], s[24:25]
	v_dual_mov_b32 v7, v19 :: v_dual_bitop2_b32 v2, s27, v0 bitop3:0x54
	v_dual_mov_b32 v8, v19 :: v_dual_mov_b32 v4, v19
	s_delay_alu instid0(VALU_DEP_2) | instskip(NEXT) | instid1(VALU_DEP_1)
	v_ashrrev_i32_e32 v3, 31, v2
	v_mul_u64_e32 v[10:11], s[0:1], v[2:3]
	s_sub_co_i32 s0, s7, s27
	s_cmp_ge_u32 s6, s21
	v_mov_b32_e32 v2, v19
	s_cselect_b32 s1, s0, 4
	s_cmp_lg_u32 s5, 0x84
	v_dual_mov_b32 v9, v19 :: v_dual_add_nc_u32 v30, v18, v1
	s_cselect_b32 s40, -1, 0
	s_cmp_lg_u32 s4, 0x6f
	v_cmp_gt_i32_e64 s0, s38, v0
	s_cselect_b32 s41, -1, 0
	s_lshl_b64 s[4:5], s[16:17], 3
	s_lshl_b64 s[6:7], s[12:13], 3
	;; [unrolled: 1-line block ×3, first 2 shown]
	s_add_nc_u64 s[2:3], s[10:11], s[4:5]
	v_cmp_gt_i32_e64 s1, s1, v0
	v_add_nc_u64_e32 v[0:1], s[2:3], v[18:19]
	v_mov_b32_e32 v3, v19
	s_lshl_b32 s16, s38, 5
	s_get_pc_i64 s[10:11]
	s_add_nc_u64 s[10:11], s[10:11], __const._ZL30rocblas_trsm_small_left_deviceILi4ELi4ELb0EddPKdPdEv13rocblas_fill_18rocblas_operation_17rocblas_diagonal_iiT3_T4_lilT5_lili.step_sizes@rel64+4
	s_sub_co_i32 s42, s16, 32
	v_lshl_add_u64 v[20:21], v[10:11], 3, s[14:15]
	s_lshl_b64 s[14:15], s[22:23], 3
	s_branch .LBB68_5
.LBB68_2:                               ;   in Loop: Header=BB68_5 Depth=1
	s_wait_xcnt 0x0
	v_mov_b64_e32 v[16:17], v[8:9]
	v_mov_b64_e32 v[14:15], v[6:7]
	;; [unrolled: 1-line block ×4, first 2 shown]
.LBB68_3:                               ;   in Loop: Header=BB68_5 Depth=1
	s_add_co_i32 s20, s20, 0x10000
	s_delay_alu instid0(SALU_CYCLE_1) | instskip(SKIP_1) | instid1(SALU_CYCLE_1)
	s_cmp_ge_u32 s20, s33
	s_cselect_b32 s2, -1, 0
	s_or_not1_b32 s2, s2, exec_lo
.LBB68_4:                               ;   in Loop: Header=BB68_5 Depth=1
	s_wait_xcnt 0x0
	s_or_b32 exec_lo, exec_lo, s44
	v_mov_b64_e32 v[2:3], v[10:11]
	v_mov_b64_e32 v[4:5], v[12:13]
	;; [unrolled: 1-line block ×4, first 2 shown]
	s_and_b32 s2, exec_lo, s2
	s_delay_alu instid0(SALU_CYCLE_1) | instskip(NEXT) | instid1(SALU_CYCLE_1)
	s_or_b32 s43, s2, s43
	s_and_not1_b32 exec_lo, exec_lo, s43
	s_cbranch_execz .LBB68_53
.LBB68_5:                               ; =>This Loop Header: Depth=1
                                        ;     Child Loop BB68_7 Depth 2
                                        ;     Child Loop BB68_14 Depth 2
                                        ;       Child Loop BB68_17 Depth 3
                                        ;         Child Loop BB68_18 Depth 4
                                        ;         Child Loop BB68_21 Depth 4
                                        ;           Child Loop BB68_22 Depth 5
                                        ;         Child Loop BB68_27 Depth 4
                                        ;           Child Loop BB68_29 Depth 5
                                        ;     Child Loop BB68_38 Depth 2
                                        ;       Child Loop BB68_39 Depth 3
                                        ;       Child Loop BB68_41 Depth 3
                                        ;         Child Loop BB68_42 Depth 4
                                        ;       Child Loop BB68_47 Depth 3
                                        ;         Child Loop BB68_49 Depth 4
                                        ;     Child Loop BB68_51 Depth 2
	s_mov_b32 s21, s19
	s_and_saveexec_b32 s2, s0
	s_cbranch_execz .LBB68_11
; %bb.6:                                ;   in Loop: Header=BB68_5 Depth=1
	v_mad_nc_u64_u32 v[10:11], s6, s20, v[0:1]
	v_mov_b32_e32 v12, v18
	s_mov_b32 s3, s38
	s_delay_alu instid0(VALU_DEP_2)
	v_mad_u32 v11, s7, s20, v11
.LBB68_7:                               ;   Parent Loop BB68_5 Depth=1
                                        ; =>  This Inner Loop Header: Depth=2
	global_load_b64 v[14:15], v[10:11], off
	s_wait_xcnt 0x0
	v_add_nc_u64_e32 v[10:11], s[12:13], v[10:11]
	s_add_co_i32 s3, s3, -1
	s_delay_alu instid0(SALU_CYCLE_1)
	s_cmp_eq_u32 s3, 0
	s_wait_loadcnt 0x0
	ds_store_b64 v12, v[14:15]
	v_add_nc_u32_e32 v12, 32, v12
	s_cbranch_scc0 .LBB68_7
; %bb.8:                                ;   in Loop: Header=BB68_5 Depth=1
	v_mov_b64_e32 v[10:11], 1.0
	s_and_b32 vcc_lo, exec_lo, s40
	s_cbranch_vccz .LBB68_10
; %bb.9:                                ;   in Loop: Header=BB68_5 Depth=1
	ds_load_b64 v[10:11], v30
	s_wait_dscnt 0x0
	v_div_scale_f64 v[12:13], null, v[10:11], v[10:11], 1.0
	s_delay_alu instid0(VALU_DEP_1) | instskip(SKIP_1) | instid1(TRANS32_DEP_1)
	v_rcp_f64_e32 v[14:15], v[12:13]
	v_nop
	v_fma_f64 v[16:17], -v[12:13], v[14:15], 1.0
	s_delay_alu instid0(VALU_DEP_1) | instskip(NEXT) | instid1(VALU_DEP_1)
	v_fmac_f64_e32 v[14:15], v[14:15], v[16:17]
	v_fma_f64 v[16:17], -v[12:13], v[14:15], 1.0
	s_delay_alu instid0(VALU_DEP_1) | instskip(SKIP_1) | instid1(VALU_DEP_1)
	v_fmac_f64_e32 v[14:15], v[14:15], v[16:17]
	v_div_scale_f64 v[16:17], vcc_lo, 1.0, v[10:11], 1.0
	v_mul_f64_e32 v[22:23], v[16:17], v[14:15]
	s_delay_alu instid0(VALU_DEP_1) | instskip(NEXT) | instid1(VALU_DEP_1)
	v_fma_f64 v[12:13], -v[12:13], v[22:23], v[16:17]
	v_div_fmas_f64 v[12:13], v[12:13], v[14:15], v[22:23]
	s_delay_alu instid0(VALU_DEP_1)
	v_div_fixup_f64 v[10:11], v[12:13], v[10:11], 1.0
.LBB68_10:                              ;   in Loop: Header=BB68_5 Depth=1
	ds_store_b64 v30, v[10:11]
.LBB68_11:                              ;   in Loop: Header=BB68_5 Depth=1
	s_or_b32 exec_lo, exec_lo, s2
	s_mov_b32 s2, -1
	s_wait_dscnt 0x0
	; wave barrier
                                        ; implicit-def: $vgpr10_vgpr11_vgpr12_vgpr13_vgpr14_vgpr15_vgpr16_vgpr17
	s_and_saveexec_b32 s44, s1
	s_cbranch_execz .LBB68_4
; %bb.12:                               ;   in Loop: Header=BB68_5 Depth=1
	s_mul_u64 s[2:3], s[22:23], s[20:21]
	s_mul_u64 s[16:17], s[14:15], s[20:21]
	v_lshl_add_u64 v[22:23], s[2:3], 3, v[20:21]
	s_and_not1_b32 vcc_lo, exec_lo, s41
	s_mov_b32 s2, -1
                                        ; implicit-def: $vgpr10_vgpr11_vgpr12_vgpr13_vgpr14_vgpr15_vgpr16_vgpr17
	s_cbranch_vccnz .LBB68_34
; %bb.13:                               ;   in Loop: Header=BB68_5 Depth=1
	v_mov_b64_e32 v[16:17], v[8:9]
	v_add_nc_u64_e32 v[24:25], s[16:17], v[20:21]
	v_mov_b64_e32 v[14:15], v[6:7]
	v_mov_b64_e32 v[12:13], v[4:5]
	;; [unrolled: 1-line block ×3, first 2 shown]
	s_mov_b32 s21, 0
	s_mov_b32 s24, 0
.LBB68_14:                              ;   Parent Loop BB68_5 Depth=1
                                        ; =>  This Loop Header: Depth=2
                                        ;       Child Loop BB68_17 Depth 3
                                        ;         Child Loop BB68_18 Depth 4
                                        ;         Child Loop BB68_21 Depth 4
                                        ;           Child Loop BB68_22 Depth 5
                                        ;         Child Loop BB68_27 Depth 4
                                        ;           Child Loop BB68_29 Depth 5
	s_load_b32 s26, s[10:11], s21 offset:0x0 scale_offset
	s_wait_kmcnt 0x0
	s_add_co_i32 s45, s26, -1
	s_delay_alu instid0(SALU_CYCLE_1) | instskip(NEXT) | instid1(SALU_CYCLE_1)
	s_add_co_i32 s2, s45, s24
	s_cmp_ge_i32 s2, s38
	s_cbranch_scc1 .LBB68_31
; %bb.15:                               ;   in Loop: Header=BB68_14 Depth=2
	s_ashr_i32 s25, s24, 31
	s_ashr_i32 s27, s26, 31
	v_lshl_add_u64 v[26:27], s[24:25], 3, v[24:25]
	s_max_i32 s46, s26, 1
	s_lshl_b64 s[28:29], s[26:27], 3
	s_lshl_b32 s25, s24, 5
	s_lshl_b32 s27, s26, 5
	s_mul_i32 s47, s24, 40
	s_mul_i32 s48, s26, 40
	s_branch .LBB68_17
.LBB68_16:                              ;   in Loop: Header=BB68_17 Depth=3
	v_add_nc_u64_e32 v[26:27], s[28:29], v[26:27]
	s_add_co_i32 s24, s24, s26
	s_add_co_i32 s25, s25, s27
	;; [unrolled: 1-line block ×4, first 2 shown]
	s_cmp_ge_i32 s2, s38
	s_cbranch_scc1 .LBB68_31
.LBB68_17:                              ;   Parent Loop BB68_5 Depth=1
                                        ;     Parent Loop BB68_14 Depth=2
                                        ; =>    This Loop Header: Depth=3
                                        ;         Child Loop BB68_18 Depth 4
                                        ;         Child Loop BB68_21 Depth 4
                                        ;           Child Loop BB68_22 Depth 5
                                        ;         Child Loop BB68_27 Depth 4
                                        ;           Child Loop BB68_29 Depth 5
	s_wait_xcnt 0x0
	v_mov_b64_e32 v[28:29], v[26:27]
	s_mov_b64 s[30:31], 0
.LBB68_18:                              ;   Parent Loop BB68_5 Depth=1
                                        ;     Parent Loop BB68_14 Depth=2
                                        ;       Parent Loop BB68_17 Depth=3
                                        ; =>      This Inner Loop Header: Depth=4
	global_load_b64 v[32:33], v[28:29], off
	s_cmp_eq_u32 s30, 3
	s_wait_xcnt 0x0
	v_add_nc_u64_e32 v[28:29], 8, v[28:29]
	s_cselect_b32 vcc_lo, -1, 0
	s_cmp_eq_u32 s30, 2
	s_cselect_b32 s2, -1, 0
	s_cmp_eq_u32 s30, 1
	s_cselect_b32 s3, -1, 0
	s_cmp_eq_u32 s30, 0
	s_add_nc_u64 s[30:31], s[30:31], 1
	s_cselect_b32 s4, -1, 0
	s_cmp_eq_u32 s46, s30
	s_wait_loadcnt 0x0
	v_mul_f64_e32 v[32:33], s[8:9], v[32:33]
	s_delay_alu instid0(VALU_DEP_1)
	v_dual_cndmask_b32 v17, v17, v33 :: v_dual_cndmask_b32 v16, v16, v32
	v_dual_cndmask_b32 v15, v15, v33, s2 :: v_dual_cndmask_b32 v14, v14, v32, s2
	v_dual_cndmask_b32 v13, v13, v33, s3 :: v_dual_cndmask_b32 v12, v12, v32, s3
	;; [unrolled: 1-line block ×3, first 2 shown]
	s_cbranch_scc0 .LBB68_18
; %bb.19:                               ;   in Loop: Header=BB68_17 Depth=3
	s_cmp_lt_i32 s24, 1
	s_cbranch_scc1 .LBB68_24
; %bb.20:                               ;   in Loop: Header=BB68_17 Depth=3
	s_mov_b32 s18, 0
	s_mov_b32 s5, s25
.LBB68_21:                              ;   Parent Loop BB68_5 Depth=1
                                        ;     Parent Loop BB68_14 Depth=2
                                        ;       Parent Loop BB68_17 Depth=3
                                        ; =>      This Loop Header: Depth=4
                                        ;           Child Loop BB68_22 Depth 5
	s_wait_xcnt 0x0
	v_lshl_add_u64 v[28:29], s[18:19], 3, v[22:23]
	s_mov_b64 s[30:31], 0
	s_mov_b32 s34, s5
	global_load_b64 v[28:29], v[28:29], off
.LBB68_22:                              ;   Parent Loop BB68_5 Depth=1
                                        ;     Parent Loop BB68_14 Depth=2
                                        ;       Parent Loop BB68_17 Depth=3
                                        ;         Parent Loop BB68_21 Depth=4
                                        ; =>        This Inner Loop Header: Depth=5
	s_cmp_eq_u32 s30, 1
	s_cselect_b32 vcc_lo, -1, 0
	s_delay_alu instid0(VALU_DEP_1) | instid1(SALU_CYCLE_1)
	v_dual_mov_b32 v19, s34 :: v_dual_cndmask_b32 v31, v11, v13, vcc_lo
	s_cmp_eq_u32 s30, 2
	s_cselect_b32 s2, -1, 0
	ds_load_b64 v[32:33], v19
	v_dual_cndmask_b32 v34, v10, v12, vcc_lo :: v_dual_cndmask_b32 v19, v31, v15, s2
	s_cmp_eq_u32 s30, 3
	s_cselect_b32 s3, -1, 0
	s_delay_alu instid0(VALU_DEP_1) | instid1(SALU_CYCLE_1)
	v_dual_cndmask_b32 v31, v34, v14, s2 :: v_dual_cndmask_b32 v35, v19, v17, s3
	s_cmp_eq_u32 s30, 0
	s_add_nc_u64 s[30:31], s[30:31], 1
	s_cselect_b32 s4, -1, 0
	s_delay_alu instid0(VALU_DEP_1) | instskip(SKIP_3) | instid1(VALU_DEP_1)
	v_cndmask_b32_e64 v34, v31, v16, s3
	s_add_co_i32 s34, s34, 32
	s_cmp_eq_u32 s46, s30
	s_wait_loadcnt_dscnt 0x0
	v_fma_f64 v[32:33], -v[28:29], v[32:33], v[34:35]
	s_delay_alu instid0(VALU_DEP_1)
	v_dual_cndmask_b32 v17, v17, v33, s3 :: v_dual_cndmask_b32 v16, v16, v32, s3
	v_dual_cndmask_b32 v15, v15, v33, s2 :: v_dual_cndmask_b32 v14, v14, v32, s2
	v_dual_cndmask_b32 v13, v13, v33 :: v_dual_cndmask_b32 v12, v12, v32
	v_dual_cndmask_b32 v11, v11, v33, s4 :: v_dual_cndmask_b32 v10, v10, v32, s4
	s_cbranch_scc0 .LBB68_22
; %bb.23:                               ;   in Loop: Header=BB68_21 Depth=4
	s_add_co_i32 s18, s18, 1
	s_add_co_i32 s5, s5, 8
	s_cmp_eq_u32 s18, s24
	s_cbranch_scc0 .LBB68_21
.LBB68_24:                              ;   in Loop: Header=BB68_17 Depth=3
	s_mov_b64 s[30:31], 0
	s_mov_b32 s18, s47
	s_branch .LBB68_27
.LBB68_25:                              ;   in Loop: Header=BB68_27 Depth=4
	s_mov_b32 s34, s24
	s_mov_b64 s[4:5], 0
.LBB68_26:                              ;   in Loop: Header=BB68_27 Depth=4
	s_mul_i32 s2, s34, 40
	s_cmp_eq_u32 s4, 1
	s_add_nc_u64 s[30:31], s[30:31], 1
	s_cselect_b32 vcc_lo, -1, 0
	s_delay_alu instid0(SALU_CYCLE_1)
	v_dual_mov_b32 v19, s2 :: v_dual_cndmask_b32 v31, v10, v12, vcc_lo
	s_cmp_eq_u32 s4, 2
	s_cselect_b32 s2, -1, 0
	s_wait_xcnt 0x0
	ds_load_b64 v[28:29], v19
	s_cmp_eq_u32 s4, 3
	s_cselect_b32 s3, -1, 0
	v_cndmask_b32_e32 v19, v11, v13, vcc_lo
	v_cndmask_b32_e64 v31, v31, v14, s2
	s_cmp_eq_u32 s4, 0
	s_cselect_b32 s4, -1, 0
	s_ashr_i32 s35, s34, 31
	s_delay_alu instid0(VALU_DEP_1) | instskip(SKIP_3) | instid1(VALU_DEP_1)
	v_cndmask_b32_e64 v32, v31, v16, s3
	v_cndmask_b32_e64 v19, v19, v15, s2
	s_add_co_i32 s18, s18, 32
	s_cmp_eq_u32 s30, s46
	v_cndmask_b32_e64 v33, v19, v17, s3
	s_wait_dscnt 0x0
	s_delay_alu instid0(VALU_DEP_1) | instskip(SKIP_1) | instid1(VALU_DEP_2)
	v_mul_f64_e32 v[28:29], v[32:33], v[28:29]
	v_lshl_add_u64 v[32:33], s[34:35], 3, v[22:23]
	v_dual_cndmask_b32 v17, v17, v29, s3 :: v_dual_cndmask_b32 v16, v16, v28, s3
	v_dual_cndmask_b32 v15, v15, v29, s2 :: v_dual_cndmask_b32 v12, v12, v28, vcc_lo
	v_dual_cndmask_b32 v14, v14, v28, s2 :: v_dual_cndmask_b32 v13, v13, v29, vcc_lo
	v_dual_cndmask_b32 v11, v11, v29, s4 :: v_dual_cndmask_b32 v10, v10, v28, s4
	global_store_b64 v[32:33], v[28:29], off
	s_cbranch_scc1 .LBB68_16
.LBB68_27:                              ;   Parent Loop BB68_5 Depth=1
                                        ;     Parent Loop BB68_14 Depth=2
                                        ;       Parent Loop BB68_17 Depth=3
                                        ; =>      This Loop Header: Depth=4
                                        ;           Child Loop BB68_29 Depth 5
	s_cmp_eq_u32 s30, 0
	s_cbranch_scc1 .LBB68_25
; %bb.28:                               ;   in Loop: Header=BB68_27 Depth=4
	s_add_co_i32 s34, s30, s24
	s_mov_b64 s[36:37], 0
	s_mov_b32 s5, s18
.LBB68_29:                              ;   Parent Loop BB68_5 Depth=1
                                        ;     Parent Loop BB68_14 Depth=2
                                        ;       Parent Loop BB68_17 Depth=3
                                        ;         Parent Loop BB68_27 Depth=4
                                        ; =>        This Inner Loop Header: Depth=5
	s_cmp_eq_u32 s36, 1
	s_cselect_b32 vcc_lo, -1, 0
	s_delay_alu instid0(VALU_DEP_1) | instid1(SALU_CYCLE_1)
	v_dual_mov_b32 v19, s5 :: v_dual_cndmask_b32 v31, v11, v13, vcc_lo
	s_cmp_eq_u32 s36, 2
	s_cselect_b32 s2, -1, 0
	s_wait_xcnt 0x0
	v_cndmask_b32_e32 v32, v10, v12, vcc_lo
	s_cmp_eq_u32 s36, 3
	ds_load_b64 v[28:29], v19
	s_cselect_b32 vcc_lo, -1, 0
	s_cmp_eq_u32 s30, 1
	v_dual_cndmask_b32 v19, v31, v15, s2 :: v_dual_cndmask_b32 v31, v32, v14, s2
	s_cselect_b32 s2, -1, 0
	s_cmp_eq_u32 s30, 2
	v_dual_cndmask_b32 v34, v11, v13, s2 :: v_dual_cndmask_b32 v35, v10, v12, s2
	s_delay_alu instid0(VALU_DEP_2)
	v_cndmask_b32_e32 v33, v19, v17, vcc_lo
	s_cselect_b32 s3, -1, 0
	s_delay_alu instid0(VALU_DEP_2) | instid1(SALU_CYCLE_1)
	v_dual_cndmask_b32 v32, v31, v16, vcc_lo :: v_dual_cndmask_b32 v19, v34, v15, s3
	s_delay_alu instid0(VALU_DEP_3)
	v_cndmask_b32_e64 v31, v35, v14, s3
	s_cmp_eq_u32 s30, 3
	s_add_nc_u64 s[36:37], s[36:37], 1
	s_cselect_b32 vcc_lo, -1, 0
	s_cmp_eq_u32 s30, 0
	v_cndmask_b32_e32 v35, v19, v17, vcc_lo
	v_cndmask_b32_e32 v34, v31, v16, vcc_lo
	s_cselect_b32 s4, -1, 0
	s_add_co_i32 s5, s5, 8
	s_cmp_eq_u32 s30, s36
	s_wait_dscnt 0x0
	v_fma_f64 v[28:29], -v[32:33], v[28:29], v[34:35]
	s_delay_alu instid0(VALU_DEP_1)
	v_dual_cndmask_b32 v17, v17, v29 :: v_dual_cndmask_b32 v16, v16, v28
	v_dual_cndmask_b32 v15, v15, v29, s3 :: v_dual_cndmask_b32 v14, v14, v28, s3
	v_dual_cndmask_b32 v13, v13, v29, s2 :: v_dual_cndmask_b32 v12, v12, v28, s2
	;; [unrolled: 1-line block ×3, first 2 shown]
	s_cbranch_scc0 .LBB68_29
; %bb.30:                               ;   in Loop: Header=BB68_27 Depth=4
	s_mov_b64 s[4:5], s[30:31]
	s_branch .LBB68_26
.LBB68_31:                              ;   in Loop: Header=BB68_14 Depth=2
	s_cmp_lt_i32 s24, s38
	s_cselect_b32 s3, -1, 0
	s_add_co_i32 s2, s21, 1
	s_cmp_lt_u32 s21, 2
	s_cselect_b32 s4, -1, 0
	s_delay_alu instid0(SALU_CYCLE_1) | instskip(NEXT) | instid1(SALU_CYCLE_1)
	s_and_b32 s3, s3, s4
	s_and_b32 vcc_lo, exec_lo, s3
	s_cbranch_vccz .LBB68_33
; %bb.32:                               ;   in Loop: Header=BB68_14 Depth=2
	s_wait_xcnt 0x0
	s_mov_b32 s21, s2
	s_branch .LBB68_14
.LBB68_33:                              ;   in Loop: Header=BB68_5 Depth=1
	s_mov_b32 s2, 0
.LBB68_34:                              ;   in Loop: Header=BB68_5 Depth=1
	s_delay_alu instid0(SALU_CYCLE_1)
	s_and_b32 vcc_lo, exec_lo, s2
	s_cbranch_vccz .LBB68_3
; %bb.35:                               ;   in Loop: Header=BB68_5 Depth=1
	v_add_nc_u64_e32 v[10:11], s[16:17], v[20:21]
	s_mov_b32 s18, 0
	s_mov_b32 s16, s39
	s_wait_xcnt 0x0
	s_load_b32 s21, s[10:11], s18 offset:0x0 scale_offset
	s_wait_kmcnt 0x0
	s_add_co_i32 s28, s21, -1
	s_delay_alu instid0(SALU_CYCLE_1)
	s_cmp_lt_i32 s16, s28
	s_cbranch_scc1 .LBB68_51
.LBB68_36:                              ;   in Loop: Header=BB68_5 Depth=1
	s_lshl_b32 s2, s16, 3
	s_lshl_b32 s3, s21, 3
	s_max_i32 s29, s21, 1
	s_add_co_i32 s30, s42, s2
	s_sub_co_i32 s31, 0, s3
	s_mul_i32 s34, s16, 40
	s_mul_i32 s35, s21, 0xffffffd8
	s_branch .LBB68_38
.LBB68_37:                              ;   in Loop: Header=BB68_38 Depth=2
	s_sub_co_i32 s16, s16, s21
	s_add_co_i32 s30, s30, s31
	s_add_co_i32 s34, s34, s35
	s_cmp_lt_i32 s16, s28
	s_cbranch_scc1 .LBB68_51
.LBB68_38:                              ;   Parent Loop BB68_5 Depth=1
                                        ; =>  This Loop Header: Depth=2
                                        ;       Child Loop BB68_39 Depth 3
                                        ;       Child Loop BB68_41 Depth 3
                                        ;         Child Loop BB68_42 Depth 4
                                        ;       Child Loop BB68_47 Depth 3
                                        ;         Child Loop BB68_49 Depth 4
	s_ashr_i32 s17, s16, 31
	s_mov_b64 s[24:25], 0
	s_wait_xcnt 0x0
	v_lshl_add_u64 v[12:13], s[16:17], 3, v[10:11]
.LBB68_39:                              ;   Parent Loop BB68_5 Depth=1
                                        ;     Parent Loop BB68_38 Depth=2
                                        ; =>    This Inner Loop Header: Depth=3
	global_load_b64 v[14:15], v[12:13], off
	s_cmp_eq_u32 s24, 3
	s_wait_xcnt 0x0
	v_add_nc_u64_e32 v[12:13], -8, v[12:13]
	s_cselect_b32 vcc_lo, -1, 0
	s_cmp_eq_u32 s24, 2
	s_cselect_b32 s2, -1, 0
	s_cmp_eq_u32 s24, 1
	s_cselect_b32 s3, -1, 0
	s_cmp_eq_u32 s24, 0
	s_add_nc_u64 s[24:25], s[24:25], 1
	s_cselect_b32 s4, -1, 0
	s_cmp_eq_u32 s29, s24
	s_wait_loadcnt 0x0
	v_mul_f64_e32 v[14:15], s[8:9], v[14:15]
	s_delay_alu instid0(VALU_DEP_1)
	v_dual_cndmask_b32 v9, v9, v15 :: v_dual_cndmask_b32 v8, v8, v14
	v_dual_cndmask_b32 v7, v7, v15, s2 :: v_dual_cndmask_b32 v6, v6, v14, s2
	v_dual_cndmask_b32 v5, v5, v15, s3 :: v_dual_cndmask_b32 v4, v4, v14, s3
	;; [unrolled: 1-line block ×3, first 2 shown]
	s_cbranch_scc0 .LBB68_39
; %bb.40:                               ;   in Loop: Header=BB68_38 Depth=2
	s_cmp_le_i32 s39, s16
	s_mov_b32 s5, s30
	s_mov_b32 s24, s39
	s_cbranch_scc1 .LBB68_44
.LBB68_41:                              ;   Parent Loop BB68_5 Depth=1
                                        ;     Parent Loop BB68_38 Depth=2
                                        ; =>    This Loop Header: Depth=3
                                        ;         Child Loop BB68_42 Depth 4
	s_ashr_i32 s25, s24, 31
	s_mov_b64 s[26:27], 0
	s_wait_xcnt 0x0
	v_lshl_add_u64 v[12:13], s[24:25], 3, v[22:23]
	s_mov_b32 s25, s5
	global_load_b64 v[12:13], v[12:13], off
.LBB68_42:                              ;   Parent Loop BB68_5 Depth=1
                                        ;     Parent Loop BB68_38 Depth=2
                                        ;       Parent Loop BB68_41 Depth=3
                                        ; =>      This Inner Loop Header: Depth=4
	s_cmp_eq_u32 s26, 1
	s_cselect_b32 vcc_lo, -1, 0
	s_delay_alu instid0(VALU_DEP_1) | instid1(SALU_CYCLE_1)
	v_dual_mov_b32 v14, s25 :: v_dual_cndmask_b32 v16, v3, v5, vcc_lo
	s_cmp_eq_u32 s26, 2
	s_cselect_b32 s2, -1, 0
	ds_load_b64 v[14:15], v14
	v_dual_cndmask_b32 v17, v2, v4, vcc_lo :: v_dual_cndmask_b32 v16, v16, v7, s2
	s_cmp_eq_u32 s26, 3
	s_cselect_b32 s3, -1, 0
	s_delay_alu instid0(VALU_DEP_1) | instid1(SALU_CYCLE_1)
	v_dual_cndmask_b32 v19, v17, v6, s2 :: v_dual_cndmask_b32 v17, v16, v9, s3
	s_cmp_eq_u32 s26, 0
	s_add_nc_u64 s[26:27], s[26:27], 1
	s_cselect_b32 s4, -1, 0
	s_delay_alu instid0(VALU_DEP_1) | instskip(SKIP_3) | instid1(VALU_DEP_1)
	v_cndmask_b32_e64 v16, v19, v8, s3
	s_add_co_i32 s25, s25, -8
	s_cmp_eq_u32 s29, s26
	s_wait_loadcnt_dscnt 0x0
	v_fma_f64 v[14:15], -v[12:13], v[14:15], v[16:17]
	s_delay_alu instid0(VALU_DEP_1)
	v_dual_cndmask_b32 v9, v9, v15, s3 :: v_dual_cndmask_b32 v8, v8, v14, s3
	v_dual_cndmask_b32 v7, v7, v15, s2 :: v_dual_cndmask_b32 v6, v6, v14, s2
	v_dual_cndmask_b32 v5, v5, v15 :: v_dual_cndmask_b32 v4, v4, v14
	v_dual_cndmask_b32 v3, v3, v15, s4 :: v_dual_cndmask_b32 v2, v2, v14, s4
	s_cbranch_scc0 .LBB68_42
; %bb.43:                               ;   in Loop: Header=BB68_41 Depth=3
	s_add_co_i32 s24, s24, -1
	s_sub_co_i32 s5, s5, 32
	s_cmp_le_i32 s24, s16
	s_cbranch_scc0 .LBB68_41
.LBB68_44:                              ;   in Loop: Header=BB68_38 Depth=2
	s_mov_b64 s[24:25], 0
	s_mov_b32 s36, s34
	s_branch .LBB68_47
.LBB68_45:                              ;   in Loop: Header=BB68_47 Depth=3
	s_mov_b32 s2, s16
	s_mov_b64 s[4:5], 0
	s_mov_b64 s[26:27], s[16:17]
.LBB68_46:                              ;   in Loop: Header=BB68_47 Depth=3
	s_mul_i32 s2, s2, 40
	s_cmp_eq_u32 s4, 1
	s_add_nc_u64 s[24:25], s[24:25], 1
	s_cselect_b32 vcc_lo, -1, 0
	s_wait_xcnt 0x0
	v_dual_mov_b32 v12, s2 :: v_dual_cndmask_b32 v14, v3, v5, vcc_lo
	s_cmp_eq_u32 s4, 2
	s_cselect_b32 s2, -1, 0
	ds_load_b64 v[12:13], v12
	s_cmp_eq_u32 s4, 3
	s_cselect_b32 s3, -1, 0
	v_cndmask_b32_e32 v15, v2, v4, vcc_lo
	v_cndmask_b32_e64 v14, v14, v7, s2
	s_cmp_eq_u32 s4, 0
	s_delay_alu instid0(VALU_DEP_1) | instskip(NEXT) | instid1(VALU_DEP_1)
	v_dual_cndmask_b32 v16, v15, v6, s2 :: v_dual_cndmask_b32 v15, v14, v9, s3
	v_cndmask_b32_e64 v14, v16, v8, s3
	s_wait_dscnt 0x0
	s_delay_alu instid0(VALU_DEP_1) | instskip(SKIP_1) | instid1(VALU_DEP_2)
	v_mul_f64_e32 v[12:13], v[14:15], v[12:13]
	v_lshl_add_u64 v[14:15], s[26:27], 3, v[22:23]
	v_dual_cndmask_b32 v6, v6, v12, s2 :: v_dual_cndmask_b32 v5, v5, v13, vcc_lo
	v_cndmask_b32_e32 v4, v4, v12, vcc_lo
	s_cselect_b32 vcc_lo, -1, 0
	v_dual_cndmask_b32 v9, v9, v13, s3 :: v_dual_cndmask_b32 v8, v8, v12, s3
	v_cndmask_b32_e64 v7, v7, v13, s2
	v_dual_cndmask_b32 v3, v3, v13 :: v_dual_cndmask_b32 v2, v2, v12
	s_add_co_i32 s36, s36, -8
	s_cmp_eq_u32 s24, s29
	global_store_b64 v[14:15], v[12:13], off
	s_cbranch_scc1 .LBB68_37
.LBB68_47:                              ;   Parent Loop BB68_5 Depth=1
                                        ;     Parent Loop BB68_38 Depth=2
                                        ; =>    This Loop Header: Depth=3
                                        ;         Child Loop BB68_49 Depth 4
	s_cmp_eq_u32 s24, 0
	s_cbranch_scc1 .LBB68_45
; %bb.48:                               ;   in Loop: Header=BB68_47 Depth=3
	s_mov_b64 s[26:27], 0
	s_mov_b32 s5, s36
.LBB68_49:                              ;   Parent Loop BB68_5 Depth=1
                                        ;     Parent Loop BB68_38 Depth=2
                                        ;       Parent Loop BB68_47 Depth=3
                                        ; =>      This Inner Loop Header: Depth=4
	s_cmp_eq_u32 s26, 1
	s_cselect_b32 vcc_lo, -1, 0
	s_wait_xcnt 0x0
	v_dual_mov_b32 v12, s5 :: v_dual_cndmask_b32 v14, v3, v5, vcc_lo
	s_cmp_eq_u32 s26, 2
	v_cndmask_b32_e32 v15, v2, v4, vcc_lo
	s_cselect_b32 s2, -1, 0
	s_cmp_eq_u32 s26, 3
	ds_load_b64 v[12:13], v12
	s_cselect_b32 vcc_lo, -1, 0
	s_cmp_eq_u32 s24, 1
	v_dual_cndmask_b32 v14, v14, v7, s2 :: v_dual_cndmask_b32 v16, v15, v6, s2
	s_cselect_b32 s2, -1, 0
	s_cmp_eq_u32 s24, 2
	v_cndmask_b32_e64 v17, v3, v5, s2
	s_cselect_b32 s3, -1, 0
	v_cndmask_b32_e64 v19, v2, v4, s2
	s_cmp_eq_u32 s24, 3
	v_dual_cndmask_b32 v15, v14, v9 :: v_dual_cndmask_b32 v14, v16, v8
	v_cndmask_b32_e64 v16, v17, v7, s3
	s_cselect_b32 vcc_lo, -1, 0
	v_cndmask_b32_e64 v19, v19, v6, s3
	s_cmp_eq_u32 s24, 0
	s_add_nc_u64 s[26:27], s[26:27], 1
	v_cndmask_b32_e32 v17, v16, v9, vcc_lo
	s_cselect_b32 s4, -1, 0
	v_cndmask_b32_e32 v16, v19, v8, vcc_lo
	s_sub_co_i32 s5, s5, 32
	s_cmp_eq_u32 s24, s26
	s_wait_dscnt 0x0
	s_delay_alu instid0(VALU_DEP_1) | instskip(NEXT) | instid1(VALU_DEP_1)
	v_fma_f64 v[12:13], -v[14:15], v[12:13], v[16:17]
	v_dual_cndmask_b32 v9, v9, v13 :: v_dual_cndmask_b32 v8, v8, v12
	v_dual_cndmask_b32 v7, v7, v13, s3 :: v_dual_cndmask_b32 v6, v6, v12, s3
	v_dual_cndmask_b32 v5, v5, v13, s2 :: v_dual_cndmask_b32 v4, v4, v12, s2
	;; [unrolled: 1-line block ×3, first 2 shown]
	s_cbranch_scc0 .LBB68_49
; %bb.50:                               ;   in Loop: Header=BB68_47 Depth=3
	s_sub_co_i32 s2, s16, s24
	s_mov_b64 s[4:5], s[24:25]
	s_ashr_i32 s3, s2, 31
	s_delay_alu instid0(SALU_CYCLE_1)
	s_mov_b64 s[26:27], s[2:3]
	s_branch .LBB68_46
.LBB68_51:                              ;   Parent Loop BB68_5 Depth=1
                                        ; =>  This Inner Loop Header: Depth=2
	s_cmp_gt_i32 s16, -1
	s_cselect_b32 s3, -1, 0
	s_add_co_i32 s2, s18, 1
	s_cmp_lt_u32 s18, 2
	s_cselect_b32 s4, -1, 0
	s_delay_alu instid0(SALU_CYCLE_1) | instskip(NEXT) | instid1(SALU_CYCLE_1)
	s_and_b32 s3, s3, s4
	s_and_not1_b32 vcc_lo, exec_lo, s3
	s_cbranch_vccnz .LBB68_2
; %bb.52:                               ;   in Loop: Header=BB68_51 Depth=2
	s_wait_xcnt 0x0
	s_mov_b32 s18, s2
	s_load_b32 s21, s[10:11], s18 offset:0x0 scale_offset
	s_wait_kmcnt 0x0
	s_add_co_i32 s28, s21, -1
	s_delay_alu instid0(SALU_CYCLE_1)
	s_cmp_lt_i32 s16, s28
	s_cbranch_scc0 .LBB68_36
	s_branch .LBB68_51
.LBB68_53:
	s_endpgm
	.section	.rodata,"a",@progbits
	.p2align	6, 0x0
	.amdhsa_kernel _ZL30rocblas_trsm_small_left_deviceILi4ELi4ELb0EddPKdPdEv13rocblas_fill_18rocblas_operation_17rocblas_diagonal_iiT3_T4_lilT5_lili
		.amdhsa_group_segment_fixed_size 128
		.amdhsa_private_segment_fixed_size 0
		.amdhsa_kernarg_size 360
		.amdhsa_user_sgpr_count 2
		.amdhsa_user_sgpr_dispatch_ptr 0
		.amdhsa_user_sgpr_queue_ptr 0
		.amdhsa_user_sgpr_kernarg_segment_ptr 1
		.amdhsa_user_sgpr_dispatch_id 0
		.amdhsa_user_sgpr_kernarg_preload_length 0
		.amdhsa_user_sgpr_kernarg_preload_offset 0
		.amdhsa_user_sgpr_private_segment_size 0
		.amdhsa_wavefront_size32 1
		.amdhsa_uses_dynamic_stack 0
		.amdhsa_enable_private_segment 0
		.amdhsa_system_sgpr_workgroup_id_x 1
		.amdhsa_system_sgpr_workgroup_id_y 0
		.amdhsa_system_sgpr_workgroup_id_z 1
		.amdhsa_system_sgpr_workgroup_info 0
		.amdhsa_system_vgpr_workitem_id 0
		.amdhsa_next_free_vgpr 36
		.amdhsa_next_free_sgpr 49
		.amdhsa_named_barrier_count 0
		.amdhsa_reserve_vcc 1
		.amdhsa_float_round_mode_32 0
		.amdhsa_float_round_mode_16_64 0
		.amdhsa_float_denorm_mode_32 3
		.amdhsa_float_denorm_mode_16_64 3
		.amdhsa_fp16_overflow 0
		.amdhsa_memory_ordered 1
		.amdhsa_forward_progress 1
		.amdhsa_inst_pref_size 23
		.amdhsa_round_robin_scheduling 0
		.amdhsa_exception_fp_ieee_invalid_op 0
		.amdhsa_exception_fp_denorm_src 0
		.amdhsa_exception_fp_ieee_div_zero 0
		.amdhsa_exception_fp_ieee_overflow 0
		.amdhsa_exception_fp_ieee_underflow 0
		.amdhsa_exception_fp_ieee_inexact 0
		.amdhsa_exception_int_div_zero 0
	.end_amdhsa_kernel
	.section	.text._ZL30rocblas_trsm_small_left_deviceILi4ELi4ELb0EddPKdPdEv13rocblas_fill_18rocblas_operation_17rocblas_diagonal_iiT3_T4_lilT5_lili,"axG",@progbits,_ZL30rocblas_trsm_small_left_deviceILi4ELi4ELb0EddPKdPdEv13rocblas_fill_18rocblas_operation_17rocblas_diagonal_iiT3_T4_lilT5_lili,comdat
.Lfunc_end68:
	.size	_ZL30rocblas_trsm_small_left_deviceILi4ELi4ELb0EddPKdPdEv13rocblas_fill_18rocblas_operation_17rocblas_diagonal_iiT3_T4_lilT5_lili, .Lfunc_end68-_ZL30rocblas_trsm_small_left_deviceILi4ELi4ELb0EddPKdPdEv13rocblas_fill_18rocblas_operation_17rocblas_diagonal_iiT3_T4_lilT5_lili
                                        ; -- End function
	.set _ZL30rocblas_trsm_small_left_deviceILi4ELi4ELb0EddPKdPdEv13rocblas_fill_18rocblas_operation_17rocblas_diagonal_iiT3_T4_lilT5_lili.num_vgpr, 36
	.set _ZL30rocblas_trsm_small_left_deviceILi4ELi4ELb0EddPKdPdEv13rocblas_fill_18rocblas_operation_17rocblas_diagonal_iiT3_T4_lilT5_lili.num_agpr, 0
	.set _ZL30rocblas_trsm_small_left_deviceILi4ELi4ELb0EddPKdPdEv13rocblas_fill_18rocblas_operation_17rocblas_diagonal_iiT3_T4_lilT5_lili.numbered_sgpr, 49
	.set _ZL30rocblas_trsm_small_left_deviceILi4ELi4ELb0EddPKdPdEv13rocblas_fill_18rocblas_operation_17rocblas_diagonal_iiT3_T4_lilT5_lili.num_named_barrier, 0
	.set _ZL30rocblas_trsm_small_left_deviceILi4ELi4ELb0EddPKdPdEv13rocblas_fill_18rocblas_operation_17rocblas_diagonal_iiT3_T4_lilT5_lili.private_seg_size, 0
	.set _ZL30rocblas_trsm_small_left_deviceILi4ELi4ELb0EddPKdPdEv13rocblas_fill_18rocblas_operation_17rocblas_diagonal_iiT3_T4_lilT5_lili.uses_vcc, 1
	.set _ZL30rocblas_trsm_small_left_deviceILi4ELi4ELb0EddPKdPdEv13rocblas_fill_18rocblas_operation_17rocblas_diagonal_iiT3_T4_lilT5_lili.uses_flat_scratch, 0
	.set _ZL30rocblas_trsm_small_left_deviceILi4ELi4ELb0EddPKdPdEv13rocblas_fill_18rocblas_operation_17rocblas_diagonal_iiT3_T4_lilT5_lili.has_dyn_sized_stack, 0
	.set _ZL30rocblas_trsm_small_left_deviceILi4ELi4ELb0EddPKdPdEv13rocblas_fill_18rocblas_operation_17rocblas_diagonal_iiT3_T4_lilT5_lili.has_recursion, 0
	.set _ZL30rocblas_trsm_small_left_deviceILi4ELi4ELb0EddPKdPdEv13rocblas_fill_18rocblas_operation_17rocblas_diagonal_iiT3_T4_lilT5_lili.has_indirect_call, 0
	.section	.AMDGPU.csdata,"",@progbits
; Kernel info:
; codeLenInByte = 2840
; TotalNumSgprs: 51
; NumVgprs: 36
; ScratchSize: 0
; MemoryBound: 0
; FloatMode: 240
; IeeeMode: 1
; LDSByteSize: 128 bytes/workgroup (compile time only)
; SGPRBlocks: 0
; VGPRBlocks: 2
; NumSGPRsForWavesPerEU: 51
; NumVGPRsForWavesPerEU: 36
; NamedBarCnt: 0
; Occupancy: 16
; WaveLimiterHint : 0
; COMPUTE_PGM_RSRC2:SCRATCH_EN: 0
; COMPUTE_PGM_RSRC2:USER_SGPR: 2
; COMPUTE_PGM_RSRC2:TRAP_HANDLER: 0
; COMPUTE_PGM_RSRC2:TGID_X_EN: 1
; COMPUTE_PGM_RSRC2:TGID_Y_EN: 0
; COMPUTE_PGM_RSRC2:TGID_Z_EN: 1
; COMPUTE_PGM_RSRC2:TIDIG_COMP_CNT: 0
	.section	.text._ZL38rocblas_trsm_small_left_device_sharedBILi4ELi4ELb1EddPKdPdEv13rocblas_fill_18rocblas_operation_17rocblas_diagonal_iiT3_T4_lilT5_lili,"axG",@progbits,_ZL38rocblas_trsm_small_left_device_sharedBILi4ELi4ELb1EddPKdPdEv13rocblas_fill_18rocblas_operation_17rocblas_diagonal_iiT3_T4_lilT5_lili,comdat
	.globl	_ZL38rocblas_trsm_small_left_device_sharedBILi4ELi4ELb1EddPKdPdEv13rocblas_fill_18rocblas_operation_17rocblas_diagonal_iiT3_T4_lilT5_lili ; -- Begin function _ZL38rocblas_trsm_small_left_device_sharedBILi4ELi4ELb1EddPKdPdEv13rocblas_fill_18rocblas_operation_17rocblas_diagonal_iiT3_T4_lilT5_lili
	.p2align	8
	.type	_ZL38rocblas_trsm_small_left_device_sharedBILi4ELi4ELb1EddPKdPdEv13rocblas_fill_18rocblas_operation_17rocblas_diagonal_iiT3_T4_lilT5_lili,@function
_ZL38rocblas_trsm_small_left_device_sharedBILi4ELi4ELb1EddPKdPdEv13rocblas_fill_18rocblas_operation_17rocblas_diagonal_iiT3_T4_lilT5_lili: ; @_ZL38rocblas_trsm_small_left_device_sharedBILi4ELi4ELb1EddPKdPdEv13rocblas_fill_18rocblas_operation_17rocblas_diagonal_iiT3_T4_lilT5_lili
; %bb.0:
	s_load_b32 s19, s[0:1], 0x60
	s_bfe_u32 s2, ttmp6, 0x40014
	s_lshr_b32 s3, ttmp7, 16
	s_add_co_i32 s2, s2, 1
	s_bfe_u32 s5, ttmp6, 0x40008
	s_mul_i32 s4, s3, s2
	s_getreg_b32 s2, hwreg(HW_REG_IB_STS2, 6, 4)
	s_add_co_i32 s5, s5, s4
	s_cmp_eq_u32 s2, 0
	s_cselect_b32 s20, s3, s5
	s_wait_kmcnt 0x0
	s_cmp_ge_u32 s20, s19
	s_cbranch_scc1 .LBB69_56
; %bb.1:
	s_clause 0x4
	s_load_b96 s[12:14], s[0:1], 0x28
	s_load_b96 s[16:18], s[0:1], 0x48
	s_load_b128 s[24:27], s[0:1], 0x4
	s_load_b32 s15, s[0:1], 0x68
	s_load_b64 s[28:29], s[0:1], 0x58
	s_bfe_u32 s3, ttmp6, 0x4000c
	s_and_b32 s21, ttmp6, 15
	s_add_co_i32 s3, s3, 1
	s_clause 0x1
	s_load_b128 s[4:7], s[0:1], 0x18
	s_load_b128 s[8:11], s[0:1], 0x38
	s_mul_i32 s3, ttmp9, s3
	v_dual_mov_b32 v19, 0 :: v_dual_lshlrev_b32 v18, 3, v0
	s_wait_xcnt 0x0
	s_add_co_i32 s0, s21, s3
	v_lshlrev_b32_e32 v10, 5, v0
	s_delay_alu instid0(VALU_DEP_2)
	v_or_b32_e32 v26, 0x80, v18
	v_dual_mov_b32 v2, v19 :: v_dual_mov_b32 v3, v19
	v_mov_b32_e32 v4, v19
	s_wait_kmcnt 0x0
	s_ashr_i32 s3, s14, 31
	s_ashr_i32 s30, s18, 31
	s_min_i32 s21, s26, 4
	s_add_co_i32 s15, s15, -1
	s_add_co_i32 s22, s21, -1
	s_cmp_eq_u32 s2, 0
	v_dual_mov_b32 v8, v19 :: v_dual_mov_b32 v9, v19
	s_cselect_b32 s1, ttmp9, s0
	v_mov_b32_e32 v7, v19
	s_lshl_b32 s0, s1, 2
	s_delay_alu instid0(SALU_CYCLE_1)
	s_sub_co_i32 s2, s27, s0
	s_cmp_ge_u32 s1, s15
	s_cselect_b32 s2, s2, 4
	s_ashr_i32 s1, s0, 31
	s_cmp_lg_u32 s25, 0x84
	v_cmp_gt_i32_e32 vcc_lo, s2, v0
	s_cselect_b32 s23, -1, 0
	s_cmp_gt_i32 s26, 0
	s_mov_b32 s2, s14
	s_cselect_b32 s15, -1, 0
	s_cmp_lg_u32 s24, 0x6f
	s_cselect_b32 s24, -1, 0
	s_lshl_b64 s[0:1], s[0:1], 3
	s_lshl_b64 s[16:17], s[16:17], 3
	v_or_b32_e32 v5, s0, v18
	s_add_nc_u64 s[10:11], s[10:11], s[16:17]
	v_cmp_gt_i32_e64 s0, s21, v0
	s_lshl_b32 s25, s21, 3
	s_lshl_b64 s[8:9], s[8:9], 3
	v_mad_nc_u64_u32 v[20:21], v5, s18, s[10:11]
	s_lshl_b64 s[10:11], s[12:13], 3
	s_lshl_b64 s[12:13], s[28:29], 3
	s_add_nc_u64 s[10:11], s[6:7], s[10:11]
	s_lshl_b64 s[6:7], s[2:3], 3
	v_add_nc_u64_e32 v[0:1], s[10:11], v[18:19]
	s_add_co_i32 s25, s25, -8
	s_get_pc_i64 s[10:11]
	s_add_nc_u64 s[10:11], s[10:11], __const._ZL38rocblas_trsm_small_left_device_sharedBILi4ELi4ELb1EddPKdPdEv13rocblas_fill_18rocblas_operation_17rocblas_diagonal_iiT3_T4_lilT5_lili.step_sizes@rel64+4
	s_delay_alu instid0(VALU_DEP_2) | instskip(SKIP_1) | instid1(VALU_DEP_1)
	v_mad_u32 v6, s1, s18, v21
	s_and_b32 s18, vcc_lo, s15
	v_mad_u32 v21, v5, s30, v6
	v_dual_mov_b32 v5, v19 :: v_dual_mov_b32 v6, v19
	v_add_nc_u32_e32 v19, v18, v10
	s_branch .LBB69_3
.LBB69_2:                               ;   in Loop: Header=BB69_3 Depth=1
	s_or_b32 exec_lo, exec_lo, s1
	s_delay_alu instid0(VALU_DEP_1) | instskip(SKIP_4) | instid1(SALU_CYCLE_1)
	v_mov_b64_e32 v[2:3], v[10:11]
	v_mov_b64_e32 v[4:5], v[12:13]
	;; [unrolled: 1-line block ×4, first 2 shown]
	s_add_co_i32 s20, s20, 0x10000
	s_cmp_lt_u32 s20, s19
	s_cbranch_scc0 .LBB69_56
.LBB69_3:                               ; =>This Loop Header: Depth=1
                                        ;     Child Loop BB69_5 Depth 2
                                        ;     Child Loop BB69_11 Depth 2
	;; [unrolled: 1-line block ×3, first 2 shown]
                                        ;       Child Loop BB69_17 Depth 3
                                        ;       Child Loop BB69_19 Depth 3
                                        ;         Child Loop BB69_20 Depth 4
                                        ;       Child Loop BB69_25 Depth 3
                                        ;         Child Loop BB69_27 Depth 4
                                        ;     Child Loop BB69_29 Depth 2
                                        ;     Child Loop BB69_34 Depth 2
                                        ;       Child Loop BB69_37 Depth 3
                                        ;         Child Loop BB69_38 Depth 4
                                        ;         Child Loop BB69_41 Depth 4
                                        ;           Child Loop BB69_42 Depth 5
                                        ;         Child Loop BB69_47 Depth 4
                                        ;           Child Loop BB69_49 Depth 5
                                        ;     Child Loop BB69_55 Depth 2
	s_and_saveexec_b32 s1, s0
	s_cbranch_execz .LBB69_9
; %bb.4:                                ;   in Loop: Header=BB69_3 Depth=1
	v_mad_nc_u64_u32 v[10:11], s8, s20, v[0:1]
	v_mov_b32_e32 v12, v18
	s_mov_b32 s2, s21
	s_delay_alu instid0(VALU_DEP_2)
	v_mad_u32 v11, s9, s20, v11
.LBB69_5:                               ;   Parent Loop BB69_3 Depth=1
                                        ; =>  This Inner Loop Header: Depth=2
	global_load_b64 v[14:15], v[10:11], off
	s_wait_xcnt 0x0
	v_add_nc_u64_e32 v[10:11], s[6:7], v[10:11]
	s_add_co_i32 s2, s2, -1
	s_delay_alu instid0(SALU_CYCLE_1)
	s_cmp_eq_u32 s2, 0
	s_wait_loadcnt 0x0
	ds_store_b64 v12, v[14:15]
	v_add_nc_u32_e32 v12, 32, v12
	s_cbranch_scc0 .LBB69_5
; %bb.6:                                ;   in Loop: Header=BB69_3 Depth=1
	v_mov_b64_e32 v[10:11], 1.0
	s_and_b32 vcc_lo, exec_lo, s23
	s_cbranch_vccz .LBB69_8
; %bb.7:                                ;   in Loop: Header=BB69_3 Depth=1
	ds_load_b64 v[10:11], v19
	s_wait_dscnt 0x0
	v_div_scale_f64 v[12:13], null, v[10:11], v[10:11], 1.0
	s_delay_alu instid0(VALU_DEP_1) | instskip(SKIP_1) | instid1(TRANS32_DEP_1)
	v_rcp_f64_e32 v[14:15], v[12:13]
	v_nop
	v_fma_f64 v[16:17], -v[12:13], v[14:15], 1.0
	s_delay_alu instid0(VALU_DEP_1) | instskip(NEXT) | instid1(VALU_DEP_1)
	v_fmac_f64_e32 v[14:15], v[14:15], v[16:17]
	v_fma_f64 v[16:17], -v[12:13], v[14:15], 1.0
	s_delay_alu instid0(VALU_DEP_1) | instskip(SKIP_1) | instid1(VALU_DEP_1)
	v_fmac_f64_e32 v[14:15], v[14:15], v[16:17]
	v_div_scale_f64 v[16:17], vcc_lo, 1.0, v[10:11], 1.0
	v_mul_f64_e32 v[22:23], v[16:17], v[14:15]
	s_delay_alu instid0(VALU_DEP_1) | instskip(NEXT) | instid1(VALU_DEP_1)
	v_fma_f64 v[12:13], -v[12:13], v[22:23], v[16:17]
	v_div_fmas_f64 v[12:13], v[12:13], v[14:15], v[22:23]
	s_delay_alu instid0(VALU_DEP_1)
	v_div_fixup_f64 v[10:11], v[12:13], v[10:11], 1.0
.LBB69_8:                               ;   in Loop: Header=BB69_3 Depth=1
	ds_store_b64 v19, v[10:11]
.LBB69_9:                               ;   in Loop: Header=BB69_3 Depth=1
	s_or_b32 exec_lo, exec_lo, s1
	s_delay_alu instid0(VALU_DEP_3) | instskip(NEXT) | instid1(VALU_DEP_1)
	v_mad_nc_u64_u32 v[22:23], s12, s20, v[20:21]
	v_mad_u32 v23, s13, s20, v23
	s_and_saveexec_b32 s1, s18
	s_cbranch_execz .LBB69_12
; %bb.10:                               ;   in Loop: Header=BB69_3 Depth=1
	s_delay_alu instid0(VALU_DEP_1)
	v_mov_b64_e32 v[10:11], v[22:23]
	v_mov_b32_e32 v12, v26
	s_mov_b32 s2, s21
.LBB69_11:                              ;   Parent Loop BB69_3 Depth=1
                                        ; =>  This Inner Loop Header: Depth=2
	global_load_b64 v[14:15], v[10:11], off
	s_wait_xcnt 0x0
	v_add_nc_u64_e32 v[10:11], 8, v[10:11]
	s_add_co_i32 s2, s2, -1
	s_delay_alu instid0(SALU_CYCLE_1)
	s_cmp_lg_u32 s2, 0
	s_wait_loadcnt 0x0
	v_mul_f64_e32 v[14:15], s[4:5], v[14:15]
	ds_store_b64 v12, v[14:15]
	v_add_nc_u32_e32 v12, 32, v12
	s_cbranch_scc1 .LBB69_11
.LBB69_12:                              ;   in Loop: Header=BB69_3 Depth=1
	s_or_b32 exec_lo, exec_lo, s1
	s_delay_alu instid0(SALU_CYCLE_1)
	s_and_not1_b32 vcc_lo, exec_lo, s24
	s_mov_b32 s1, -1
	s_wait_dscnt 0x0
	; wave barrier
                                        ; implicit-def: $vgpr10_vgpr11_vgpr12_vgpr13_vgpr14_vgpr15_vgpr16_vgpr17
	s_cbranch_vccnz .LBB69_32
; %bb.13:                               ;   in Loop: Header=BB69_3 Depth=1
	v_mov_b64_e32 v[16:17], v[8:9]
	v_mov_b64_e32 v[14:15], v[6:7]
	;; [unrolled: 1-line block ×4, first 2 shown]
	s_wait_xcnt 0x0
	s_mov_b32 s27, 0
	s_mov_b32 s26, s22
	s_load_b32 s28, s[10:11], s27 offset:0x0 scale_offset
	s_wait_kmcnt 0x0
	s_add_co_i32 s29, s28, -1
	s_delay_alu instid0(SALU_CYCLE_1)
	s_cmp_lt_i32 s26, s29
	s_cbranch_scc1 .LBB69_29
.LBB69_14:                              ;   in Loop: Header=BB69_3 Depth=1
	s_lshl_b32 s1, s26, 5
	s_lshl_b32 s2, s28, 5
	v_add_nc_u32_e32 v27, s1, v26
	s_max_i32 s30, s28, 1
	s_sub_co_i32 s31, 0, s2
	s_add_co_i32 s33, s25, s1
	s_mul_i32 s34, s26, 40
	s_mul_i32 s35, s28, 0xffffffd8
	s_branch .LBB69_16
.LBB69_15:                              ;   in Loop: Header=BB69_16 Depth=2
	v_add_nc_u32_e32 v27, s31, v27
	s_sub_co_i32 s26, s26, s28
	s_add_co_i32 s33, s33, s31
	s_add_co_i32 s34, s34, s35
	s_cmp_lt_i32 s26, s29
	s_cbranch_scc1 .LBB69_29
.LBB69_16:                              ;   Parent Loop BB69_3 Depth=1
                                        ; =>  This Loop Header: Depth=2
                                        ;       Child Loop BB69_17 Depth 3
                                        ;       Child Loop BB69_19 Depth 3
                                        ;         Child Loop BB69_20 Depth 4
                                        ;       Child Loop BB69_25 Depth 3
                                        ;         Child Loop BB69_27 Depth 4
	v_mov_b32_e32 v24, v27
	s_mov_b64 s[14:15], 0
.LBB69_17:                              ;   Parent Loop BB69_3 Depth=1
                                        ;     Parent Loop BB69_16 Depth=2
                                        ; =>    This Inner Loop Header: Depth=3
	ds_load_b64 v[28:29], v24
	s_cmp_eq_u32 s14, 3
	v_subrev_nc_u32_e32 v24, 32, v24
	s_cselect_b32 vcc_lo, -1, 0
	s_cmp_eq_u32 s14, 2
	s_cselect_b32 s1, -1, 0
	s_cmp_eq_u32 s14, 1
	s_cselect_b32 s2, -1, 0
	s_cmp_eq_u32 s14, 0
	s_add_nc_u64 s[14:15], s[14:15], 1
	s_cselect_b32 s3, -1, 0
	s_cmp_eq_u32 s30, s14
	s_wait_dscnt 0x0
	v_dual_cndmask_b32 v17, v17, v29 :: v_dual_cndmask_b32 v16, v16, v28
	v_dual_cndmask_b32 v15, v15, v29, s1 :: v_dual_cndmask_b32 v14, v14, v28, s1
	v_dual_cndmask_b32 v13, v13, v29, s2 :: v_dual_cndmask_b32 v12, v12, v28, s2
	;; [unrolled: 1-line block ×3, first 2 shown]
	s_cbranch_scc0 .LBB69_17
; %bb.18:                               ;   in Loop: Header=BB69_16 Depth=2
	s_cmp_le_i32 s22, s26
	s_mov_b32 s16, s33
	s_mov_b32 s17, s22
	s_cbranch_scc1 .LBB69_22
.LBB69_19:                              ;   Parent Loop BB69_3 Depth=1
                                        ;     Parent Loop BB69_16 Depth=2
                                        ; =>    This Loop Header: Depth=3
                                        ;         Child Loop BB69_20 Depth 4
	v_lshl_add_u32 v24, s17, 5, v26
	s_mov_b64 s[14:15], 0
	s_mov_b32 s36, s16
	ds_load_b64 v[24:25], v24
.LBB69_20:                              ;   Parent Loop BB69_3 Depth=1
                                        ;     Parent Loop BB69_16 Depth=2
                                        ;       Parent Loop BB69_19 Depth=3
                                        ; =>      This Inner Loop Header: Depth=4
	s_cmp_eq_u32 s14, 1
	s_cselect_b32 vcc_lo, -1, 0
	s_delay_alu instid0(VALU_DEP_1) | instid1(SALU_CYCLE_1)
	v_dual_mov_b32 v28, s36 :: v_dual_cndmask_b32 v30, v11, v13, vcc_lo
	s_cmp_eq_u32 s14, 2
	s_cselect_b32 s1, -1, 0
	ds_load_b64 v[28:29], v28
	s_cmp_eq_u32 s14, 3
	s_cselect_b32 s2, -1, 0
	v_cndmask_b32_e32 v31, v10, v12, vcc_lo
	v_cndmask_b32_e64 v30, v30, v15, s1
	s_cmp_eq_u32 s14, 0
	s_add_nc_u64 s[14:15], s[14:15], 1
	s_cselect_b32 s3, -1, 0
	s_delay_alu instid0(VALU_DEP_1) | instskip(SKIP_2) | instid1(VALU_DEP_1)
	v_dual_cndmask_b32 v32, v31, v14, s1 :: v_dual_cndmask_b32 v31, v30, v17, s2
	s_sub_co_i32 s36, s36, 32
	s_cmp_eq_u32 s30, s14
	v_cndmask_b32_e64 v30, v32, v16, s2
	s_wait_dscnt 0x0
	s_delay_alu instid0(VALU_DEP_1) | instskip(NEXT) | instid1(VALU_DEP_1)
	v_fma_f64 v[28:29], -v[24:25], v[28:29], v[30:31]
	v_dual_cndmask_b32 v17, v17, v29, s2 :: v_dual_cndmask_b32 v16, v16, v28, s2
	v_dual_cndmask_b32 v15, v15, v29, s1 :: v_dual_cndmask_b32 v14, v14, v28, s1
	v_dual_cndmask_b32 v13, v13, v29 :: v_dual_cndmask_b32 v12, v12, v28
	v_dual_cndmask_b32 v11, v11, v29, s3 :: v_dual_cndmask_b32 v10, v10, v28, s3
	s_cbranch_scc0 .LBB69_20
; %bb.21:                               ;   in Loop: Header=BB69_19 Depth=3
	s_add_co_i32 s17, s17, -1
	s_add_co_i32 s16, s16, -8
	s_cmp_le_i32 s17, s26
	s_cbranch_scc0 .LBB69_19
.LBB69_22:                              ;   in Loop: Header=BB69_16 Depth=2
	s_lshl_b32 s36, s26, 5
	s_mov_b64 s[14:15], 0
	s_mov_b32 s37, s34
	s_branch .LBB69_25
.LBB69_23:                              ;   in Loop: Header=BB69_25 Depth=3
	s_mov_b32 s39, s26
	s_mov_b64 s[16:17], 0
	s_mov_b32 s38, s36
.LBB69_24:                              ;   in Loop: Header=BB69_25 Depth=3
	s_mul_i32 s1, s39, 40
	s_cmp_eq_u32 s16, 1
	s_add_nc_u64 s[14:15], s[14:15], 1
	s_cselect_b32 vcc_lo, -1, 0
	s_delay_alu instid0(SALU_CYCLE_1)
	v_dual_mov_b32 v24, s1 :: v_dual_cndmask_b32 v28, v11, v13, vcc_lo
	s_cmp_eq_u32 s16, 2
	s_cselect_b32 s1, -1, 0
	ds_load_b64 v[24:25], v24
	v_dual_cndmask_b32 v29, v10, v12, vcc_lo :: v_dual_cndmask_b32 v28, v28, v15, s1
	s_cmp_eq_u32 s16, 3
	s_cselect_b32 s2, -1, 0
	s_delay_alu instid0(VALU_DEP_1) | instid1(SALU_CYCLE_1)
	v_dual_cndmask_b32 v30, v29, v14, s1 :: v_dual_cndmask_b32 v29, v28, v17, s2
	s_cmp_eq_u32 s16, 0
	s_delay_alu instid0(VALU_DEP_1) | instskip(SKIP_1) | instid1(VALU_DEP_1)
	v_cndmask_b32_e64 v28, v30, v16, s2
	s_wait_dscnt 0x0
	v_dual_mul_f64 v[24:25], v[28:29], v[24:25] :: v_dual_add_nc_u32 v28, s38, v26
	s_delay_alu instid0(VALU_DEP_1)
	v_dual_cndmask_b32 v14, v14, v24, s1 :: v_dual_cndmask_b32 v13, v13, v25, vcc_lo
	v_cndmask_b32_e32 v12, v12, v24, vcc_lo
	s_cselect_b32 vcc_lo, -1, 0
	v_dual_cndmask_b32 v17, v17, v25, s2 :: v_dual_cndmask_b32 v16, v16, v24, s2
	v_cndmask_b32_e64 v15, v15, v25, s1
	v_dual_cndmask_b32 v11, v11, v25 :: v_dual_cndmask_b32 v10, v10, v24
	s_sub_co_i32 s37, s37, 32
	s_cmp_eq_u32 s14, s30
	ds_store_b64 v28, v[24:25]
	s_cbranch_scc1 .LBB69_15
.LBB69_25:                              ;   Parent Loop BB69_3 Depth=1
                                        ;     Parent Loop BB69_16 Depth=2
                                        ; =>    This Loop Header: Depth=3
                                        ;         Child Loop BB69_27 Depth 4
	s_cmp_eq_u32 s14, 0
	s_cbranch_scc1 .LBB69_23
; %bb.26:                               ;   in Loop: Header=BB69_25 Depth=3
	s_sub_co_i32 s39, s26, s14
	s_mov_b64 s[16:17], 0
	s_lshl_b32 s38, s39, 5
	s_mov_b32 s40, s37
.LBB69_27:                              ;   Parent Loop BB69_3 Depth=1
                                        ;     Parent Loop BB69_16 Depth=2
                                        ;       Parent Loop BB69_25 Depth=3
                                        ; =>      This Inner Loop Header: Depth=4
	s_cmp_eq_u32 s16, 1
	s_cselect_b32 vcc_lo, -1, 0
	s_delay_alu instid0(VALU_DEP_1) | instid1(SALU_CYCLE_1)
	v_dual_mov_b32 v24, s40 :: v_dual_cndmask_b32 v28, v11, v13, vcc_lo
	s_cmp_eq_u32 s16, 2
	s_cselect_b32 s1, -1, 0
	s_delay_alu instid0(VALU_DEP_1) | instid1(SALU_CYCLE_1)
	v_dual_cndmask_b32 v29, v10, v12, vcc_lo :: v_dual_cndmask_b32 v28, v28, v15, s1
	s_cmp_eq_u32 s16, 3
	ds_load_b64 v[24:25], v24
	s_cselect_b32 vcc_lo, -1, 0
	s_cmp_eq_u32 s14, 1
	v_cndmask_b32_e64 v30, v29, v14, s1
	s_cselect_b32 s1, -1, 0
	s_cmp_eq_u32 s14, 2
	v_dual_cndmask_b32 v31, v11, v13, s1 :: v_dual_cndmask_b32 v32, v10, v12, s1
	v_cndmask_b32_e32 v29, v28, v17, vcc_lo
	s_cselect_b32 s2, -1, 0
	s_cmp_eq_u32 s14, 3
	s_delay_alu instid0(VALU_DEP_2)
	v_dual_cndmask_b32 v28, v30, v16, vcc_lo :: v_dual_cndmask_b32 v30, v31, v15, s2
	s_cselect_b32 vcc_lo, -1, 0
	v_cndmask_b32_e64 v32, v32, v14, s2
	s_cmp_eq_u32 s14, 0
	s_add_nc_u64 s[16:17], s[16:17], 1
	v_cndmask_b32_e32 v31, v30, v17, vcc_lo
	s_cselect_b32 s3, -1, 0
	v_cndmask_b32_e32 v30, v32, v16, vcc_lo
	s_add_co_i32 s40, s40, -8
	s_cmp_eq_u32 s14, s16
	s_wait_dscnt 0x0
	s_delay_alu instid0(VALU_DEP_1) | instskip(NEXT) | instid1(VALU_DEP_1)
	v_fma_f64 v[24:25], -v[28:29], v[24:25], v[30:31]
	v_dual_cndmask_b32 v17, v17, v25 :: v_dual_cndmask_b32 v16, v16, v24
	v_dual_cndmask_b32 v15, v15, v25, s2 :: v_dual_cndmask_b32 v14, v14, v24, s2
	v_dual_cndmask_b32 v13, v13, v25, s1 :: v_dual_cndmask_b32 v12, v12, v24, s1
	;; [unrolled: 1-line block ×3, first 2 shown]
	s_cbranch_scc0 .LBB69_27
; %bb.28:                               ;   in Loop: Header=BB69_25 Depth=3
	s_mov_b64 s[16:17], s[14:15]
	s_branch .LBB69_24
.LBB69_29:                              ;   Parent Loop BB69_3 Depth=1
                                        ; =>  This Inner Loop Header: Depth=2
	s_cmp_gt_i32 s26, -1
	s_cselect_b32 s2, -1, 0
	s_add_co_i32 s1, s27, 1
	s_cmp_lt_u32 s27, 2
	s_cselect_b32 s3, -1, 0
	s_delay_alu instid0(SALU_CYCLE_1) | instskip(NEXT) | instid1(SALU_CYCLE_1)
	s_and_b32 s2, s2, s3
	s_and_b32 vcc_lo, exec_lo, s2
	s_cbranch_vccz .LBB69_31
; %bb.30:                               ;   in Loop: Header=BB69_29 Depth=2
	s_wait_xcnt 0x0
	s_mov_b32 s27, s1
	s_load_b32 s28, s[10:11], s27 offset:0x0 scale_offset
	s_wait_kmcnt 0x0
	s_add_co_i32 s29, s28, -1
	s_delay_alu instid0(SALU_CYCLE_1)
	s_cmp_lt_i32 s26, s29
	s_cbranch_scc0 .LBB69_14
	s_branch .LBB69_29
.LBB69_31:                              ;   in Loop: Header=BB69_3 Depth=1
	s_mov_b32 s1, 0
.LBB69_32:                              ;   in Loop: Header=BB69_3 Depth=1
	s_delay_alu instid0(SALU_CYCLE_1)
	s_and_b32 vcc_lo, exec_lo, s1
	s_cbranch_vccz .LBB69_53
; %bb.33:                               ;   in Loop: Header=BB69_3 Depth=1
	s_mov_b32 s26, 0
	s_wait_xcnt 0x0
	s_mov_b32 s27, 0
.LBB69_34:                              ;   Parent Loop BB69_3 Depth=1
                                        ; =>  This Loop Header: Depth=2
                                        ;       Child Loop BB69_37 Depth 3
                                        ;         Child Loop BB69_38 Depth 4
                                        ;         Child Loop BB69_41 Depth 4
                                        ;           Child Loop BB69_42 Depth 5
                                        ;         Child Loop BB69_47 Depth 4
                                        ;           Child Loop BB69_49 Depth 5
	s_load_b32 s28, s[10:11], s27 offset:0x0 scale_offset
	s_wait_kmcnt 0x0
	s_add_co_i32 s29, s28, -1
	s_delay_alu instid0(SALU_CYCLE_1) | instskip(NEXT) | instid1(SALU_CYCLE_1)
	s_add_co_i32 s1, s29, s26
	s_cmp_ge_i32 s1, s21
	s_cbranch_scc1 .LBB69_50
; %bb.35:                               ;   in Loop: Header=BB69_34 Depth=2
	v_lshl_add_u32 v12, s26, 5, v26
	s_max_i32 s30, s28, 1
	s_lshl_b32 s31, s28, 5
	s_lshl_b32 s33, s26, 3
	;; [unrolled: 1-line block ×3, first 2 shown]
	s_mul_i32 s35, s26, 40
	s_mul_i32 s36, s28, 40
	s_branch .LBB69_37
.LBB69_36:                              ;   in Loop: Header=BB69_37 Depth=3
	s_add_co_i32 s26, s26, s28
	v_add_nc_u32_e32 v12, s31, v12
	s_add_co_i32 s1, s29, s26
	s_add_co_i32 s33, s33, s34
	;; [unrolled: 1-line block ×3, first 2 shown]
	s_cmp_ge_i32 s1, s21
	s_cbranch_scc1 .LBB69_50
.LBB69_37:                              ;   Parent Loop BB69_3 Depth=1
                                        ;     Parent Loop BB69_34 Depth=2
                                        ; =>    This Loop Header: Depth=3
                                        ;         Child Loop BB69_38 Depth 4
                                        ;         Child Loop BB69_41 Depth 4
                                        ;           Child Loop BB69_42 Depth 5
                                        ;         Child Loop BB69_47 Depth 4
                                        ;           Child Loop BB69_49 Depth 5
	v_mov_b32_e32 v10, v12
	s_mov_b64 s[14:15], 0
.LBB69_38:                              ;   Parent Loop BB69_3 Depth=1
                                        ;     Parent Loop BB69_34 Depth=2
                                        ;       Parent Loop BB69_37 Depth=3
                                        ; =>      This Inner Loop Header: Depth=4
	ds_load_b64 v[14:15], v10
	s_cmp_eq_u32 s14, 3
	s_cselect_b32 vcc_lo, -1, 0
	s_cmp_eq_u32 s14, 2
	v_add_nc_u32_e32 v10, 32, v10
	s_cselect_b32 s1, -1, 0
	s_cmp_eq_u32 s14, 1
	s_cselect_b32 s2, -1, 0
	s_cmp_eq_u32 s14, 0
	s_add_nc_u64 s[14:15], s[14:15], 1
	s_cselect_b32 s3, -1, 0
	s_cmp_eq_u32 s30, s14
	s_wait_dscnt 0x0
	v_dual_cndmask_b32 v9, v9, v15 :: v_dual_cndmask_b32 v8, v8, v14
	v_dual_cndmask_b32 v7, v7, v15, s1 :: v_dual_cndmask_b32 v6, v6, v14, s1
	v_dual_cndmask_b32 v5, v5, v15, s2 :: v_dual_cndmask_b32 v4, v4, v14, s2
	;; [unrolled: 1-line block ×3, first 2 shown]
	s_cbranch_scc0 .LBB69_38
; %bb.39:                               ;   in Loop: Header=BB69_37 Depth=3
	s_cmp_lt_i32 s26, 1
	s_cbranch_scc1 .LBB69_44
; %bb.40:                               ;   in Loop: Header=BB69_37 Depth=3
	s_mov_b32 s16, 0
	s_mov_b32 s17, s33
.LBB69_41:                              ;   Parent Loop BB69_3 Depth=1
                                        ;     Parent Loop BB69_34 Depth=2
                                        ;       Parent Loop BB69_37 Depth=3
                                        ; =>      This Loop Header: Depth=4
                                        ;           Child Loop BB69_42 Depth 5
	v_lshl_add_u32 v10, s16, 5, v26
	s_mov_b64 s[14:15], 0
	s_mov_b32 s37, s17
	ds_load_b64 v[10:11], v10
.LBB69_42:                              ;   Parent Loop BB69_3 Depth=1
                                        ;     Parent Loop BB69_34 Depth=2
                                        ;       Parent Loop BB69_37 Depth=3
                                        ;         Parent Loop BB69_41 Depth=4
                                        ; =>        This Inner Loop Header: Depth=5
	s_cmp_eq_u32 s14, 1
	s_cselect_b32 vcc_lo, -1, 0
	s_delay_alu instid0(VALU_DEP_1)
	v_dual_mov_b32 v13, s37 :: v_dual_cndmask_b32 v16, v3, v5
	s_cmp_eq_u32 s14, 2
	s_cselect_b32 s1, -1, 0
	ds_load_b64 v[14:15], v13
	v_dual_cndmask_b32 v17, v2, v4, vcc_lo :: v_dual_cndmask_b32 v13, v16, v7, s1
	s_cmp_eq_u32 s14, 3
	s_cselect_b32 s2, -1, 0
	s_delay_alu instid0(VALU_DEP_1) | instskip(NEXT) | instid1(VALU_DEP_2)
	v_cndmask_b32_e64 v16, v17, v6, s1
	v_cndmask_b32_e64 v17, v13, v9, s2
	s_cmp_eq_u32 s14, 0
	s_add_nc_u64 s[14:15], s[14:15], 1
	s_cselect_b32 s3, -1, 0
	v_cndmask_b32_e64 v16, v16, v8, s2
	s_add_co_i32 s37, s37, 8
	s_cmp_eq_u32 s30, s14
	s_wait_dscnt 0x0
	s_delay_alu instid0(VALU_DEP_1) | instskip(NEXT) | instid1(VALU_DEP_1)
	v_fma_f64 v[14:15], -v[10:11], v[14:15], v[16:17]
	v_dual_cndmask_b32 v9, v9, v15, s2 :: v_dual_cndmask_b32 v8, v8, v14, s2
	v_dual_cndmask_b32 v7, v7, v15, s1 :: v_dual_cndmask_b32 v6, v6, v14, s1
	v_dual_cndmask_b32 v5, v5, v15 :: v_dual_cndmask_b32 v4, v4, v14
	v_dual_cndmask_b32 v3, v3, v15, s3 :: v_dual_cndmask_b32 v2, v2, v14, s3
	s_cbranch_scc0 .LBB69_42
; %bb.43:                               ;   in Loop: Header=BB69_41 Depth=4
	s_add_co_i32 s16, s16, 1
	s_add_co_i32 s17, s17, 32
	s_cmp_eq_u32 s16, s26
	s_cbranch_scc0 .LBB69_41
.LBB69_44:                              ;   in Loop: Header=BB69_37 Depth=3
	s_mov_b64 s[14:15], 0
	s_mov_b32 s37, s35
	s_branch .LBB69_47
.LBB69_45:                              ;   in Loop: Header=BB69_47 Depth=4
	s_mov_b64 s[16:17], s[14:15]
.LBB69_46:                              ;   in Loop: Header=BB69_47 Depth=4
	s_add_co_i32 s3, s14, s26
	s_cmp_eq_u32 s16, 1
	s_mul_i32 s1, s3, 40
	s_cselect_b32 vcc_lo, -1, 0
	v_dual_mov_b32 v10, s1 :: v_dual_cndmask_b32 v13, v3, v5
	s_cmp_eq_u32 s16, 2
	s_add_nc_u64 s[14:15], s[14:15], 1
	s_cselect_b32 s1, -1, 0
	ds_load_b64 v[10:11], v10
	v_dual_cndmask_b32 v14, v2, v4, vcc_lo :: v_dual_cndmask_b32 v13, v13, v7, s1
	s_cmp_eq_u32 s16, 3
	s_cselect_b32 s2, -1, 0
	s_delay_alu instid0(VALU_DEP_1) | instid1(SALU_CYCLE_1)
	v_dual_cndmask_b32 v14, v14, v6, s1 :: v_dual_cndmask_b32 v15, v13, v9, s2
	s_cmp_eq_u32 s16, 0
	v_lshl_add_u32 v13, s3, 5, v26
	s_delay_alu instid0(VALU_DEP_2) | instskip(SKIP_1) | instid1(VALU_DEP_1)
	v_cndmask_b32_e64 v14, v14, v8, s2
	s_wait_dscnt 0x0
	v_mul_f64_e32 v[10:11], v[14:15], v[10:11]
	s_delay_alu instid0(VALU_DEP_1)
	v_dual_cndmask_b32 v6, v6, v10, s1 :: v_dual_cndmask_b32 v5, v5, v11, vcc_lo
	v_cndmask_b32_e32 v4, v4, v10, vcc_lo
	s_cselect_b32 vcc_lo, -1, 0
	v_dual_cndmask_b32 v9, v9, v11, s2 :: v_dual_cndmask_b32 v8, v8, v10, s2
	v_cndmask_b32_e64 v7, v7, v11, s1
	v_dual_cndmask_b32 v3, v3, v11 :: v_dual_cndmask_b32 v2, v2, v10
	s_add_co_i32 s37, s37, 8
	s_cmp_eq_u32 s14, s30
	ds_store_b64 v13, v[10:11]
	s_cbranch_scc1 .LBB69_36
.LBB69_47:                              ;   Parent Loop BB69_3 Depth=1
                                        ;     Parent Loop BB69_34 Depth=2
                                        ;       Parent Loop BB69_37 Depth=3
                                        ; =>      This Loop Header: Depth=4
                                        ;           Child Loop BB69_49 Depth 5
	s_mov_b64 s[16:17], 0
	s_cmp_eq_u32 s14, 0
	s_cbranch_scc1 .LBB69_46
; %bb.48:                               ;   in Loop: Header=BB69_47 Depth=4
	s_mov_b32 s38, s37
.LBB69_49:                              ;   Parent Loop BB69_3 Depth=1
                                        ;     Parent Loop BB69_34 Depth=2
                                        ;       Parent Loop BB69_37 Depth=3
                                        ;         Parent Loop BB69_47 Depth=4
                                        ; =>        This Inner Loop Header: Depth=5
	s_cmp_eq_u32 s16, 1
	s_cselect_b32 vcc_lo, -1, 0
	v_dual_mov_b32 v10, s38 :: v_dual_cndmask_b32 v13, v3, v5
	s_cmp_eq_u32 s16, 2
	s_cselect_b32 s1, -1, 0
	s_delay_alu instid0(VALU_DEP_1) | instid1(SALU_CYCLE_1)
	v_dual_cndmask_b32 v14, v2, v4, vcc_lo :: v_dual_cndmask_b32 v13, v13, v7, s1
	s_cmp_eq_u32 s16, 3
	ds_load_b64 v[10:11], v10
	s_cselect_b32 vcc_lo, -1, 0
	s_cmp_eq_u32 s14, 1
	v_cndmask_b32_e64 v14, v14, v6, s1
	s_cselect_b32 s1, -1, 0
	s_cmp_eq_u32 s14, 2
	v_dual_cndmask_b32 v16, v3, v5, s1 :: v_dual_cndmask_b32 v17, v2, v4, s1
	v_cndmask_b32_e32 v15, v13, v9, vcc_lo
	s_cselect_b32 s2, -1, 0
	s_delay_alu instid0(VALU_DEP_2) | instid1(SALU_CYCLE_1)
	v_dual_cndmask_b32 v14, v14, v8, vcc_lo :: v_dual_cndmask_b32 v13, v16, v7, s2
	s_delay_alu instid0(VALU_DEP_3)
	v_cndmask_b32_e64 v16, v17, v6, s2
	s_cmp_eq_u32 s14, 3
	s_add_nc_u64 s[16:17], s[16:17], 1
	s_cselect_b32 vcc_lo, -1, 0
	s_cmp_eq_u32 s14, 0
	v_dual_cndmask_b32 v17, v13, v9 :: v_dual_cndmask_b32 v16, v16, v8
	s_cselect_b32 s3, -1, 0
	s_add_co_i32 s38, s38, 32
	s_cmp_eq_u32 s14, s16
	s_wait_dscnt 0x0
	v_fma_f64 v[10:11], -v[14:15], v[10:11], v[16:17]
	s_delay_alu instid0(VALU_DEP_1)
	v_dual_cndmask_b32 v9, v9, v11 :: v_dual_cndmask_b32 v8, v8, v10
	v_dual_cndmask_b32 v7, v7, v11, s2 :: v_dual_cndmask_b32 v6, v6, v10, s2
	v_dual_cndmask_b32 v5, v5, v11, s1 :: v_dual_cndmask_b32 v4, v4, v10, s1
	;; [unrolled: 1-line block ×3, first 2 shown]
	s_cbranch_scc0 .LBB69_49
	s_branch .LBB69_45
.LBB69_50:                              ;   in Loop: Header=BB69_34 Depth=2
	s_cmp_lt_i32 s26, s21
	s_cselect_b32 s2, -1, 0
	s_add_co_i32 s1, s27, 1
	s_cmp_lt_u32 s27, 2
	s_cselect_b32 s3, -1, 0
	s_delay_alu instid0(SALU_CYCLE_1) | instskip(NEXT) | instid1(SALU_CYCLE_1)
	s_and_b32 s2, s2, s3
	s_and_not1_b32 vcc_lo, exec_lo, s2
	s_cbranch_vccnz .LBB69_52
; %bb.51:                               ;   in Loop: Header=BB69_34 Depth=2
	s_wait_xcnt 0x0
	s_mov_b32 s27, s1
	s_branch .LBB69_34
.LBB69_52:                              ;   in Loop: Header=BB69_3 Depth=1
	v_mov_b64_e32 v[16:17], v[8:9]
	v_mov_b64_e32 v[14:15], v[6:7]
	;; [unrolled: 1-line block ×4, first 2 shown]
.LBB69_53:                              ;   in Loop: Header=BB69_3 Depth=1
	s_wait_dscnt 0x0
	; wave barrier
	s_and_saveexec_b32 s1, s18
	s_cbranch_execz .LBB69_2
; %bb.54:                               ;   in Loop: Header=BB69_3 Depth=1
	v_mov_b32_e32 v2, v26
	s_mov_b32 s2, s21
.LBB69_55:                              ;   Parent Loop BB69_3 Depth=1
                                        ; =>  This Inner Loop Header: Depth=2
	ds_load_b64 v[4:5], v2
	v_add_nc_u32_e32 v2, 32, v2
	s_add_co_i32 s2, s2, -1
	s_delay_alu instid0(SALU_CYCLE_1)
	s_cmp_lg_u32 s2, 0
	s_wait_dscnt 0x0
	global_store_b64 v[22:23], v[4:5], off
	s_wait_xcnt 0x0
	v_add_nc_u64_e32 v[22:23], 8, v[22:23]
	s_cbranch_scc1 .LBB69_55
	s_branch .LBB69_2
.LBB69_56:
	s_endpgm
	.section	.rodata,"a",@progbits
	.p2align	6, 0x0
	.amdhsa_kernel _ZL38rocblas_trsm_small_left_device_sharedBILi4ELi4ELb1EddPKdPdEv13rocblas_fill_18rocblas_operation_17rocblas_diagonal_iiT3_T4_lilT5_lili
		.amdhsa_group_segment_fixed_size 256
		.amdhsa_private_segment_fixed_size 0
		.amdhsa_kernarg_size 360
		.amdhsa_user_sgpr_count 2
		.amdhsa_user_sgpr_dispatch_ptr 0
		.amdhsa_user_sgpr_queue_ptr 0
		.amdhsa_user_sgpr_kernarg_segment_ptr 1
		.amdhsa_user_sgpr_dispatch_id 0
		.amdhsa_user_sgpr_kernarg_preload_length 0
		.amdhsa_user_sgpr_kernarg_preload_offset 0
		.amdhsa_user_sgpr_private_segment_size 0
		.amdhsa_wavefront_size32 1
		.amdhsa_uses_dynamic_stack 0
		.amdhsa_enable_private_segment 0
		.amdhsa_system_sgpr_workgroup_id_x 1
		.amdhsa_system_sgpr_workgroup_id_y 0
		.amdhsa_system_sgpr_workgroup_id_z 1
		.amdhsa_system_sgpr_workgroup_info 0
		.amdhsa_system_vgpr_workitem_id 0
		.amdhsa_next_free_vgpr 33
		.amdhsa_next_free_sgpr 41
		.amdhsa_named_barrier_count 0
		.amdhsa_reserve_vcc 1
		.amdhsa_float_round_mode_32 0
		.amdhsa_float_round_mode_16_64 0
		.amdhsa_float_denorm_mode_32 3
		.amdhsa_float_denorm_mode_16_64 3
		.amdhsa_fp16_overflow 0
		.amdhsa_memory_ordered 1
		.amdhsa_forward_progress 1
		.amdhsa_inst_pref_size 23
		.amdhsa_round_robin_scheduling 0
		.amdhsa_exception_fp_ieee_invalid_op 0
		.amdhsa_exception_fp_denorm_src 0
		.amdhsa_exception_fp_ieee_div_zero 0
		.amdhsa_exception_fp_ieee_overflow 0
		.amdhsa_exception_fp_ieee_underflow 0
		.amdhsa_exception_fp_ieee_inexact 0
		.amdhsa_exception_int_div_zero 0
	.end_amdhsa_kernel
	.section	.text._ZL38rocblas_trsm_small_left_device_sharedBILi4ELi4ELb1EddPKdPdEv13rocblas_fill_18rocblas_operation_17rocblas_diagonal_iiT3_T4_lilT5_lili,"axG",@progbits,_ZL38rocblas_trsm_small_left_device_sharedBILi4ELi4ELb1EddPKdPdEv13rocblas_fill_18rocblas_operation_17rocblas_diagonal_iiT3_T4_lilT5_lili,comdat
.Lfunc_end69:
	.size	_ZL38rocblas_trsm_small_left_device_sharedBILi4ELi4ELb1EddPKdPdEv13rocblas_fill_18rocblas_operation_17rocblas_diagonal_iiT3_T4_lilT5_lili, .Lfunc_end69-_ZL38rocblas_trsm_small_left_device_sharedBILi4ELi4ELb1EddPKdPdEv13rocblas_fill_18rocblas_operation_17rocblas_diagonal_iiT3_T4_lilT5_lili
                                        ; -- End function
	.set _ZL38rocblas_trsm_small_left_device_sharedBILi4ELi4ELb1EddPKdPdEv13rocblas_fill_18rocblas_operation_17rocblas_diagonal_iiT3_T4_lilT5_lili.num_vgpr, 33
	.set _ZL38rocblas_trsm_small_left_device_sharedBILi4ELi4ELb1EddPKdPdEv13rocblas_fill_18rocblas_operation_17rocblas_diagonal_iiT3_T4_lilT5_lili.num_agpr, 0
	.set _ZL38rocblas_trsm_small_left_device_sharedBILi4ELi4ELb1EddPKdPdEv13rocblas_fill_18rocblas_operation_17rocblas_diagonal_iiT3_T4_lilT5_lili.numbered_sgpr, 41
	.set _ZL38rocblas_trsm_small_left_device_sharedBILi4ELi4ELb1EddPKdPdEv13rocblas_fill_18rocblas_operation_17rocblas_diagonal_iiT3_T4_lilT5_lili.num_named_barrier, 0
	.set _ZL38rocblas_trsm_small_left_device_sharedBILi4ELi4ELb1EddPKdPdEv13rocblas_fill_18rocblas_operation_17rocblas_diagonal_iiT3_T4_lilT5_lili.private_seg_size, 0
	.set _ZL38rocblas_trsm_small_left_device_sharedBILi4ELi4ELb1EddPKdPdEv13rocblas_fill_18rocblas_operation_17rocblas_diagonal_iiT3_T4_lilT5_lili.uses_vcc, 1
	.set _ZL38rocblas_trsm_small_left_device_sharedBILi4ELi4ELb1EddPKdPdEv13rocblas_fill_18rocblas_operation_17rocblas_diagonal_iiT3_T4_lilT5_lili.uses_flat_scratch, 0
	.set _ZL38rocblas_trsm_small_left_device_sharedBILi4ELi4ELb1EddPKdPdEv13rocblas_fill_18rocblas_operation_17rocblas_diagonal_iiT3_T4_lilT5_lili.has_dyn_sized_stack, 0
	.set _ZL38rocblas_trsm_small_left_device_sharedBILi4ELi4ELb1EddPKdPdEv13rocblas_fill_18rocblas_operation_17rocblas_diagonal_iiT3_T4_lilT5_lili.has_recursion, 0
	.set _ZL38rocblas_trsm_small_left_device_sharedBILi4ELi4ELb1EddPKdPdEv13rocblas_fill_18rocblas_operation_17rocblas_diagonal_iiT3_T4_lilT5_lili.has_indirect_call, 0
	.section	.AMDGPU.csdata,"",@progbits
; Kernel info:
; codeLenInByte = 2860
; TotalNumSgprs: 43
; NumVgprs: 33
; ScratchSize: 0
; MemoryBound: 0
; FloatMode: 240
; IeeeMode: 1
; LDSByteSize: 256 bytes/workgroup (compile time only)
; SGPRBlocks: 0
; VGPRBlocks: 2
; NumSGPRsForWavesPerEU: 43
; NumVGPRsForWavesPerEU: 33
; NamedBarCnt: 0
; Occupancy: 16
; WaveLimiterHint : 0
; COMPUTE_PGM_RSRC2:SCRATCH_EN: 0
; COMPUTE_PGM_RSRC2:USER_SGPR: 2
; COMPUTE_PGM_RSRC2:TRAP_HANDLER: 0
; COMPUTE_PGM_RSRC2:TGID_X_EN: 1
; COMPUTE_PGM_RSRC2:TGID_Y_EN: 0
; COMPUTE_PGM_RSRC2:TGID_Z_EN: 1
; COMPUTE_PGM_RSRC2:TIDIG_COMP_CNT: 0
	.section	.text._ZL30rocblas_trsm_small_left_deviceILi4ELi4ELb1EddPKdPdEv13rocblas_fill_18rocblas_operation_17rocblas_diagonal_iiT3_T4_lilT5_lili,"axG",@progbits,_ZL30rocblas_trsm_small_left_deviceILi4ELi4ELb1EddPKdPdEv13rocblas_fill_18rocblas_operation_17rocblas_diagonal_iiT3_T4_lilT5_lili,comdat
	.globl	_ZL30rocblas_trsm_small_left_deviceILi4ELi4ELb1EddPKdPdEv13rocblas_fill_18rocblas_operation_17rocblas_diagonal_iiT3_T4_lilT5_lili ; -- Begin function _ZL30rocblas_trsm_small_left_deviceILi4ELi4ELb1EddPKdPdEv13rocblas_fill_18rocblas_operation_17rocblas_diagonal_iiT3_T4_lilT5_lili
	.p2align	8
	.type	_ZL30rocblas_trsm_small_left_deviceILi4ELi4ELb1EddPKdPdEv13rocblas_fill_18rocblas_operation_17rocblas_diagonal_iiT3_T4_lilT5_lili,@function
_ZL30rocblas_trsm_small_left_deviceILi4ELi4ELb1EddPKdPdEv13rocblas_fill_18rocblas_operation_17rocblas_diagonal_iiT3_T4_lilT5_lili: ; @_ZL30rocblas_trsm_small_left_deviceILi4ELi4ELb1EddPKdPdEv13rocblas_fill_18rocblas_operation_17rocblas_diagonal_iiT3_T4_lilT5_lili
; %bb.0:
	s_load_b32 s33, s[0:1], 0x60
	s_bfe_u32 s2, ttmp6, 0x40014
	s_lshr_b32 s3, ttmp7, 16
	s_add_co_i32 s2, s2, 1
	s_bfe_u32 s5, ttmp6, 0x40008
	s_mul_i32 s4, s3, s2
	s_getreg_b32 s2, hwreg(HW_REG_IB_STS2, 6, 4)
	s_add_co_i32 s5, s5, s4
	s_cmp_eq_u32 s2, 0
	s_mov_b32 s19, 0
	s_cselect_b32 s20, s3, s5
	s_wait_kmcnt 0x0
	s_cmp_ge_u32 s20, s33
	s_cbranch_scc1 .LBB70_53
; %bb.1:
	s_clause 0x4
	s_load_b96 s[16:18], s[0:1], 0x28
	s_load_b96 s[24:26], s[0:1], 0x48
	s_load_b128 s[4:7], s[0:1], 0x4
	s_load_b32 s21, s[0:1], 0x68
	s_load_b64 s[22:23], s[0:1], 0x58
	s_bfe_u32 s3, ttmp6, 0x4000c
	s_and_b32 s27, ttmp6, 15
	s_add_co_i32 s3, s3, 1
	s_clause 0x1
	s_load_b128 s[8:11], s[0:1], 0x18
	s_load_b128 s[12:15], s[0:1], 0x38
	s_mul_i32 s3, ttmp9, s3
	s_mov_b32 s39, 0
	s_add_co_i32 s27, s27, s3
	v_dual_mov_b32 v19, 0 :: v_dual_lshlrev_b32 v1, 5, v0
	s_delay_alu instid0(VALU_DEP_1)
	v_dual_mov_b32 v5, v19 :: v_dual_lshlrev_b32 v18, 3, v0
	v_mov_b32_e32 v6, v19
	s_wait_kmcnt 0x0
	s_ashr_i32 s3, s18, 31
	s_ashr_i32 s1, s26, 31
	s_min_i32 s34, s6, 4
	s_lshl_b64 s[24:25], s[24:25], 3
	s_add_co_i32 s21, s21, -1
	s_add_co_i32 s35, s34, -1
	s_cmp_eq_u32 s2, 0
	s_mov_b32 s0, s26
	s_cselect_b32 s6, ttmp9, s27
	s_mov_b32 s2, s18
	s_lshl_b32 s27, s6, 2
	s_add_nc_u64 s[14:15], s[14:15], s[24:25]
	v_dual_mov_b32 v7, v19 :: v_dual_bitop2_b32 v2, s27, v0 bitop3:0x54
	v_dual_mov_b32 v8, v19 :: v_dual_mov_b32 v4, v19
	s_delay_alu instid0(VALU_DEP_2) | instskip(NEXT) | instid1(VALU_DEP_1)
	v_ashrrev_i32_e32 v3, 31, v2
	v_mul_u64_e32 v[10:11], s[0:1], v[2:3]
	s_sub_co_i32 s0, s7, s27
	s_cmp_ge_u32 s6, s21
	v_mov_b32_e32 v2, v19
	s_cselect_b32 s1, s0, 4
	s_cmp_lg_u32 s5, 0x84
	v_dual_mov_b32 v9, v19 :: v_dual_add_nc_u32 v28, v18, v1
	s_cselect_b32 s36, -1, 0
	s_cmp_lg_u32 s4, 0x6f
	v_cmp_gt_i32_e64 s0, s34, v0
	s_cselect_b32 s37, -1, 0
	s_lshl_b64 s[4:5], s[16:17], 3
	s_lshl_b64 s[6:7], s[12:13], 3
	;; [unrolled: 1-line block ×3, first 2 shown]
	s_add_nc_u64 s[2:3], s[10:11], s[4:5]
	v_cmp_gt_i32_e64 s1, s1, v0
	v_add_nc_u64_e32 v[0:1], s[2:3], v[18:19]
	v_mov_b32_e32 v3, v19
	s_lshl_b32 s38, s34, 3
	s_get_pc_i64 s[10:11]
	s_add_nc_u64 s[10:11], s[10:11], __const._ZL30rocblas_trsm_small_left_deviceILi4ELi4ELb1EddPKdPdEv13rocblas_fill_18rocblas_operation_17rocblas_diagonal_iiT3_T4_lilT5_lili.step_sizes@rel64+4
	s_add_co_i32 s38, s38, -8
	v_lshl_add_u64 v[20:21], v[10:11], 3, s[14:15]
	s_lshl_b64 s[14:15], s[22:23], 3
	s_branch .LBB70_5
.LBB70_2:                               ;   in Loop: Header=BB70_5 Depth=1
	s_wait_xcnt 0x0
	v_mov_b64_e32 v[16:17], v[8:9]
	v_mov_b64_e32 v[14:15], v[6:7]
	v_mov_b64_e32 v[12:13], v[4:5]
	v_mov_b64_e32 v[10:11], v[2:3]
.LBB70_3:                               ;   in Loop: Header=BB70_5 Depth=1
	s_add_co_i32 s20, s20, 0x10000
	s_delay_alu instid0(SALU_CYCLE_1) | instskip(SKIP_1) | instid1(SALU_CYCLE_1)
	s_cmp_ge_u32 s20, s33
	s_cselect_b32 s2, -1, 0
	s_or_not1_b32 s2, s2, exec_lo
.LBB70_4:                               ;   in Loop: Header=BB70_5 Depth=1
	s_wait_xcnt 0x0
	s_or_b32 exec_lo, exec_lo, s40
	v_mov_b64_e32 v[2:3], v[10:11]
	v_mov_b64_e32 v[4:5], v[12:13]
	;; [unrolled: 1-line block ×4, first 2 shown]
	s_and_b32 s2, exec_lo, s2
	s_delay_alu instid0(SALU_CYCLE_1) | instskip(NEXT) | instid1(SALU_CYCLE_1)
	s_or_b32 s39, s2, s39
	s_and_not1_b32 exec_lo, exec_lo, s39
	s_cbranch_execz .LBB70_53
.LBB70_5:                               ; =>This Loop Header: Depth=1
                                        ;     Child Loop BB70_7 Depth 2
                                        ;     Child Loop BB70_16 Depth 2
                                        ;       Child Loop BB70_17 Depth 3
                                        ;       Child Loop BB70_19 Depth 3
                                        ;         Child Loop BB70_20 Depth 4
                                        ;       Child Loop BB70_25 Depth 3
                                        ;         Child Loop BB70_27 Depth 4
                                        ;     Child Loop BB70_29 Depth 2
                                        ;     Child Loop BB70_34 Depth 2
                                        ;       Child Loop BB70_37 Depth 3
                                        ;         Child Loop BB70_38 Depth 4
                                        ;         Child Loop BB70_41 Depth 4
                                        ;           Child Loop BB70_42 Depth 5
                                        ;         Child Loop BB70_47 Depth 4
                                        ;           Child Loop BB70_49 Depth 5
	s_mov_b32 s21, s19
	s_and_saveexec_b32 s2, s0
	s_cbranch_execz .LBB70_11
; %bb.6:                                ;   in Loop: Header=BB70_5 Depth=1
	v_mad_nc_u64_u32 v[10:11], s6, s20, v[0:1]
	v_mov_b32_e32 v12, v18
	s_mov_b32 s3, s34
	s_delay_alu instid0(VALU_DEP_2)
	v_mad_u32 v11, s7, s20, v11
.LBB70_7:                               ;   Parent Loop BB70_5 Depth=1
                                        ; =>  This Inner Loop Header: Depth=2
	global_load_b64 v[14:15], v[10:11], off
	s_wait_xcnt 0x0
	v_add_nc_u64_e32 v[10:11], s[12:13], v[10:11]
	s_add_co_i32 s3, s3, -1
	s_delay_alu instid0(SALU_CYCLE_1)
	s_cmp_eq_u32 s3, 0
	s_wait_loadcnt 0x0
	ds_store_b64 v12, v[14:15]
	v_add_nc_u32_e32 v12, 32, v12
	s_cbranch_scc0 .LBB70_7
; %bb.8:                                ;   in Loop: Header=BB70_5 Depth=1
	v_mov_b64_e32 v[10:11], 1.0
	s_and_b32 vcc_lo, exec_lo, s36
	s_cbranch_vccz .LBB70_10
; %bb.9:                                ;   in Loop: Header=BB70_5 Depth=1
	ds_load_b64 v[10:11], v28
	s_wait_dscnt 0x0
	v_div_scale_f64 v[12:13], null, v[10:11], v[10:11], 1.0
	s_delay_alu instid0(VALU_DEP_1) | instskip(SKIP_1) | instid1(TRANS32_DEP_1)
	v_rcp_f64_e32 v[14:15], v[12:13]
	v_nop
	v_fma_f64 v[16:17], -v[12:13], v[14:15], 1.0
	s_delay_alu instid0(VALU_DEP_1) | instskip(NEXT) | instid1(VALU_DEP_1)
	v_fmac_f64_e32 v[14:15], v[14:15], v[16:17]
	v_fma_f64 v[16:17], -v[12:13], v[14:15], 1.0
	s_delay_alu instid0(VALU_DEP_1) | instskip(SKIP_1) | instid1(VALU_DEP_1)
	v_fmac_f64_e32 v[14:15], v[14:15], v[16:17]
	v_div_scale_f64 v[16:17], vcc_lo, 1.0, v[10:11], 1.0
	v_mul_f64_e32 v[22:23], v[16:17], v[14:15]
	s_delay_alu instid0(VALU_DEP_1) | instskip(NEXT) | instid1(VALU_DEP_1)
	v_fma_f64 v[12:13], -v[12:13], v[22:23], v[16:17]
	v_div_fmas_f64 v[12:13], v[12:13], v[14:15], v[22:23]
	s_delay_alu instid0(VALU_DEP_1)
	v_div_fixup_f64 v[10:11], v[12:13], v[10:11], 1.0
.LBB70_10:                              ;   in Loop: Header=BB70_5 Depth=1
	ds_store_b64 v28, v[10:11]
.LBB70_11:                              ;   in Loop: Header=BB70_5 Depth=1
	s_or_b32 exec_lo, exec_lo, s2
	s_mov_b32 s2, -1
	s_wait_dscnt 0x0
	; wave barrier
                                        ; implicit-def: $vgpr10_vgpr11_vgpr12_vgpr13_vgpr14_vgpr15_vgpr16_vgpr17
	s_and_saveexec_b32 s40, s1
	s_cbranch_execz .LBB70_4
; %bb.12:                               ;   in Loop: Header=BB70_5 Depth=1
	s_mul_u64 s[2:3], s[22:23], s[20:21]
	s_mul_u64 s[16:17], s[14:15], s[20:21]
	v_lshl_add_u64 v[22:23], s[2:3], 3, v[20:21]
	s_and_not1_b32 vcc_lo, exec_lo, s37
	s_mov_b32 s2, -1
                                        ; implicit-def: $vgpr10_vgpr11_vgpr12_vgpr13_vgpr14_vgpr15_vgpr16_vgpr17
	s_cbranch_vccnz .LBB70_32
; %bb.13:                               ;   in Loop: Header=BB70_5 Depth=1
	v_mov_b64_e32 v[16:17], v[8:9]
	v_add_nc_u64_e32 v[24:25], s[16:17], v[20:21]
	v_mov_b64_e32 v[14:15], v[6:7]
	v_mov_b64_e32 v[12:13], v[4:5]
	;; [unrolled: 1-line block ×3, first 2 shown]
	s_mov_b32 s18, 0
	s_mov_b32 s24, s35
	s_load_b32 s21, s[10:11], s18 offset:0x0 scale_offset
	s_wait_kmcnt 0x0
	s_add_co_i32 s30, s21, -1
	s_delay_alu instid0(SALU_CYCLE_1)
	s_cmp_lt_i32 s24, s30
	s_cbranch_scc1 .LBB70_29
.LBB70_14:                              ;   in Loop: Header=BB70_5 Depth=1
	s_lshl_b32 s2, s24, 5
	s_lshl_b32 s3, s21, 5
	s_max_i32 s31, s21, 1
	s_add_co_i32 s41, s38, s2
	s_sub_co_i32 s42, 0, s3
	s_mul_i32 s43, s24, 40
	s_mul_i32 s44, s21, 0xffffffd8
	s_branch .LBB70_16
.LBB70_15:                              ;   in Loop: Header=BB70_16 Depth=2
	s_sub_co_i32 s24, s24, s21
	s_add_co_i32 s41, s41, s42
	s_add_co_i32 s43, s43, s44
	s_cmp_lt_i32 s24, s30
	s_cbranch_scc1 .LBB70_29
.LBB70_16:                              ;   Parent Loop BB70_5 Depth=1
                                        ; =>  This Loop Header: Depth=2
                                        ;       Child Loop BB70_17 Depth 3
                                        ;       Child Loop BB70_19 Depth 3
                                        ;         Child Loop BB70_20 Depth 4
                                        ;       Child Loop BB70_25 Depth 3
                                        ;         Child Loop BB70_27 Depth 4
	s_ashr_i32 s25, s24, 31
	s_mov_b64 s[26:27], 0
	s_wait_xcnt 0x0
	v_lshl_add_u64 v[26:27], s[24:25], 3, v[24:25]
.LBB70_17:                              ;   Parent Loop BB70_5 Depth=1
                                        ;     Parent Loop BB70_16 Depth=2
                                        ; =>    This Inner Loop Header: Depth=3
	global_load_b64 v[30:31], v[26:27], off
	s_cmp_eq_u32 s26, 3
	s_wait_xcnt 0x0
	v_add_nc_u64_e32 v[26:27], -8, v[26:27]
	s_cselect_b32 vcc_lo, -1, 0
	s_cmp_eq_u32 s26, 2
	s_cselect_b32 s2, -1, 0
	s_cmp_eq_u32 s26, 1
	s_cselect_b32 s3, -1, 0
	s_cmp_eq_u32 s26, 0
	s_add_nc_u64 s[26:27], s[26:27], 1
	s_cselect_b32 s4, -1, 0
	s_cmp_eq_u32 s31, s26
	s_wait_loadcnt 0x0
	v_mul_f64_e32 v[30:31], s[8:9], v[30:31]
	s_delay_alu instid0(VALU_DEP_1)
	v_dual_cndmask_b32 v17, v17, v31 :: v_dual_cndmask_b32 v16, v16, v30
	v_dual_cndmask_b32 v15, v15, v31, s2 :: v_dual_cndmask_b32 v14, v14, v30, s2
	v_dual_cndmask_b32 v13, v13, v31, s3 :: v_dual_cndmask_b32 v12, v12, v30, s3
	;; [unrolled: 1-line block ×3, first 2 shown]
	s_cbranch_scc0 .LBB70_17
; %bb.18:                               ;   in Loop: Header=BB70_16 Depth=2
	s_cmp_le_i32 s35, s24
	s_mov_b32 s5, s41
	s_mov_b32 s26, s35
	s_cbranch_scc1 .LBB70_22
.LBB70_19:                              ;   Parent Loop BB70_5 Depth=1
                                        ;     Parent Loop BB70_16 Depth=2
                                        ; =>    This Loop Header: Depth=3
                                        ;         Child Loop BB70_20 Depth 4
	s_ashr_i32 s27, s26, 31
	s_mov_b64 s[28:29], 0
	s_wait_xcnt 0x0
	v_lshl_add_u64 v[26:27], s[26:27], 3, v[22:23]
	s_mov_b32 s27, s5
	global_load_b64 v[26:27], v[26:27], off
.LBB70_20:                              ;   Parent Loop BB70_5 Depth=1
                                        ;     Parent Loop BB70_16 Depth=2
                                        ;       Parent Loop BB70_19 Depth=3
                                        ; =>      This Inner Loop Header: Depth=4
	s_cmp_eq_u32 s28, 1
	s_cselect_b32 vcc_lo, -1, 0
	s_delay_alu instid0(VALU_DEP_1) | instid1(SALU_CYCLE_1)
	v_dual_mov_b32 v19, s27 :: v_dual_cndmask_b32 v29, v11, v13, vcc_lo
	s_cmp_eq_u32 s28, 2
	s_cselect_b32 s2, -1, 0
	ds_load_b64 v[30:31], v19
	v_dual_cndmask_b32 v32, v10, v12, vcc_lo :: v_dual_cndmask_b32 v19, v29, v15, s2
	s_cmp_eq_u32 s28, 3
	s_cselect_b32 s3, -1, 0
	s_delay_alu instid0(VALU_DEP_1) | instid1(SALU_CYCLE_1)
	v_dual_cndmask_b32 v29, v32, v14, s2 :: v_dual_cndmask_b32 v33, v19, v17, s3
	s_cmp_eq_u32 s28, 0
	s_add_nc_u64 s[28:29], s[28:29], 1
	s_cselect_b32 s4, -1, 0
	s_delay_alu instid0(VALU_DEP_1) | instskip(SKIP_3) | instid1(VALU_DEP_1)
	v_cndmask_b32_e64 v32, v29, v16, s3
	s_sub_co_i32 s27, s27, 32
	s_cmp_eq_u32 s31, s28
	s_wait_loadcnt_dscnt 0x0
	v_fma_f64 v[30:31], -v[26:27], v[30:31], v[32:33]
	s_delay_alu instid0(VALU_DEP_1) | instskip(NEXT) | instid1(VALU_DEP_2)
	v_dual_cndmask_b32 v17, v17, v31, s3 :: v_dual_cndmask_b32 v15, v15, v31, s2
	v_dual_cndmask_b32 v16, v16, v30, s3 :: v_dual_cndmask_b32 v14, v14, v30, s2
	v_dual_cndmask_b32 v13, v13, v31 :: v_dual_cndmask_b32 v12, v12, v30
	v_dual_cndmask_b32 v11, v11, v31, s4 :: v_dual_cndmask_b32 v10, v10, v30, s4
	s_cbranch_scc0 .LBB70_20
; %bb.21:                               ;   in Loop: Header=BB70_19 Depth=3
	s_add_co_i32 s26, s26, -1
	s_add_co_i32 s5, s5, -8
	s_cmp_le_i32 s26, s24
	s_cbranch_scc0 .LBB70_19
.LBB70_22:                              ;   in Loop: Header=BB70_16 Depth=2
	s_mov_b64 s[26:27], 0
	s_mov_b32 s45, s43
	s_branch .LBB70_25
.LBB70_23:                              ;   in Loop: Header=BB70_25 Depth=3
	s_mov_b32 s2, s24
	s_mov_b64 s[4:5], 0
	s_mov_b64 s[28:29], s[24:25]
.LBB70_24:                              ;   in Loop: Header=BB70_25 Depth=3
	s_mul_i32 s2, s2, 40
	s_cmp_eq_u32 s4, 1
	s_add_nc_u64 s[26:27], s[26:27], 1
	s_cselect_b32 vcc_lo, -1, 0
	s_delay_alu instid0(SALU_CYCLE_1)
	v_dual_mov_b32 v19, s2 :: v_dual_cndmask_b32 v29, v10, v12, vcc_lo
	s_cmp_eq_u32 s4, 2
	s_cselect_b32 s2, -1, 0
	s_wait_xcnt 0x0
	ds_load_b64 v[26:27], v19
	v_dual_cndmask_b32 v19, v11, v13, vcc_lo :: v_dual_cndmask_b32 v29, v29, v14, s2
	s_cmp_eq_u32 s4, 3
	s_cselect_b32 s3, -1, 0
	s_delay_alu instid0(VALU_DEP_1) | instid1(SALU_CYCLE_1)
	v_dual_cndmask_b32 v19, v19, v15, s2 :: v_dual_cndmask_b32 v30, v29, v16, s3
	s_cmp_eq_u32 s4, 0
	s_delay_alu instid0(VALU_DEP_1) | instskip(SKIP_1) | instid1(VALU_DEP_1)
	v_cndmask_b32_e64 v31, v19, v17, s3
	s_wait_dscnt 0x0
	v_mul_f64_e32 v[26:27], v[30:31], v[26:27]
	v_lshl_add_u64 v[30:31], s[28:29], 3, v[22:23]
	s_delay_alu instid0(VALU_DEP_2)
	v_dual_cndmask_b32 v14, v14, v26, s2 :: v_dual_cndmask_b32 v13, v13, v27, vcc_lo
	v_cndmask_b32_e32 v12, v12, v26, vcc_lo
	s_cselect_b32 vcc_lo, -1, 0
	v_dual_cndmask_b32 v17, v17, v27, s3 :: v_dual_cndmask_b32 v16, v16, v26, s3
	v_cndmask_b32_e64 v15, v15, v27, s2
	v_dual_cndmask_b32 v11, v11, v27 :: v_dual_cndmask_b32 v10, v10, v26
	s_sub_co_i32 s45, s45, 32
	s_cmp_eq_u32 s26, s31
	global_store_b64 v[30:31], v[26:27], off
	s_cbranch_scc1 .LBB70_15
.LBB70_25:                              ;   Parent Loop BB70_5 Depth=1
                                        ;     Parent Loop BB70_16 Depth=2
                                        ; =>    This Loop Header: Depth=3
                                        ;         Child Loop BB70_27 Depth 4
	s_cmp_eq_u32 s26, 0
	s_cbranch_scc1 .LBB70_23
; %bb.26:                               ;   in Loop: Header=BB70_25 Depth=3
	s_mov_b64 s[28:29], 0
	s_mov_b32 s5, s45
.LBB70_27:                              ;   Parent Loop BB70_5 Depth=1
                                        ;     Parent Loop BB70_16 Depth=2
                                        ;       Parent Loop BB70_25 Depth=3
                                        ; =>      This Inner Loop Header: Depth=4
	s_cmp_eq_u32 s28, 1
	s_cselect_b32 vcc_lo, -1, 0
	s_delay_alu instid0(VALU_DEP_1) | instid1(SALU_CYCLE_1)
	v_dual_mov_b32 v19, s5 :: v_dual_cndmask_b32 v29, v11, v13, vcc_lo
	s_cmp_eq_u32 s28, 2
	s_cselect_b32 s2, -1, 0
	s_wait_xcnt 0x0
	v_cndmask_b32_e32 v30, v10, v12, vcc_lo
	s_cmp_eq_u32 s28, 3
	ds_load_b64 v[26:27], v19
	s_cselect_b32 vcc_lo, -1, 0
	s_cmp_eq_u32 s26, 1
	v_dual_cndmask_b32 v19, v29, v15, s2 :: v_dual_cndmask_b32 v29, v30, v14, s2
	s_cselect_b32 s2, -1, 0
	s_cmp_eq_u32 s26, 2
	v_dual_cndmask_b32 v32, v11, v13, s2 :: v_dual_cndmask_b32 v33, v10, v12, s2
	s_delay_alu instid0(VALU_DEP_2) | instskip(SKIP_2) | instid1(VALU_DEP_2)
	v_cndmask_b32_e32 v31, v19, v17, vcc_lo
	s_cselect_b32 s3, -1, 0
	s_cmp_eq_u32 s26, 3
	v_dual_cndmask_b32 v30, v29, v16, vcc_lo :: v_dual_cndmask_b32 v19, v32, v15, s3
	s_cselect_b32 vcc_lo, -1, 0
	v_cndmask_b32_e64 v29, v33, v14, s3
	s_cmp_eq_u32 s26, 0
	s_add_nc_u64 s[28:29], s[28:29], 1
	v_cndmask_b32_e32 v33, v19, v17, vcc_lo
	s_cselect_b32 s4, -1, 0
	v_cndmask_b32_e32 v32, v29, v16, vcc_lo
	s_add_co_i32 s5, s5, -8
	s_cmp_eq_u32 s26, s28
	s_wait_dscnt 0x0
	s_delay_alu instid0(VALU_DEP_1) | instskip(NEXT) | instid1(VALU_DEP_1)
	v_fma_f64 v[26:27], -v[30:31], v[26:27], v[32:33]
	v_dual_cndmask_b32 v17, v17, v27, vcc_lo :: v_dual_cndmask_b32 v15, v15, v27, s3
	s_delay_alu instid0(VALU_DEP_2)
	v_dual_cndmask_b32 v16, v16, v26, vcc_lo :: v_dual_cndmask_b32 v14, v14, v26, s3
	v_dual_cndmask_b32 v13, v13, v27, s2 :: v_dual_cndmask_b32 v12, v12, v26, s2
	v_dual_cndmask_b32 v11, v11, v27, s4 :: v_dual_cndmask_b32 v10, v10, v26, s4
	s_cbranch_scc0 .LBB70_27
; %bb.28:                               ;   in Loop: Header=BB70_25 Depth=3
	s_sub_co_i32 s2, s24, s26
	s_mov_b64 s[4:5], s[26:27]
	s_ashr_i32 s3, s2, 31
	s_delay_alu instid0(SALU_CYCLE_1)
	s_mov_b64 s[28:29], s[2:3]
	s_branch .LBB70_24
.LBB70_29:                              ;   Parent Loop BB70_5 Depth=1
                                        ; =>  This Inner Loop Header: Depth=2
	s_cmp_gt_i32 s24, -1
	s_cselect_b32 s3, -1, 0
	s_add_co_i32 s2, s18, 1
	s_cmp_lt_u32 s18, 2
	s_cselect_b32 s4, -1, 0
	s_delay_alu instid0(SALU_CYCLE_1) | instskip(NEXT) | instid1(SALU_CYCLE_1)
	s_and_b32 s3, s3, s4
	s_and_b32 vcc_lo, exec_lo, s3
	s_cbranch_vccz .LBB70_31
; %bb.30:                               ;   in Loop: Header=BB70_29 Depth=2
	s_wait_xcnt 0x0
	s_mov_b32 s18, s2
	s_load_b32 s21, s[10:11], s18 offset:0x0 scale_offset
	s_wait_kmcnt 0x0
	s_add_co_i32 s30, s21, -1
	s_delay_alu instid0(SALU_CYCLE_1)
	s_cmp_lt_i32 s24, s30
	s_cbranch_scc0 .LBB70_14
	s_branch .LBB70_29
.LBB70_31:                              ;   in Loop: Header=BB70_5 Depth=1
	s_mov_b32 s2, 0
.LBB70_32:                              ;   in Loop: Header=BB70_5 Depth=1
	s_delay_alu instid0(SALU_CYCLE_1)
	s_and_b32 vcc_lo, exec_lo, s2
	s_cbranch_vccz .LBB70_3
; %bb.33:                               ;   in Loop: Header=BB70_5 Depth=1
	v_add_nc_u64_e32 v[10:11], s[16:17], v[20:21]
	s_mov_b32 s16, 0
	s_mov_b32 s21, 0
.LBB70_34:                              ;   Parent Loop BB70_5 Depth=1
                                        ; =>  This Loop Header: Depth=2
                                        ;       Child Loop BB70_37 Depth 3
                                        ;         Child Loop BB70_38 Depth 4
                                        ;         Child Loop BB70_41 Depth 4
                                        ;           Child Loop BB70_42 Depth 5
                                        ;         Child Loop BB70_47 Depth 4
                                        ;           Child Loop BB70_49 Depth 5
	s_load_b32 s24, s[10:11], s21 offset:0x0 scale_offset
	s_wait_kmcnt 0x0
	s_add_co_i32 s41, s24, -1
	s_delay_alu instid0(SALU_CYCLE_1) | instskip(NEXT) | instid1(SALU_CYCLE_1)
	s_add_co_i32 s2, s41, s16
	s_cmp_ge_i32 s2, s34
	s_cbranch_scc1 .LBB70_51
; %bb.35:                               ;   in Loop: Header=BB70_34 Depth=2
	s_ashr_i32 s17, s16, 31
	s_ashr_i32 s25, s24, 31
	v_lshl_add_u64 v[12:13], s[16:17], 3, v[10:11]
	s_max_i32 s42, s24, 1
	s_lshl_b64 s[26:27], s[24:25], 3
	s_lshl_b32 s17, s16, 3
	s_lshl_b32 s25, s24, 3
	s_mul_i32 s43, s16, 40
	s_mul_i32 s44, s24, 40
	s_branch .LBB70_37
.LBB70_36:                              ;   in Loop: Header=BB70_37 Depth=3
	v_add_nc_u64_e32 v[12:13], s[26:27], v[12:13]
	s_add_co_i32 s16, s16, s24
	s_add_co_i32 s17, s17, s25
	;; [unrolled: 1-line block ×4, first 2 shown]
	s_cmp_ge_i32 s2, s34
	s_cbranch_scc1 .LBB70_51
.LBB70_37:                              ;   Parent Loop BB70_5 Depth=1
                                        ;     Parent Loop BB70_34 Depth=2
                                        ; =>    This Loop Header: Depth=3
                                        ;         Child Loop BB70_38 Depth 4
                                        ;         Child Loop BB70_41 Depth 4
                                        ;           Child Loop BB70_42 Depth 5
                                        ;         Child Loop BB70_47 Depth 4
                                        ;           Child Loop BB70_49 Depth 5
	s_wait_xcnt 0x0
	v_mov_b64_e32 v[14:15], v[12:13]
	s_mov_b64 s[28:29], 0
.LBB70_38:                              ;   Parent Loop BB70_5 Depth=1
                                        ;     Parent Loop BB70_34 Depth=2
                                        ;       Parent Loop BB70_37 Depth=3
                                        ; =>      This Inner Loop Header: Depth=4
	global_load_b64 v[16:17], v[14:15], off
	s_cmp_eq_u32 s28, 3
	s_wait_xcnt 0x0
	v_add_nc_u64_e32 v[14:15], 8, v[14:15]
	s_cselect_b32 vcc_lo, -1, 0
	s_cmp_eq_u32 s28, 2
	s_cselect_b32 s2, -1, 0
	s_cmp_eq_u32 s28, 1
	s_cselect_b32 s3, -1, 0
	s_cmp_eq_u32 s28, 0
	s_add_nc_u64 s[28:29], s[28:29], 1
	s_cselect_b32 s4, -1, 0
	s_cmp_eq_u32 s42, s28
	s_wait_loadcnt 0x0
	v_mul_f64_e32 v[16:17], s[8:9], v[16:17]
	s_delay_alu instid0(VALU_DEP_1)
	v_dual_cndmask_b32 v9, v9, v17 :: v_dual_cndmask_b32 v8, v8, v16
	v_dual_cndmask_b32 v7, v7, v17, s2 :: v_dual_cndmask_b32 v6, v6, v16, s2
	v_dual_cndmask_b32 v5, v5, v17, s3 :: v_dual_cndmask_b32 v4, v4, v16, s3
	;; [unrolled: 1-line block ×3, first 2 shown]
	s_cbranch_scc0 .LBB70_38
; %bb.39:                               ;   in Loop: Header=BB70_37 Depth=3
	s_cmp_lt_i32 s16, 1
	s_cbranch_scc1 .LBB70_44
; %bb.40:                               ;   in Loop: Header=BB70_37 Depth=3
	s_mov_b32 s18, 0
	s_mov_b32 s5, s17
.LBB70_41:                              ;   Parent Loop BB70_5 Depth=1
                                        ;     Parent Loop BB70_34 Depth=2
                                        ;       Parent Loop BB70_37 Depth=3
                                        ; =>      This Loop Header: Depth=4
                                        ;           Child Loop BB70_42 Depth 5
	s_wait_xcnt 0x0
	v_lshl_add_u64 v[14:15], s[18:19], 3, v[22:23]
	s_mov_b64 s[28:29], 0
	s_mov_b32 s30, s5
	global_load_b64 v[14:15], v[14:15], off
.LBB70_42:                              ;   Parent Loop BB70_5 Depth=1
                                        ;     Parent Loop BB70_34 Depth=2
                                        ;       Parent Loop BB70_37 Depth=3
                                        ;         Parent Loop BB70_41 Depth=4
                                        ; =>        This Inner Loop Header: Depth=5
	s_cmp_eq_u32 s28, 1
	s_cselect_b32 vcc_lo, -1, 0
	s_delay_alu instid0(VALU_DEP_1)
	v_dual_mov_b32 v16, s30 :: v_dual_cndmask_b32 v19, v3, v5
	s_cmp_eq_u32 s28, 2
	s_cselect_b32 s2, -1, 0
	ds_load_b64 v[16:17], v16
	v_dual_cndmask_b32 v24, v2, v4, vcc_lo :: v_dual_cndmask_b32 v19, v19, v7, s2
	s_cmp_eq_u32 s28, 3
	s_cselect_b32 s3, -1, 0
	s_delay_alu instid0(VALU_DEP_1) | instid1(SALU_CYCLE_1)
	v_dual_cndmask_b32 v24, v24, v6, s2 :: v_dual_cndmask_b32 v25, v19, v9, s3
	s_cmp_eq_u32 s28, 0
	s_add_nc_u64 s[28:29], s[28:29], 1
	s_cselect_b32 s4, -1, 0
	s_delay_alu instid0(VALU_DEP_1) | instskip(SKIP_3) | instid1(VALU_DEP_1)
	v_cndmask_b32_e64 v24, v24, v8, s3
	s_add_co_i32 s30, s30, 8
	s_cmp_eq_u32 s42, s28
	s_wait_loadcnt_dscnt 0x0
	v_fma_f64 v[16:17], -v[14:15], v[16:17], v[24:25]
	s_delay_alu instid0(VALU_DEP_1)
	v_dual_cndmask_b32 v9, v9, v17, s3 :: v_dual_cndmask_b32 v8, v8, v16, s3
	v_dual_cndmask_b32 v7, v7, v17, s2 :: v_dual_cndmask_b32 v6, v6, v16, s2
	v_dual_cndmask_b32 v5, v5, v17 :: v_dual_cndmask_b32 v4, v4, v16
	v_dual_cndmask_b32 v3, v3, v17, s4 :: v_dual_cndmask_b32 v2, v2, v16, s4
	s_cbranch_scc0 .LBB70_42
; %bb.43:                               ;   in Loop: Header=BB70_41 Depth=4
	s_add_co_i32 s18, s18, 1
	s_add_co_i32 s5, s5, 32
	s_cmp_eq_u32 s18, s16
	s_cbranch_scc0 .LBB70_41
.LBB70_44:                              ;   in Loop: Header=BB70_37 Depth=3
	s_mov_b64 s[28:29], 0
	s_mov_b32 s18, s43
	s_branch .LBB70_47
.LBB70_45:                              ;   in Loop: Header=BB70_47 Depth=4
	s_mov_b64 s[4:5], 0
.LBB70_46:                              ;   in Loop: Header=BB70_47 Depth=4
	s_add_co_i32 s30, s28, s16
	s_cmp_eq_u32 s4, 1
	s_mul_i32 s2, s30, 40
	s_cselect_b32 vcc_lo, -1, 0
	s_wait_xcnt 0x0
	v_dual_mov_b32 v14, s2 :: v_dual_cndmask_b32 v16, v3, v5, vcc_lo
	s_cmp_eq_u32 s4, 2
	s_add_nc_u64 s[28:29], s[28:29], 1
	s_cselect_b32 s2, -1, 0
	ds_load_b64 v[14:15], v14
	v_dual_cndmask_b32 v17, v2, v4, vcc_lo :: v_dual_cndmask_b32 v16, v16, v7, s2
	s_cmp_eq_u32 s4, 3
	s_cselect_b32 s3, -1, 0
	s_delay_alu instid0(VALU_DEP_1) | instid1(SALU_CYCLE_1)
	v_dual_cndmask_b32 v19, v17, v6, s2 :: v_dual_cndmask_b32 v17, v16, v9, s3
	s_cmp_eq_u32 s4, 0
	s_cselect_b32 s4, -1, 0
	s_delay_alu instid0(VALU_DEP_1)
	v_cndmask_b32_e64 v16, v19, v8, s3
	s_ashr_i32 s31, s30, 31
	s_add_co_i32 s18, s18, 8
	s_cmp_eq_u32 s28, s42
	s_wait_dscnt 0x0
	v_mul_f64_e32 v[14:15], v[16:17], v[14:15]
	v_lshl_add_u64 v[16:17], s[30:31], 3, v[22:23]
	s_delay_alu instid0(VALU_DEP_2)
	v_dual_cndmask_b32 v9, v9, v15, s3 :: v_dual_cndmask_b32 v8, v8, v14, s3
	v_dual_cndmask_b32 v7, v7, v15, s2 :: v_dual_cndmask_b32 v6, v6, v14, s2
	v_dual_cndmask_b32 v5, v5, v15 :: v_dual_cndmask_b32 v4, v4, v14
	v_dual_cndmask_b32 v3, v3, v15, s4 :: v_dual_cndmask_b32 v2, v2, v14, s4
	global_store_b64 v[16:17], v[14:15], off
	s_cbranch_scc1 .LBB70_36
.LBB70_47:                              ;   Parent Loop BB70_5 Depth=1
                                        ;     Parent Loop BB70_34 Depth=2
                                        ;       Parent Loop BB70_37 Depth=3
                                        ; =>      This Loop Header: Depth=4
                                        ;           Child Loop BB70_49 Depth 5
	s_cmp_eq_u32 s28, 0
	s_cbranch_scc1 .LBB70_45
; %bb.48:                               ;   in Loop: Header=BB70_47 Depth=4
	s_mov_b64 s[30:31], 0
	s_mov_b32 s5, s18
.LBB70_49:                              ;   Parent Loop BB70_5 Depth=1
                                        ;     Parent Loop BB70_34 Depth=2
                                        ;       Parent Loop BB70_37 Depth=3
                                        ;         Parent Loop BB70_47 Depth=4
                                        ; =>        This Inner Loop Header: Depth=5
	s_cmp_eq_u32 s30, 1
	s_cselect_b32 vcc_lo, -1, 0
	s_wait_xcnt 0x0
	v_dual_mov_b32 v14, s5 :: v_dual_cndmask_b32 v16, v3, v5, vcc_lo
	s_cmp_eq_u32 s30, 2
	s_cselect_b32 s2, -1, 0
	s_delay_alu instid0(VALU_DEP_1) | instid1(SALU_CYCLE_1)
	v_dual_cndmask_b32 v17, v2, v4, vcc_lo :: v_dual_cndmask_b32 v16, v16, v7, s2
	s_cmp_eq_u32 s30, 3
	ds_load_b64 v[14:15], v14
	s_cselect_b32 vcc_lo, -1, 0
	s_cmp_eq_u32 s28, 1
	v_cndmask_b32_e64 v19, v17, v6, s2
	s_cselect_b32 s2, -1, 0
	s_cmp_eq_u32 s28, 2
	v_dual_cndmask_b32 v24, v3, v5, s2 :: v_dual_cndmask_b32 v25, v2, v4, s2
	v_cndmask_b32_e32 v17, v16, v9, vcc_lo
	s_cselect_b32 s3, -1, 0
	s_cmp_eq_u32 s28, 3
	s_delay_alu instid0(VALU_DEP_2)
	v_dual_cndmask_b32 v16, v19, v8, vcc_lo :: v_dual_cndmask_b32 v19, v24, v7, s3
	s_cselect_b32 vcc_lo, -1, 0
	v_cndmask_b32_e64 v24, v25, v6, s3
	s_cmp_eq_u32 s28, 0
	s_add_nc_u64 s[30:31], s[30:31], 1
	v_cndmask_b32_e32 v25, v19, v9, vcc_lo
	s_cselect_b32 s4, -1, 0
	v_cndmask_b32_e32 v24, v24, v8, vcc_lo
	s_add_co_i32 s5, s5, 32
	s_cmp_eq_u32 s28, s30
	s_wait_dscnt 0x0
	s_delay_alu instid0(VALU_DEP_1) | instskip(NEXT) | instid1(VALU_DEP_1)
	v_fma_f64 v[14:15], -v[16:17], v[14:15], v[24:25]
	v_dual_cndmask_b32 v9, v9, v15 :: v_dual_cndmask_b32 v8, v8, v14
	v_dual_cndmask_b32 v7, v7, v15, s3 :: v_dual_cndmask_b32 v6, v6, v14, s3
	v_dual_cndmask_b32 v5, v5, v15, s2 :: v_dual_cndmask_b32 v4, v4, v14, s2
	;; [unrolled: 1-line block ×3, first 2 shown]
	s_cbranch_scc0 .LBB70_49
; %bb.50:                               ;   in Loop: Header=BB70_47 Depth=4
	s_mov_b64 s[4:5], s[28:29]
	s_branch .LBB70_46
.LBB70_51:                              ;   in Loop: Header=BB70_34 Depth=2
	s_cmp_lt_i32 s16, s34
	s_cselect_b32 s3, -1, 0
	s_add_co_i32 s2, s21, 1
	s_cmp_lt_u32 s21, 2
	s_cselect_b32 s4, -1, 0
	s_delay_alu instid0(SALU_CYCLE_1) | instskip(NEXT) | instid1(SALU_CYCLE_1)
	s_and_b32 s3, s3, s4
	s_and_not1_b32 vcc_lo, exec_lo, s3
	s_cbranch_vccnz .LBB70_2
; %bb.52:                               ;   in Loop: Header=BB70_34 Depth=2
	s_wait_xcnt 0x0
	s_mov_b32 s21, s2
	s_branch .LBB70_34
.LBB70_53:
	s_endpgm
	.section	.rodata,"a",@progbits
	.p2align	6, 0x0
	.amdhsa_kernel _ZL30rocblas_trsm_small_left_deviceILi4ELi4ELb1EddPKdPdEv13rocblas_fill_18rocblas_operation_17rocblas_diagonal_iiT3_T4_lilT5_lili
		.amdhsa_group_segment_fixed_size 128
		.amdhsa_private_segment_fixed_size 0
		.amdhsa_kernarg_size 360
		.amdhsa_user_sgpr_count 2
		.amdhsa_user_sgpr_dispatch_ptr 0
		.amdhsa_user_sgpr_queue_ptr 0
		.amdhsa_user_sgpr_kernarg_segment_ptr 1
		.amdhsa_user_sgpr_dispatch_id 0
		.amdhsa_user_sgpr_kernarg_preload_length 0
		.amdhsa_user_sgpr_kernarg_preload_offset 0
		.amdhsa_user_sgpr_private_segment_size 0
		.amdhsa_wavefront_size32 1
		.amdhsa_uses_dynamic_stack 0
		.amdhsa_enable_private_segment 0
		.amdhsa_system_sgpr_workgroup_id_x 1
		.amdhsa_system_sgpr_workgroup_id_y 0
		.amdhsa_system_sgpr_workgroup_id_z 1
		.amdhsa_system_sgpr_workgroup_info 0
		.amdhsa_system_vgpr_workitem_id 0
		.amdhsa_next_free_vgpr 34
		.amdhsa_next_free_sgpr 46
		.amdhsa_named_barrier_count 0
		.amdhsa_reserve_vcc 1
		.amdhsa_float_round_mode_32 0
		.amdhsa_float_round_mode_16_64 0
		.amdhsa_float_denorm_mode_32 3
		.amdhsa_float_denorm_mode_16_64 3
		.amdhsa_fp16_overflow 0
		.amdhsa_memory_ordered 1
		.amdhsa_forward_progress 1
		.amdhsa_inst_pref_size 23
		.amdhsa_round_robin_scheduling 0
		.amdhsa_exception_fp_ieee_invalid_op 0
		.amdhsa_exception_fp_denorm_src 0
		.amdhsa_exception_fp_ieee_div_zero 0
		.amdhsa_exception_fp_ieee_overflow 0
		.amdhsa_exception_fp_ieee_underflow 0
		.amdhsa_exception_fp_ieee_inexact 0
		.amdhsa_exception_int_div_zero 0
	.end_amdhsa_kernel
	.section	.text._ZL30rocblas_trsm_small_left_deviceILi4ELi4ELb1EddPKdPdEv13rocblas_fill_18rocblas_operation_17rocblas_diagonal_iiT3_T4_lilT5_lili,"axG",@progbits,_ZL30rocblas_trsm_small_left_deviceILi4ELi4ELb1EddPKdPdEv13rocblas_fill_18rocblas_operation_17rocblas_diagonal_iiT3_T4_lilT5_lili,comdat
.Lfunc_end70:
	.size	_ZL30rocblas_trsm_small_left_deviceILi4ELi4ELb1EddPKdPdEv13rocblas_fill_18rocblas_operation_17rocblas_diagonal_iiT3_T4_lilT5_lili, .Lfunc_end70-_ZL30rocblas_trsm_small_left_deviceILi4ELi4ELb1EddPKdPdEv13rocblas_fill_18rocblas_operation_17rocblas_diagonal_iiT3_T4_lilT5_lili
                                        ; -- End function
	.set _ZL30rocblas_trsm_small_left_deviceILi4ELi4ELb1EddPKdPdEv13rocblas_fill_18rocblas_operation_17rocblas_diagonal_iiT3_T4_lilT5_lili.num_vgpr, 34
	.set _ZL30rocblas_trsm_small_left_deviceILi4ELi4ELb1EddPKdPdEv13rocblas_fill_18rocblas_operation_17rocblas_diagonal_iiT3_T4_lilT5_lili.num_agpr, 0
	.set _ZL30rocblas_trsm_small_left_deviceILi4ELi4ELb1EddPKdPdEv13rocblas_fill_18rocblas_operation_17rocblas_diagonal_iiT3_T4_lilT5_lili.numbered_sgpr, 46
	.set _ZL30rocblas_trsm_small_left_deviceILi4ELi4ELb1EddPKdPdEv13rocblas_fill_18rocblas_operation_17rocblas_diagonal_iiT3_T4_lilT5_lili.num_named_barrier, 0
	.set _ZL30rocblas_trsm_small_left_deviceILi4ELi4ELb1EddPKdPdEv13rocblas_fill_18rocblas_operation_17rocblas_diagonal_iiT3_T4_lilT5_lili.private_seg_size, 0
	.set _ZL30rocblas_trsm_small_left_deviceILi4ELi4ELb1EddPKdPdEv13rocblas_fill_18rocblas_operation_17rocblas_diagonal_iiT3_T4_lilT5_lili.uses_vcc, 1
	.set _ZL30rocblas_trsm_small_left_deviceILi4ELi4ELb1EddPKdPdEv13rocblas_fill_18rocblas_operation_17rocblas_diagonal_iiT3_T4_lilT5_lili.uses_flat_scratch, 0
	.set _ZL30rocblas_trsm_small_left_deviceILi4ELi4ELb1EddPKdPdEv13rocblas_fill_18rocblas_operation_17rocblas_diagonal_iiT3_T4_lilT5_lili.has_dyn_sized_stack, 0
	.set _ZL30rocblas_trsm_small_left_deviceILi4ELi4ELb1EddPKdPdEv13rocblas_fill_18rocblas_operation_17rocblas_diagonal_iiT3_T4_lilT5_lili.has_recursion, 0
	.set _ZL30rocblas_trsm_small_left_deviceILi4ELi4ELb1EddPKdPdEv13rocblas_fill_18rocblas_operation_17rocblas_diagonal_iiT3_T4_lilT5_lili.has_indirect_call, 0
	.section	.AMDGPU.csdata,"",@progbits
; Kernel info:
; codeLenInByte = 2836
; TotalNumSgprs: 48
; NumVgprs: 34
; ScratchSize: 0
; MemoryBound: 0
; FloatMode: 240
; IeeeMode: 1
; LDSByteSize: 128 bytes/workgroup (compile time only)
; SGPRBlocks: 0
; VGPRBlocks: 2
; NumSGPRsForWavesPerEU: 48
; NumVGPRsForWavesPerEU: 34
; NamedBarCnt: 0
; Occupancy: 16
; WaveLimiterHint : 0
; COMPUTE_PGM_RSRC2:SCRATCH_EN: 0
; COMPUTE_PGM_RSRC2:USER_SGPR: 2
; COMPUTE_PGM_RSRC2:TRAP_HANDLER: 0
; COMPUTE_PGM_RSRC2:TGID_X_EN: 1
; COMPUTE_PGM_RSRC2:TGID_Y_EN: 0
; COMPUTE_PGM_RSRC2:TGID_Z_EN: 1
; COMPUTE_PGM_RSRC2:TIDIG_COMP_CNT: 0
	.section	.text._ZL31rocblas_trsm_small_right_deviceIddPKdPdLi4EEv13rocblas_fill_18rocblas_operation_17rocblas_diagonal_iiT0_T1_lilT2_lili,"axG",@progbits,_ZL31rocblas_trsm_small_right_deviceIddPKdPdLi4EEv13rocblas_fill_18rocblas_operation_17rocblas_diagonal_iiT0_T1_lilT2_lili,comdat
	.globl	_ZL31rocblas_trsm_small_right_deviceIddPKdPdLi4EEv13rocblas_fill_18rocblas_operation_17rocblas_diagonal_iiT0_T1_lilT2_lili ; -- Begin function _ZL31rocblas_trsm_small_right_deviceIddPKdPdLi4EEv13rocblas_fill_18rocblas_operation_17rocblas_diagonal_iiT0_T1_lilT2_lili
	.p2align	8
	.type	_ZL31rocblas_trsm_small_right_deviceIddPKdPdLi4EEv13rocblas_fill_18rocblas_operation_17rocblas_diagonal_iiT0_T1_lilT2_lili,@function
_ZL31rocblas_trsm_small_right_deviceIddPKdPdLi4EEv13rocblas_fill_18rocblas_operation_17rocblas_diagonal_iiT0_T1_lilT2_lili: ; @_ZL31rocblas_trsm_small_right_deviceIddPKdPdLi4EEv13rocblas_fill_18rocblas_operation_17rocblas_diagonal_iiT0_T1_lilT2_lili
; %bb.0:
	s_load_b32 s23, s[0:1], 0x60
	s_bfe_u32 s2, ttmp6, 0x40014
	s_lshr_b32 s3, ttmp7, 16
	s_add_co_i32 s2, s2, 1
	s_bfe_u32 s5, ttmp6, 0x40008
	s_mul_i32 s4, s3, s2
	s_getreg_b32 s2, hwreg(HW_REG_IB_STS2, 6, 4)
	s_add_co_i32 s5, s5, s4
	s_cmp_eq_u32 s2, 0
	s_cselect_b32 s30, s3, s5
	s_wait_kmcnt 0x0
	s_cmp_ge_u32 s30, s23
	s_cbranch_scc1 .LBB71_67
; %bb.1:
	s_clause 0x6
	s_load_b96 s[16:18], s[0:1], 0x28
	s_load_b96 s[20:22], s[0:1], 0x48
	s_load_b128 s[12:15], s[0:1], 0x0
	s_load_b32 s31, s[0:1], 0x10
	s_load_b32 s3, s[0:1], 0x68
	s_load_b128 s[4:7], s[0:1], 0x18
	s_load_b64 s[26:27], s[0:1], 0x58
	v_dual_lshlrev_b32 v2, 3, v0 :: v_dual_lshlrev_b32 v8, 5, v0
	v_mov_b32_e32 v3, 0
	s_delay_alu instid0(VALU_DEP_2) | instskip(NEXT) | instid1(VALU_DEP_3)
	v_or_b32_e32 v14, 0x80, v2
	v_add_nc_u32_e32 v21, v2, v8
	s_wait_kmcnt 0x0
	s_ashr_i32 s25, s18, 31
	s_ashr_i32 s19, s22, 31
	s_cmp_lg_u32 s12, 0x7a
	s_cselect_b32 s35, -1, 0
	s_bfe_u32 s8, ttmp6, 0x4000c
	s_min_i32 s33, s31, 4
	s_add_co_i32 s8, s8, 1
	s_and_b32 s9, ttmp6, 15
	s_mul_i32 s8, ttmp9, s8
	s_add_co_i32 s3, s3, -1
	s_add_co_i32 s34, s33, -1
	s_add_co_i32 s24, s9, s8
	s_cmp_eq_u32 s2, 0
	s_load_b128 s[8:11], s[0:1], 0x38
	s_cselect_b32 s2, ttmp9, s24
	s_mov_b32 s24, s18
	s_wait_xcnt 0x0
	s_lshl_b32 s0, s2, 2
	s_mov_b32 s18, s22
	s_sub_co_i32 s0, s15, s0
	s_cmp_ge_u32 s2, s3
	s_mul_i32 s43, s34, 40
	s_cselect_b32 s15, s0, 4
	s_ashr_i32 s3, s2, 31
	v_cmp_gt_i32_e32 vcc_lo, s15, v0
	s_lshl_b64 s[28:29], s[2:3], 5
	s_cmp_eq_u32 s14, 0x84
	v_cmp_gt_i32_e64 s0, s33, v0
	s_cselect_b32 s1, -1, 0
	s_cmp_gt_i32 s31, 0
	s_cselect_b32 s2, -1, 0
	s_cmp_lg_u32 s13, 0x6f
	s_cselect_b32 s3, -1, 0
	s_cmp_lg_u32 s12, 0x79
	s_cselect_b32 s13, -1, 0
	s_or_b32 s12, s35, s3
	v_cndmask_b32_e64 v15, 0, 1, s13
	s_or_b32 s13, s13, s3
	s_cmp_gt_i32 s31, 3
	s_cselect_b32 s14, -1, 0
	s_and_b32 s15, vcc_lo, s2
	s_lshl_b32 s2, s34, 5
	s_add_co_i32 s3, s33, -2
	s_add_co_i32 s42, s33, -3
	s_lshl_b32 s22, s3, 5
	s_delay_alu instid0(SALU_CYCLE_1)
	v_dual_add_nc_u32 v16, s2, v14 :: v_dual_add_nc_u32 v17, s22, v14
	s_lshl_b32 s35, s3, 3
	s_lshl_b64 s[2:3], s[16:17], 3
	s_add_co_i32 s46, s33, -4
	s_add_nc_u64 s[2:3], s[6:7], s[2:3]
	s_sub_co_i32 s36, s43, 40
	v_add_nc_u64_e32 v[0:1], s[2:3], v[2:3]
	s_wait_kmcnt 0x0
	s_lshl_b64 s[2:3], s[8:9], 3
	s_lshl_b64 s[8:9], s[20:21], 3
	s_lshl_b32 s20, s33, 5
	s_add_nc_u64 s[8:9], s[28:29], s[8:9]
	v_or_b32_e32 v6, s20, v2
	s_add_nc_u64 s[8:9], s[10:11], s[8:9]
	s_lshl_b32 s47, s42, 5
	s_lshl_b32 s48, s46, 5
	v_add_nc_u64_e32 v[4:5], s[8:9], v[2:3]
	v_add_nc_u32_e32 v20, 0x60, v6
	v_mov_b64_e32 v[6:7], 1.0
	s_lshl_b32 s37, s34, 3
	s_sub_co_i32 s39, s36, s35
	s_lshl_b32 s49, s33, 3
	v_dual_add_nc_u32 v18, s47, v14 :: v_dual_add_nc_u32 v19, s48, v14
	s_sub_co_i32 s38, s43, s37
	s_add_co_i32 s39, s39, s49
	s_lshl_b32 s50, s42, 3
	s_lshl_b32 s46, s46, 3
	s_add_co_i32 s40, s38, s35
	s_sub_co_i32 s41, s39, 32
	s_sub_co_i32 s42, s39, 64
	s_addk_co_i32 s43, 0xff88
	s_add_co_i32 s44, s33, -5
	s_sub_co_i32 s45, s39, 40
	s_add_co_i32 s16, s39, 0xffffffb0
	s_lshl_b64 s[6:7], s[24:25], 3
	s_lshl_b64 s[8:9], s[26:27], 3
	s_lshl_b64 s[10:11], s[18:19], 3
	s_sub_co_i32 s17, s20, 32
	s_sub_co_i32 s18, s20, 40
	s_add_co_i32 s19, s49, -8
	s_sub_co_i32 s20, s49, 40
	s_add_co_i32 s21, s47, s50
	s_add_co_i32 s24, s48, s46
	s_branch .LBB71_3
.LBB71_2:                               ;   in Loop: Header=BB71_3 Depth=1
	s_or_b32 exec_lo, exec_lo, s25
	s_add_co_i32 s30, s30, 0x10000
	s_delay_alu instid0(SALU_CYCLE_1)
	s_cmp_lt_u32 s30, s23
	s_cbranch_scc0 .LBB71_67
.LBB71_3:                               ; =>This Loop Header: Depth=1
                                        ;     Child Loop BB71_5 Depth 2
                                        ;     Child Loop BB71_10 Depth 2
	;; [unrolled: 1-line block ×3, first 2 shown]
                                        ;       Child Loop BB71_20 Depth 3
                                        ;     Child Loop BB71_29 Depth 2
                                        ;     Child Loop BB71_34 Depth 2
                                        ;       Child Loop BB71_35 Depth 3
                                        ;       Child Loop BB71_37 Depth 3
                                        ;     Child Loop BB71_46 Depth 2
                                        ;     Child Loop BB71_51 Depth 2
                                        ;       Child Loop BB71_52 Depth 3
                                        ;       Child Loop BB71_54 Depth 3
                                        ;     Child Loop BB71_62 Depth 2
                                        ;       Child Loop BB71_63 Depth 3
                                        ;     Child Loop BB71_66 Depth 2
	s_and_saveexec_b32 s25, s0
	s_cbranch_execz .LBB71_8
; %bb.4:                                ;   in Loop: Header=BB71_3 Depth=1
	v_mad_nc_u64_u32 v[8:9], s2, s30, v[0:1]
	v_mov_b32_e32 v10, v2
	s_mov_b32 s26, s33
	s_delay_alu instid0(VALU_DEP_2)
	v_mad_u32 v9, s3, s30, v9
.LBB71_5:                               ;   Parent Loop BB71_3 Depth=1
                                        ; =>  This Inner Loop Header: Depth=2
	global_load_b64 v[12:13], v[8:9], off
	s_wait_xcnt 0x0
	v_add_nc_u64_e32 v[8:9], s[6:7], v[8:9]
	s_add_co_i32 s26, s26, -1
	s_delay_alu instid0(SALU_CYCLE_1)
	s_cmp_eq_u32 s26, 0
	s_wait_loadcnt 0x0
	ds_store_b64 v10, v[12:13]
	v_add_nc_u32_e32 v10, 32, v10
	s_cbranch_scc0 .LBB71_5
; %bb.6:                                ;   in Loop: Header=BB71_3 Depth=1
	s_and_b32 vcc_lo, exec_lo, s1
	s_cbranch_vccz .LBB71_8
; %bb.7:                                ;   in Loop: Header=BB71_3 Depth=1
	ds_store_b64 v21, v[6:7]
.LBB71_8:                               ;   in Loop: Header=BB71_3 Depth=1
	s_or_b32 exec_lo, exec_lo, s25
	v_mad_nc_u64_u32 v[8:9], s8, s30, v[4:5]
	s_delay_alu instid0(VALU_DEP_1)
	v_mad_u32 v9, s9, s30, v9
	s_and_saveexec_b32 s25, s15
	s_cbranch_execz .LBB71_11
; %bb.9:                                ;   in Loop: Header=BB71_3 Depth=1
	s_delay_alu instid0(VALU_DEP_1)
	v_mov_b64_e32 v[10:11], v[8:9]
	v_mov_b32_e32 v12, v14
	s_mov_b32 s26, s31
.LBB71_10:                              ;   Parent Loop BB71_3 Depth=1
                                        ; =>  This Inner Loop Header: Depth=2
	global_load_b64 v[22:23], v[10:11], off
	s_wait_xcnt 0x0
	v_add_nc_u64_e32 v[10:11], s[10:11], v[10:11]
	s_add_co_i32 s26, s26, -1
	s_delay_alu instid0(SALU_CYCLE_1)
	s_cmp_lg_u32 s26, 0
	s_wait_loadcnt 0x0
	v_mul_f64_e32 v[22:23], s[4:5], v[22:23]
	ds_store_b64 v12, v[22:23]
	v_add_nc_u32_e32 v12, 32, v12
	s_cbranch_scc1 .LBB71_10
.LBB71_11:                              ;   in Loop: Header=BB71_3 Depth=1
	s_or_b32 exec_lo, exec_lo, s25
	s_delay_alu instid0(SALU_CYCLE_1)
	s_and_b32 vcc_lo, exec_lo, s13
	s_mov_b32 s25, -1
	s_wait_dscnt 0x0
	; wave barrier
	s_cbranch_vccz .LBB71_56
; %bb.12:                               ;   in Loop: Header=BB71_3 Depth=1
	s_and_b32 vcc_lo, exec_lo, s12
	s_cbranch_vccz .LBB71_39
; %bb.13:                               ;   in Loop: Header=BB71_3 Depth=1
	v_cmp_ne_u32_e32 vcc_lo, 1, v15
	s_cbranch_vccnz .LBB71_22
; %bb.14:                               ;   in Loop: Header=BB71_3 Depth=1
	s_and_b32 vcc_lo, exec_lo, s14
	s_mov_b32 s25, 0
	s_cbranch_vccz .LBB71_16
; %bb.15:                               ;   in Loop: Header=BB71_3 Depth=1
	ds_load_2addr_b64 v[10:13], v14 offset1:4
	ds_load_b128 v[22:25], v3
	ds_load_b128 v[26:29], v3 offset:16
	s_mov_b32 s25, 4
	s_wait_dscnt 0x1
	v_div_scale_f64 v[30:31], null, v[22:23], v[22:23], v[10:11]
	v_div_scale_f64 v[36:37], vcc_lo, v[10:11], v[22:23], v[10:11]
	s_delay_alu instid0(VALU_DEP_2) | instskip(SKIP_1) | instid1(TRANS32_DEP_1)
	v_rcp_f64_e32 v[32:33], v[30:31]
	v_nop
	v_fma_f64 v[34:35], -v[30:31], v[32:33], 1.0
	s_delay_alu instid0(VALU_DEP_1) | instskip(NEXT) | instid1(VALU_DEP_1)
	v_fmac_f64_e32 v[32:33], v[32:33], v[34:35]
	v_fma_f64 v[34:35], -v[30:31], v[32:33], 1.0
	s_delay_alu instid0(VALU_DEP_1) | instskip(NEXT) | instid1(VALU_DEP_1)
	v_fmac_f64_e32 v[32:33], v[32:33], v[34:35]
	v_mul_f64_e32 v[34:35], v[36:37], v[32:33]
	s_delay_alu instid0(VALU_DEP_1) | instskip(NEXT) | instid1(VALU_DEP_1)
	v_fma_f64 v[30:31], -v[30:31], v[34:35], v[36:37]
	v_div_fmas_f64 v[30:31], v[30:31], v[32:33], v[34:35]
	s_delay_alu instid0(VALU_DEP_1) | instskip(NEXT) | instid1(VALU_DEP_1)
	v_div_fixup_f64 v[34:35], v[30:31], v[22:23], v[10:11]
	v_fma_f64 v[36:37], -v[34:35], v[24:25], v[12:13]
	ds_load_2addr_b64 v[10:13], v3 offset0:5 offset1:6
	ds_load_b128 v[22:25], v3 offset:80
	s_wait_dscnt 0x1
	v_div_scale_f64 v[30:31], null, v[10:11], v[10:11], v[36:37]
	v_div_scale_f64 v[40:41], vcc_lo, v[36:37], v[10:11], v[36:37]
	s_delay_alu instid0(VALU_DEP_2) | instskip(SKIP_1) | instid1(TRANS32_DEP_1)
	v_rcp_f64_e32 v[32:33], v[30:31]
	v_nop
	v_fma_f64 v[38:39], -v[30:31], v[32:33], 1.0
	s_delay_alu instid0(VALU_DEP_1) | instskip(NEXT) | instid1(VALU_DEP_1)
	v_fmac_f64_e32 v[32:33], v[32:33], v[38:39]
	v_fma_f64 v[38:39], -v[30:31], v[32:33], 1.0
	s_delay_alu instid0(VALU_DEP_1) | instskip(NEXT) | instid1(VALU_DEP_1)
	v_fmac_f64_e32 v[32:33], v[32:33], v[38:39]
	v_mul_f64_e32 v[38:39], v[40:41], v[32:33]
	s_delay_alu instid0(VALU_DEP_1) | instskip(NEXT) | instid1(VALU_DEP_1)
	v_fma_f64 v[30:31], -v[30:31], v[38:39], v[40:41]
	v_div_fmas_f64 v[38:39], v[30:31], v[32:33], v[38:39]
	ds_load_2addr_b64 v[30:33], v14 offset0:8 offset1:12
	s_wait_dscnt 0x0
	v_fma_f64 v[26:27], -v[34:35], v[26:27], v[30:31]
	v_fma_f64 v[28:29], -v[34:35], v[28:29], v[32:33]
	v_div_fixup_f64 v[30:31], v[38:39], v[10:11], v[36:37]
	s_delay_alu instid0(VALU_DEP_1) | instskip(SKIP_3) | instid1(VALU_DEP_2)
	v_fma_f64 v[26:27], -v[30:31], v[12:13], v[26:27]
	ds_store_2addr_b64 v14, v[34:35], v[30:31] offset1:4
	v_div_scale_f64 v[10:11], null, v[22:23], v[22:23], v[26:27]
	v_div_scale_f64 v[38:39], vcc_lo, v[26:27], v[22:23], v[26:27]
	v_rcp_f64_e32 v[12:13], v[10:11]
	v_nop
	s_delay_alu instid0(TRANS32_DEP_1) | instskip(NEXT) | instid1(VALU_DEP_1)
	v_fma_f64 v[36:37], -v[10:11], v[12:13], 1.0
	v_fmac_f64_e32 v[12:13], v[12:13], v[36:37]
	s_delay_alu instid0(VALU_DEP_1) | instskip(NEXT) | instid1(VALU_DEP_1)
	v_fma_f64 v[36:37], -v[10:11], v[12:13], 1.0
	v_fmac_f64_e32 v[12:13], v[12:13], v[36:37]
	s_delay_alu instid0(VALU_DEP_1) | instskip(NEXT) | instid1(VALU_DEP_1)
	v_mul_f64_e32 v[36:37], v[38:39], v[12:13]
	v_fma_f64 v[10:11], -v[10:11], v[36:37], v[38:39]
	s_delay_alu instid0(VALU_DEP_1) | instskip(SKIP_4) | instid1(VALU_DEP_1)
	v_div_fmas_f64 v[32:33], v[10:11], v[12:13], v[36:37]
	ds_load_2addr_b64 v[10:13], v3 offset0:7 offset1:15
	s_wait_dscnt 0x0
	v_fma_f64 v[10:11], -v[30:31], v[10:11], v[28:29]
	v_div_fixup_f64 v[22:23], v[32:33], v[22:23], v[26:27]
	v_fma_f64 v[10:11], -v[22:23], v[24:25], v[10:11]
	s_delay_alu instid0(VALU_DEP_1) | instskip(NEXT) | instid1(VALU_DEP_1)
	v_div_scale_f64 v[24:25], null, v[12:13], v[12:13], v[10:11]
	v_rcp_f64_e32 v[26:27], v[24:25]
	v_nop
	s_delay_alu instid0(TRANS32_DEP_1) | instskip(NEXT) | instid1(VALU_DEP_1)
	v_fma_f64 v[28:29], -v[24:25], v[26:27], 1.0
	v_fmac_f64_e32 v[26:27], v[26:27], v[28:29]
	s_delay_alu instid0(VALU_DEP_1) | instskip(NEXT) | instid1(VALU_DEP_1)
	v_fma_f64 v[28:29], -v[24:25], v[26:27], 1.0
	v_fmac_f64_e32 v[26:27], v[26:27], v[28:29]
	v_div_scale_f64 v[28:29], vcc_lo, v[10:11], v[12:13], v[10:11]
	s_delay_alu instid0(VALU_DEP_1) | instskip(NEXT) | instid1(VALU_DEP_1)
	v_mul_f64_e32 v[32:33], v[28:29], v[26:27]
	v_fma_f64 v[24:25], -v[24:25], v[32:33], v[28:29]
	s_delay_alu instid0(VALU_DEP_1) | instskip(NEXT) | instid1(VALU_DEP_1)
	v_div_fmas_f64 v[24:25], v[24:25], v[26:27], v[32:33]
	v_div_fixup_f64 v[10:11], v[24:25], v[12:13], v[10:11]
	ds_store_2addr_b64 v14, v[22:23], v[10:11] offset0:8 offset1:12
.LBB71_16:                              ;   in Loop: Header=BB71_3 Depth=1
	s_cmp_ge_i32 s25, s33
	s_cbranch_scc1 .LBB71_21
; %bb.17:                               ;   in Loop: Header=BB71_3 Depth=1
	s_lshl_b32 s26, s25, 3
	s_branch .LBB71_19
.LBB71_18:                              ;   in Loop: Header=BB71_19 Depth=2
	s_lshl_b32 s28, s25, 3
	s_add_co_i32 s25, s25, 1
	s_add_co_i32 s27, s28, s27
	;; [unrolled: 1-line block ×3, first 2 shown]
	v_mov_b32_e32 v13, s27
	s_cmp_ge_i32 s25, s33
	ds_load_b64 v[22:23], v13
	s_wait_dscnt 0x0
	v_div_scale_f64 v[24:25], null, v[22:23], v[22:23], v[10:11]
	s_delay_alu instid0(VALU_DEP_1) | instskip(SKIP_1) | instid1(TRANS32_DEP_1)
	v_rcp_f64_e32 v[26:27], v[24:25]
	v_nop
	v_fma_f64 v[28:29], -v[24:25], v[26:27], 1.0
	s_delay_alu instid0(VALU_DEP_1) | instskip(NEXT) | instid1(VALU_DEP_1)
	v_fmac_f64_e32 v[26:27], v[26:27], v[28:29]
	v_fma_f64 v[28:29], -v[24:25], v[26:27], 1.0
	s_delay_alu instid0(VALU_DEP_1) | instskip(SKIP_1) | instid1(VALU_DEP_1)
	v_fmac_f64_e32 v[26:27], v[26:27], v[28:29]
	v_div_scale_f64 v[28:29], vcc_lo, v[10:11], v[22:23], v[10:11]
	v_mul_f64_e32 v[30:31], v[28:29], v[26:27]
	s_delay_alu instid0(VALU_DEP_1) | instskip(NEXT) | instid1(VALU_DEP_1)
	v_fma_f64 v[24:25], -v[24:25], v[30:31], v[28:29]
	v_div_fmas_f64 v[24:25], v[24:25], v[26:27], v[30:31]
	s_delay_alu instid0(VALU_DEP_1)
	v_div_fixup_f64 v[10:11], v[24:25], v[22:23], v[10:11]
	ds_store_b64 v12, v[10:11]
	s_cbranch_scc1 .LBB71_21
.LBB71_19:                              ;   Parent Loop BB71_3 Depth=1
                                        ; =>  This Loop Header: Depth=2
                                        ;       Child Loop BB71_20 Depth 3
	s_lshl_b32 s27, s25, 5
	s_cmp_eq_u32 s25, 0
	v_dual_mov_b32 v13, v14 :: v_dual_add_nc_u32 v12, s27, v14
	s_mov_b32 s28, s26
	s_mov_b32 s29, s25
	ds_load_b64 v[10:11], v12
	s_cbranch_scc1 .LBB71_18
.LBB71_20:                              ;   Parent Loop BB71_3 Depth=1
                                        ;     Parent Loop BB71_19 Depth=2
                                        ; =>    This Inner Loop Header: Depth=3
	v_mov_b32_e32 v24, s28
	s_add_co_i32 s29, s29, -1
	s_add_co_i32 s28, s28, 32
	s_cmp_eq_u32 s29, 0
	ds_load_b64 v[22:23], v13
	ds_load_b64 v[24:25], v24
	v_add_nc_u32_e32 v13, 32, v13
	s_wait_dscnt 0x0
	v_fma_f64 v[10:11], -v[22:23], v[24:25], v[10:11]
	s_cbranch_scc0 .LBB71_20
	s_branch .LBB71_18
.LBB71_21:                              ;   in Loop: Header=BB71_3 Depth=1
	s_mov_b32 s25, 0
.LBB71_22:                              ;   in Loop: Header=BB71_3 Depth=1
	s_delay_alu instid0(SALU_CYCLE_1)
	s_and_b32 vcc_lo, exec_lo, s25
	s_cbranch_vccz .LBB71_38
; %bb.23:                               ;   in Loop: Header=BB71_3 Depth=1
	s_and_b32 vcc_lo, exec_lo, s14
	s_mov_b32 s26, s34
	s_cbranch_vccz .LBB71_25
; %bb.24:                               ;   in Loop: Header=BB71_3 Depth=1
	v_dual_mov_b32 v10, s40 :: v_dual_mov_b32 v30, s36
	s_mov_b32 s26, s44
	ds_load_b64 v[22:23], v16
	ds_load_2addr_b64 v[10:13], v10 offset1:1
	ds_load_b64 v[24:25], v17
	ds_load_b64 v[26:27], v18
	;; [unrolled: 1-line block ×4, first 2 shown]
	s_wait_dscnt 0x4
	v_div_scale_f64 v[32:33], null, v[12:13], v[12:13], v[22:23]
	v_div_scale_f64 v[38:39], vcc_lo, v[22:23], v[12:13], v[22:23]
	s_delay_alu instid0(VALU_DEP_2) | instskip(SKIP_1) | instid1(TRANS32_DEP_1)
	v_rcp_f64_e32 v[34:35], v[32:33]
	v_nop
	v_fma_f64 v[36:37], -v[32:33], v[34:35], 1.0
	s_delay_alu instid0(VALU_DEP_1) | instskip(NEXT) | instid1(VALU_DEP_1)
	v_fmac_f64_e32 v[34:35], v[34:35], v[36:37]
	v_fma_f64 v[36:37], -v[32:33], v[34:35], 1.0
	s_delay_alu instid0(VALU_DEP_1) | instskip(NEXT) | instid1(VALU_DEP_1)
	v_fmac_f64_e32 v[34:35], v[34:35], v[36:37]
	v_mul_f64_e32 v[36:37], v[38:39], v[34:35]
	s_delay_alu instid0(VALU_DEP_1) | instskip(NEXT) | instid1(VALU_DEP_1)
	v_fma_f64 v[32:33], -v[32:33], v[36:37], v[38:39]
	v_div_fmas_f64 v[32:33], v[32:33], v[34:35], v[36:37]
	s_delay_alu instid0(VALU_DEP_1) | instskip(SKIP_1) | instid1(VALU_DEP_1)
	v_div_fixup_f64 v[32:33], v[32:33], v[12:13], v[22:23]
	s_wait_dscnt 0x3
	v_fma_f64 v[34:35], -v[32:33], v[10:11], v[24:25]
	s_wait_dscnt 0x0
	s_delay_alu instid0(VALU_DEP_1) | instskip(SKIP_1) | instid1(VALU_DEP_2)
	v_div_scale_f64 v[10:11], null, v[30:31], v[30:31], v[34:35]
	v_div_scale_f64 v[24:25], vcc_lo, v[34:35], v[30:31], v[34:35]
	v_rcp_f64_e32 v[12:13], v[10:11]
	v_nop
	s_delay_alu instid0(TRANS32_DEP_1) | instskip(NEXT) | instid1(VALU_DEP_1)
	v_fma_f64 v[22:23], -v[10:11], v[12:13], 1.0
	v_fmac_f64_e32 v[12:13], v[12:13], v[22:23]
	s_delay_alu instid0(VALU_DEP_1) | instskip(NEXT) | instid1(VALU_DEP_1)
	v_fma_f64 v[22:23], -v[10:11], v[12:13], 1.0
	v_fmac_f64_e32 v[12:13], v[12:13], v[22:23]
	s_delay_alu instid0(VALU_DEP_1) | instskip(NEXT) | instid1(VALU_DEP_1)
	v_mul_f64_e32 v[22:23], v[24:25], v[12:13]
	v_fma_f64 v[10:11], -v[10:11], v[22:23], v[24:25]
	s_delay_alu instid0(VALU_DEP_1)
	v_div_fmas_f64 v[36:37], v[10:11], v[12:13], v[22:23]
	v_dual_mov_b32 v10, s39 :: v_dual_mov_b32 v22, s41
	ds_load_2addr_b64 v[10:13], v10 offset1:1
	ds_load_2addr_b64 v[22:25], v22 offset1:1
	s_wait_dscnt 0x1
	v_fma_f64 v[12:13], -v[32:33], v[12:13], v[26:27]
	v_fma_f64 v[10:11], -v[32:33], v[10:11], v[28:29]
	v_div_fixup_f64 v[30:31], v[36:37], v[30:31], v[34:35]
	v_mov_b32_e32 v34, s43
	ds_load_b64 v[34:35], v34
	s_wait_dscnt 0x1
	v_dual_fma_f64 v[12:13], -v[30:31], v[24:25], v[12:13] :: v_dual_mov_b32 v24, s42
	v_fma_f64 v[10:11], -v[30:31], v[22:23], v[10:11]
	ds_load_2addr_b64 v[24:27], v24 offset1:1
	s_wait_dscnt 0x0
	v_div_scale_f64 v[36:37], null, v[26:27], v[26:27], v[12:13]
	v_div_scale_f64 v[42:43], vcc_lo, v[12:13], v[26:27], v[12:13]
	s_delay_alu instid0(VALU_DEP_2) | instskip(SKIP_1) | instid1(TRANS32_DEP_1)
	v_rcp_f64_e32 v[38:39], v[36:37]
	v_nop
	v_fma_f64 v[40:41], -v[36:37], v[38:39], 1.0
	s_delay_alu instid0(VALU_DEP_1) | instskip(NEXT) | instid1(VALU_DEP_1)
	v_fmac_f64_e32 v[38:39], v[38:39], v[40:41]
	v_fma_f64 v[40:41], -v[36:37], v[38:39], 1.0
	s_delay_alu instid0(VALU_DEP_1) | instskip(NEXT) | instid1(VALU_DEP_1)
	v_fmac_f64_e32 v[38:39], v[38:39], v[40:41]
	v_mul_f64_e32 v[40:41], v[42:43], v[38:39]
	s_delay_alu instid0(VALU_DEP_1) | instskip(NEXT) | instid1(VALU_DEP_1)
	v_fma_f64 v[36:37], -v[36:37], v[40:41], v[42:43]
	v_div_fmas_f64 v[28:29], v[36:37], v[38:39], v[40:41]
	s_delay_alu instid0(VALU_DEP_1) | instskip(NEXT) | instid1(VALU_DEP_1)
	v_div_fixup_f64 v[12:13], v[28:29], v[26:27], v[12:13]
	v_fma_f64 v[10:11], -v[12:13], v[24:25], v[10:11]
	s_delay_alu instid0(VALU_DEP_1) | instskip(NEXT) | instid1(VALU_DEP_1)
	v_div_scale_f64 v[22:23], null, v[34:35], v[34:35], v[10:11]
	v_rcp_f64_e32 v[24:25], v[22:23]
	v_nop
	s_delay_alu instid0(TRANS32_DEP_1) | instskip(NEXT) | instid1(VALU_DEP_1)
	v_fma_f64 v[26:27], -v[22:23], v[24:25], 1.0
	v_fmac_f64_e32 v[24:25], v[24:25], v[26:27]
	s_delay_alu instid0(VALU_DEP_1) | instskip(NEXT) | instid1(VALU_DEP_1)
	v_fma_f64 v[26:27], -v[22:23], v[24:25], 1.0
	v_fmac_f64_e32 v[24:25], v[24:25], v[26:27]
	v_div_scale_f64 v[26:27], vcc_lo, v[10:11], v[34:35], v[10:11]
	s_delay_alu instid0(VALU_DEP_1) | instskip(NEXT) | instid1(VALU_DEP_1)
	v_mul_f64_e32 v[28:29], v[26:27], v[24:25]
	v_fma_f64 v[22:23], -v[22:23], v[28:29], v[26:27]
	s_delay_alu instid0(VALU_DEP_1) | instskip(NEXT) | instid1(VALU_DEP_1)
	v_div_fmas_f64 v[22:23], v[22:23], v[24:25], v[28:29]
	v_div_fixup_f64 v[10:11], v[22:23], v[34:35], v[10:11]
	ds_store_b64 v16, v[32:33]
	ds_store_b64 v17, v[30:31]
	;; [unrolled: 1-line block ×4, first 2 shown]
.LBB71_25:                              ;   in Loop: Header=BB71_3 Depth=1
	s_cmp_lt_i32 s26, 0
	s_cbranch_scc1 .LBB71_38
; %bb.26:                               ;   in Loop: Header=BB71_3 Depth=1
	s_bitcmp1_b32 s26, 0
	s_cselect_b32 s25, -1, 0
	s_delay_alu instid0(SALU_CYCLE_1)
	s_and_b32 vcc_lo, exec_lo, s25
	s_mov_b32 s25, s26
	s_cbranch_vccnz .LBB71_31
; %bb.27:                               ;   in Loop: Header=BB71_3 Depth=1
	s_lshl_b32 s25, s26, 5
	s_cmp_le_i32 s34, s26
	v_add_nc_u32_e32 v12, s25, v14
	ds_load_b64 v[10:11], v12
	s_cbranch_scc1 .LBB71_30
; %bb.28:                               ;   in Loop: Header=BB71_3 Depth=1
	v_mov_b32_e32 v13, v20
	s_lshl_b32 s27, s26, 3
	s_mov_b32 s28, s34
	s_add_co_i32 s27, s17, s27
.LBB71_29:                              ;   Parent Loop BB71_3 Depth=1
                                        ; =>  This Inner Loop Header: Depth=2
	s_delay_alu instid0(SALU_CYCLE_1)
	v_mov_b32_e32 v24, s27
	s_add_co_i32 s28, s28, -1
	s_sub_co_i32 s27, s27, 32
	s_cmp_gt_i32 s28, s26
	ds_load_b64 v[22:23], v13
	ds_load_b64 v[24:25], v24
	v_subrev_nc_u32_e32 v13, 32, v13
	s_wait_dscnt 0x0
	v_fma_f64 v[10:11], -v[22:23], v[24:25], v[10:11]
	s_cbranch_scc1 .LBB71_29
.LBB71_30:                              ;   in Loop: Header=BB71_3 Depth=1
	s_lshl_b32 s27, s26, 3
	s_delay_alu instid0(SALU_CYCLE_1) | instskip(NEXT) | instid1(SALU_CYCLE_1)
	s_add_co_i32 s25, s27, s25
	v_mov_b32_e32 v13, s25
	s_add_co_i32 s25, s26, -1
	ds_load_b64 v[22:23], v13
	s_wait_dscnt 0x0
	v_div_scale_f64 v[24:25], null, v[22:23], v[22:23], v[10:11]
	s_delay_alu instid0(VALU_DEP_1) | instskip(SKIP_1) | instid1(TRANS32_DEP_1)
	v_rcp_f64_e32 v[26:27], v[24:25]
	v_nop
	v_fma_f64 v[28:29], -v[24:25], v[26:27], 1.0
	s_delay_alu instid0(VALU_DEP_1) | instskip(NEXT) | instid1(VALU_DEP_1)
	v_fmac_f64_e32 v[26:27], v[26:27], v[28:29]
	v_fma_f64 v[28:29], -v[24:25], v[26:27], 1.0
	s_delay_alu instid0(VALU_DEP_1) | instskip(SKIP_1) | instid1(VALU_DEP_1)
	v_fmac_f64_e32 v[26:27], v[26:27], v[28:29]
	v_div_scale_f64 v[28:29], vcc_lo, v[10:11], v[22:23], v[10:11]
	v_mul_f64_e32 v[30:31], v[28:29], v[26:27]
	s_delay_alu instid0(VALU_DEP_1) | instskip(NEXT) | instid1(VALU_DEP_1)
	v_fma_f64 v[24:25], -v[24:25], v[30:31], v[28:29]
	v_div_fmas_f64 v[24:25], v[24:25], v[26:27], v[30:31]
	s_delay_alu instid0(VALU_DEP_1)
	v_div_fixup_f64 v[10:11], v[24:25], v[22:23], v[10:11]
	ds_store_b64 v12, v[10:11]
.LBB71_31:                              ;   in Loop: Header=BB71_3 Depth=1
	s_cmp_eq_u32 s26, 0
	s_cbranch_scc1 .LBB71_38
; %bb.32:                               ;   in Loop: Header=BB71_3 Depth=1
	s_lshl_b32 s27, s25, 3
	s_delay_alu instid0(SALU_CYCLE_1)
	s_add_co_i32 s26, s17, s27
	s_add_co_i32 s27, s18, s27
	s_branch .LBB71_34
.LBB71_33:                              ;   in Loop: Header=BB71_34 Depth=2
	s_add_co_i32 s28, s28, s29
	s_add_co_i32 s26, s26, -16
	s_add_co_i32 s28, s28, -8
	;; [unrolled: 1-line block ×3, first 2 shown]
	v_mov_b32_e32 v10, s28
	s_add_co_i32 s28, s25, -2
	s_cmp_lt_i32 s25, 2
	s_mov_b32 s25, s28
	ds_load_b64 v[10:11], v10
	s_wait_dscnt 0x0
	v_div_scale_f64 v[24:25], null, v[10:11], v[10:11], v[12:13]
	s_delay_alu instid0(VALU_DEP_1) | instskip(SKIP_1) | instid1(TRANS32_DEP_1)
	v_rcp_f64_e32 v[26:27], v[24:25]
	v_nop
	v_fma_f64 v[28:29], -v[24:25], v[26:27], 1.0
	s_delay_alu instid0(VALU_DEP_1) | instskip(NEXT) | instid1(VALU_DEP_1)
	v_fmac_f64_e32 v[26:27], v[26:27], v[28:29]
	v_fma_f64 v[28:29], -v[24:25], v[26:27], 1.0
	s_delay_alu instid0(VALU_DEP_1) | instskip(SKIP_1) | instid1(VALU_DEP_1)
	v_fmac_f64_e32 v[26:27], v[26:27], v[28:29]
	v_div_scale_f64 v[28:29], vcc_lo, v[12:13], v[10:11], v[12:13]
	v_mul_f64_e32 v[30:31], v[28:29], v[26:27]
	s_delay_alu instid0(VALU_DEP_1) | instskip(NEXT) | instid1(VALU_DEP_1)
	v_fma_f64 v[24:25], -v[24:25], v[30:31], v[28:29]
	v_div_fmas_f64 v[24:25], v[24:25], v[26:27], v[30:31]
	s_delay_alu instid0(VALU_DEP_1)
	v_div_fixup_f64 v[10:11], v[24:25], v[10:11], v[12:13]
	ds_store_b64 v23, v[10:11]
	s_cbranch_scc1 .LBB71_38
.LBB71_34:                              ;   Parent Loop BB71_3 Depth=1
                                        ; =>  This Loop Header: Depth=2
                                        ;       Child Loop BB71_35 Depth 3
                                        ;       Child Loop BB71_37 Depth 3
	s_lshl_b32 s29, s25, 5
	s_cmp_le_i32 s34, s25
	v_dual_add_nc_u32 v22, s29, v14 :: v_dual_mov_b32 v12, v20
	s_mov_b32 s28, s26
	s_mov_b32 s46, s34
	ds_load_b64 v[10:11], v22
	s_cbranch_scc1 .LBB71_36
.LBB71_35:                              ;   Parent Loop BB71_3 Depth=1
                                        ;     Parent Loop BB71_34 Depth=2
                                        ; =>    This Inner Loop Header: Depth=3
	v_mov_b32_e32 v13, s28
	s_add_co_i32 s46, s46, -1
	s_sub_co_i32 s28, s28, 32
	s_cmp_le_i32 s46, s25
	ds_load_b64 v[24:25], v12
	ds_load_b64 v[26:27], v13
	v_subrev_nc_u32_e32 v12, 32, v12
	s_wait_dscnt 0x0
	v_fma_f64 v[10:11], -v[24:25], v[26:27], v[10:11]
	s_cbranch_scc0 .LBB71_35
.LBB71_36:                              ;   in Loop: Header=BB71_34 Depth=2
	s_lshl_b32 s28, s25, 3
	s_mov_b32 s47, s33
	s_add_co_i32 s46, s28, s29
	s_sub_co_i32 s29, s29, 32
	s_delay_alu instid0(SALU_CYCLE_1)
	v_dual_mov_b32 v12, s46 :: v_dual_add_nc_u32 v23, s29, v14
	s_cmp_le_i32 s33, s25
	s_mov_b32 s46, s27
	ds_load_b64 v[24:25], v12
	ds_load_b64 v[12:13], v23
	s_wait_dscnt 0x1
	v_div_scale_f64 v[26:27], null, v[24:25], v[24:25], v[10:11]
	s_delay_alu instid0(VALU_DEP_1) | instskip(SKIP_1) | instid1(TRANS32_DEP_1)
	v_rcp_f64_e32 v[28:29], v[26:27]
	v_nop
	v_fma_f64 v[30:31], -v[26:27], v[28:29], 1.0
	s_delay_alu instid0(VALU_DEP_1) | instskip(NEXT) | instid1(VALU_DEP_1)
	v_fmac_f64_e32 v[28:29], v[28:29], v[30:31]
	v_fma_f64 v[30:31], -v[26:27], v[28:29], 1.0
	s_delay_alu instid0(VALU_DEP_1) | instskip(SKIP_1) | instid1(VALU_DEP_1)
	v_fmac_f64_e32 v[28:29], v[28:29], v[30:31]
	v_div_scale_f64 v[30:31], vcc_lo, v[10:11], v[24:25], v[10:11]
	v_mul_f64_e32 v[32:33], v[30:31], v[28:29]
	s_delay_alu instid0(VALU_DEP_1) | instskip(NEXT) | instid1(VALU_DEP_1)
	v_fma_f64 v[26:27], -v[26:27], v[32:33], v[30:31]
	v_div_fmas_f64 v[26:27], v[26:27], v[28:29], v[32:33]
	s_delay_alu instid0(VALU_DEP_1)
	v_div_fixup_f64 v[24:25], v[26:27], v[24:25], v[10:11]
	v_mov_b32_e32 v10, v20
	ds_store_b64 v22, v[24:25]
	s_cbranch_scc1 .LBB71_33
.LBB71_37:                              ;   Parent Loop BB71_3 Depth=1
                                        ;     Parent Loop BB71_34 Depth=2
                                        ; =>    This Inner Loop Header: Depth=3
	v_mov_b32_e32 v11, s46
	s_add_co_i32 s47, s47, -1
	s_sub_co_i32 s46, s46, 32
	s_cmp_gt_i32 s47, s25
	ds_load_b64 v[24:25], v10
	ds_load_b64 v[26:27], v11
	v_subrev_nc_u32_e32 v10, 32, v10
	s_wait_dscnt 0x0
	v_fma_f64 v[12:13], -v[24:25], v[26:27], v[12:13]
	s_cbranch_scc1 .LBB71_37
	s_branch .LBB71_33
.LBB71_38:                              ;   in Loop: Header=BB71_3 Depth=1
	s_mov_b32 s25, 0
.LBB71_39:                              ;   in Loop: Header=BB71_3 Depth=1
	s_delay_alu instid0(SALU_CYCLE_1)
	s_and_not1_b32 vcc_lo, exec_lo, s25
	s_cbranch_vccnz .LBB71_55
; %bb.40:                               ;   in Loop: Header=BB71_3 Depth=1
	s_and_b32 vcc_lo, exec_lo, s14
	s_mov_b32 s26, s34
	s_cbranch_vccz .LBB71_42
; %bb.41:                               ;   in Loop: Header=BB71_3 Depth=1
	s_add_co_i32 s25, s38, s37
	s_mov_b32 s26, s44
	v_mov_b32_e32 v10, s25
	s_add_co_i32 s25, s22, s35
	ds_load_b64 v[22:23], v16
	ds_load_b64 v[24:25], v10
	s_wait_dscnt 0x0
	v_div_scale_f64 v[32:33], null, v[24:25], v[24:25], v[22:23]
	v_div_scale_f64 v[38:39], vcc_lo, v[22:23], v[24:25], v[22:23]
	s_delay_alu instid0(VALU_DEP_2) | instskip(SKIP_1) | instid1(TRANS32_DEP_1)
	v_rcp_f64_e32 v[34:35], v[32:33]
	v_nop
	v_fma_f64 v[36:37], -v[32:33], v[34:35], 1.0
	s_delay_alu instid0(VALU_DEP_1) | instskip(NEXT) | instid1(VALU_DEP_1)
	v_fmac_f64_e32 v[34:35], v[34:35], v[36:37]
	v_fma_f64 v[36:37], -v[32:33], v[34:35], 1.0
	s_delay_alu instid0(VALU_DEP_1) | instskip(NEXT) | instid1(VALU_DEP_1)
	v_fmac_f64_e32 v[34:35], v[34:35], v[36:37]
	v_dual_mul_f64 v[36:37], v[38:39], v[34:35] :: v_dual_mov_b32 v10, s25
	s_delay_alu instid0(VALU_DEP_1)
	v_fma_f64 v[32:33], -v[32:33], v[36:37], v[38:39]
	ds_load_b64 v[26:27], v17
	ds_load_b64 v[28:29], v18
	;; [unrolled: 1-line block ×3, first 2 shown]
	ds_load_2addr_b64 v[10:13], v10 offset1:1
	v_div_fmas_f64 v[32:33], v[32:33], v[34:35], v[36:37]
	s_delay_alu instid0(VALU_DEP_1) | instskip(SKIP_1) | instid1(VALU_DEP_1)
	v_div_fixup_f64 v[32:33], v[32:33], v[24:25], v[22:23]
	s_wait_dscnt 0x0
	v_fma_f64 v[12:13], -v[32:33], v[12:13], v[26:27]
	s_delay_alu instid0(VALU_DEP_1) | instskip(SKIP_1) | instid1(VALU_DEP_2)
	v_div_scale_f64 v[22:23], null, v[10:11], v[10:11], v[12:13]
	v_div_scale_f64 v[34:35], vcc_lo, v[12:13], v[10:11], v[12:13]
	v_rcp_f64_e32 v[24:25], v[22:23]
	v_nop
	s_delay_alu instid0(TRANS32_DEP_1) | instskip(NEXT) | instid1(VALU_DEP_1)
	v_fma_f64 v[26:27], -v[22:23], v[24:25], 1.0
	v_fmac_f64_e32 v[24:25], v[24:25], v[26:27]
	s_delay_alu instid0(VALU_DEP_1) | instskip(NEXT) | instid1(VALU_DEP_1)
	v_fma_f64 v[26:27], -v[22:23], v[24:25], 1.0
	v_fmac_f64_e32 v[24:25], v[24:25], v[26:27]
	s_delay_alu instid0(VALU_DEP_1) | instskip(NEXT) | instid1(VALU_DEP_1)
	v_mul_f64_e32 v[26:27], v[34:35], v[24:25]
	v_fma_f64 v[22:23], -v[22:23], v[26:27], v[34:35]
	s_delay_alu instid0(VALU_DEP_1)
	v_div_fmas_f64 v[26:27], v[22:23], v[24:25], v[26:27]
	v_mov_b32_e32 v22, s45
	ds_load_b64 v[34:35], v22
	v_mov_b32_e32 v22, s21
	ds_load_2addr_b64 v[22:25], v22 offset1:1
	s_wait_dscnt 0x1
	v_fma_f64 v[28:29], -v[32:33], v[34:35], v[28:29]
	v_div_fixup_f64 v[34:35], v[26:27], v[10:11], v[12:13]
	s_wait_dscnt 0x0
	s_delay_alu instid0(VALU_DEP_1) | instskip(NEXT) | instid1(VALU_DEP_1)
	v_fma_f64 v[28:29], -v[34:35], v[24:25], v[28:29]
	v_div_scale_f64 v[10:11], null, v[22:23], v[22:23], v[28:29]
	v_div_scale_f64 v[24:25], vcc_lo, v[28:29], v[22:23], v[28:29]
	s_delay_alu instid0(VALU_DEP_2) | instskip(SKIP_1) | instid1(TRANS32_DEP_1)
	v_rcp_f64_e32 v[36:37], v[10:11]
	v_nop
	v_fma_f64 v[12:13], -v[10:11], v[36:37], 1.0
	s_delay_alu instid0(VALU_DEP_1) | instskip(NEXT) | instid1(VALU_DEP_1)
	v_fmac_f64_e32 v[36:37], v[36:37], v[12:13]
	v_fma_f64 v[12:13], -v[10:11], v[36:37], 1.0
	s_delay_alu instid0(VALU_DEP_1) | instskip(NEXT) | instid1(VALU_DEP_1)
	v_fmac_f64_e32 v[36:37], v[36:37], v[12:13]
	v_mul_f64_e32 v[38:39], v[24:25], v[36:37]
	s_delay_alu instid0(VALU_DEP_1)
	v_dual_fma_f64 v[40:41], -v[10:11], v[38:39], v[24:25] :: v_dual_mov_b32 v10, s16
	v_mov_b32_e32 v24, s24
	ds_load_2addr_b64 v[10:13], v10 offset1:1
	ds_load_2addr_b64 v[24:27], v24 offset1:1
	s_wait_dscnt 0x1
	v_fma_f64 v[12:13], -v[32:33], v[12:13], v[30:31]
	v_div_fmas_f64 v[30:31], v[40:41], v[36:37], v[38:39]
	s_delay_alu instid0(VALU_DEP_2) | instskip(NEXT) | instid1(VALU_DEP_2)
	v_fma_f64 v[10:11], -v[34:35], v[10:11], v[12:13]
	v_div_fixup_f64 v[12:13], v[30:31], v[22:23], v[28:29]
	s_wait_dscnt 0x0
	s_delay_alu instid0(VALU_DEP_1) | instskip(NEXT) | instid1(VALU_DEP_1)
	v_fma_f64 v[10:11], -v[12:13], v[26:27], v[10:11]
	v_div_scale_f64 v[22:23], null, v[24:25], v[24:25], v[10:11]
	s_delay_alu instid0(VALU_DEP_1) | instskip(SKIP_1) | instid1(TRANS32_DEP_1)
	v_rcp_f64_e32 v[26:27], v[22:23]
	v_nop
	v_fma_f64 v[28:29], -v[22:23], v[26:27], 1.0
	s_delay_alu instid0(VALU_DEP_1) | instskip(NEXT) | instid1(VALU_DEP_1)
	v_fmac_f64_e32 v[26:27], v[26:27], v[28:29]
	v_fma_f64 v[28:29], -v[22:23], v[26:27], 1.0
	s_delay_alu instid0(VALU_DEP_1) | instskip(SKIP_1) | instid1(VALU_DEP_1)
	v_fmac_f64_e32 v[26:27], v[26:27], v[28:29]
	v_div_scale_f64 v[28:29], vcc_lo, v[10:11], v[24:25], v[10:11]
	v_mul_f64_e32 v[30:31], v[28:29], v[26:27]
	s_delay_alu instid0(VALU_DEP_1) | instskip(NEXT) | instid1(VALU_DEP_1)
	v_fma_f64 v[22:23], -v[22:23], v[30:31], v[28:29]
	v_div_fmas_f64 v[22:23], v[22:23], v[26:27], v[30:31]
	s_delay_alu instid0(VALU_DEP_1)
	v_div_fixup_f64 v[10:11], v[22:23], v[24:25], v[10:11]
	ds_store_b64 v16, v[32:33]
	ds_store_b64 v17, v[34:35]
	;; [unrolled: 1-line block ×4, first 2 shown]
.LBB71_42:                              ;   in Loop: Header=BB71_3 Depth=1
	s_cmp_lt_i32 s26, 0
	s_cbranch_scc1 .LBB71_55
; %bb.43:                               ;   in Loop: Header=BB71_3 Depth=1
	s_bitcmp1_b32 s26, 0
	s_cselect_b32 s25, -1, 0
	s_delay_alu instid0(SALU_CYCLE_1)
	s_and_b32 vcc_lo, exec_lo, s25
	s_mov_b32 s25, s26
	s_cbranch_vccnz .LBB71_48
; %bb.44:                               ;   in Loop: Header=BB71_3 Depth=1
	v_lshl_add_u32 v12, s26, 5, v14
	s_cmp_le_i32 s34, s26
	ds_load_b64 v[10:11], v12
	s_cbranch_scc1 .LBB71_47
; %bb.45:                               ;   in Loop: Header=BB71_3 Depth=1
	v_mov_b32_e32 v13, v20
	s_lshl_b32 s25, s26, 5
	s_mov_b32 s27, s34
	s_add_co_i32 s25, s19, s25
.LBB71_46:                              ;   Parent Loop BB71_3 Depth=1
                                        ; =>  This Inner Loop Header: Depth=2
	s_delay_alu instid0(SALU_CYCLE_1)
	v_mov_b32_e32 v24, s25
	s_add_co_i32 s27, s27, -1
	s_add_co_i32 s25, s25, -8
	s_cmp_gt_u32 s27, s26
	ds_load_b64 v[22:23], v13
	ds_load_b64 v[24:25], v24
	v_subrev_nc_u32_e32 v13, 32, v13
	s_wait_dscnt 0x0
	v_fma_f64 v[10:11], -v[22:23], v[24:25], v[10:11]
	s_cbranch_scc1 .LBB71_46
.LBB71_47:                              ;   in Loop: Header=BB71_3 Depth=1
	s_mul_i32 s25, s26, 40
	s_delay_alu instid0(SALU_CYCLE_1) | instskip(SKIP_4) | instid1(VALU_DEP_1)
	v_mov_b32_e32 v13, s25
	s_add_co_i32 s25, s26, -1
	ds_load_b64 v[22:23], v13
	s_wait_dscnt 0x0
	v_div_scale_f64 v[24:25], null, v[22:23], v[22:23], v[10:11]
	v_rcp_f64_e32 v[26:27], v[24:25]
	v_nop
	s_delay_alu instid0(TRANS32_DEP_1) | instskip(NEXT) | instid1(VALU_DEP_1)
	v_fma_f64 v[28:29], -v[24:25], v[26:27], 1.0
	v_fmac_f64_e32 v[26:27], v[26:27], v[28:29]
	s_delay_alu instid0(VALU_DEP_1) | instskip(NEXT) | instid1(VALU_DEP_1)
	v_fma_f64 v[28:29], -v[24:25], v[26:27], 1.0
	v_fmac_f64_e32 v[26:27], v[26:27], v[28:29]
	v_div_scale_f64 v[28:29], vcc_lo, v[10:11], v[22:23], v[10:11]
	s_delay_alu instid0(VALU_DEP_1) | instskip(NEXT) | instid1(VALU_DEP_1)
	v_mul_f64_e32 v[30:31], v[28:29], v[26:27]
	v_fma_f64 v[24:25], -v[24:25], v[30:31], v[28:29]
	s_delay_alu instid0(VALU_DEP_1) | instskip(NEXT) | instid1(VALU_DEP_1)
	v_div_fmas_f64 v[24:25], v[24:25], v[26:27], v[30:31]
	v_div_fixup_f64 v[10:11], v[24:25], v[22:23], v[10:11]
	ds_store_b64 v12, v[10:11]
.LBB71_48:                              ;   in Loop: Header=BB71_3 Depth=1
	s_cmp_eq_u32 s26, 0
	s_cbranch_scc1 .LBB71_55
; %bb.49:                               ;   in Loop: Header=BB71_3 Depth=1
	s_lshl_b32 s27, s25, 5
	s_delay_alu instid0(SALU_CYCLE_1)
	s_add_co_i32 s26, s19, s27
	s_add_co_i32 s27, s20, s27
	s_branch .LBB71_51
.LBB71_50:                              ;   in Loop: Header=BB71_51 Depth=2
	s_sub_co_i32 s29, s29, 40
	s_add_co_i32 s25, s25, -2
	v_mov_b32_e32 v10, s29
	s_sub_co_i32 s26, s26, 64
	s_sub_co_i32 s27, s27, 64
	s_cmp_eq_u32 s28, 0
	ds_load_b64 v[10:11], v10
	s_wait_dscnt 0x0
	v_div_scale_f64 v[24:25], null, v[10:11], v[10:11], v[12:13]
	s_delay_alu instid0(VALU_DEP_1) | instskip(SKIP_1) | instid1(TRANS32_DEP_1)
	v_rcp_f64_e32 v[26:27], v[24:25]
	v_nop
	v_fma_f64 v[28:29], -v[24:25], v[26:27], 1.0
	s_delay_alu instid0(VALU_DEP_1) | instskip(NEXT) | instid1(VALU_DEP_1)
	v_fmac_f64_e32 v[26:27], v[26:27], v[28:29]
	v_fma_f64 v[28:29], -v[24:25], v[26:27], 1.0
	s_delay_alu instid0(VALU_DEP_1) | instskip(SKIP_1) | instid1(VALU_DEP_1)
	v_fmac_f64_e32 v[26:27], v[26:27], v[28:29]
	v_div_scale_f64 v[28:29], vcc_lo, v[12:13], v[10:11], v[12:13]
	v_mul_f64_e32 v[30:31], v[28:29], v[26:27]
	s_delay_alu instid0(VALU_DEP_1) | instskip(NEXT) | instid1(VALU_DEP_1)
	v_fma_f64 v[24:25], -v[24:25], v[30:31], v[28:29]
	v_div_fmas_f64 v[24:25], v[24:25], v[26:27], v[30:31]
	s_delay_alu instid0(VALU_DEP_1)
	v_div_fixup_f64 v[10:11], v[24:25], v[10:11], v[12:13]
	ds_store_b64 v23, v[10:11]
	s_cbranch_scc1 .LBB71_55
.LBB71_51:                              ;   Parent Loop BB71_3 Depth=1
                                        ; =>  This Loop Header: Depth=2
                                        ;       Child Loop BB71_52 Depth 3
                                        ;       Child Loop BB71_54 Depth 3
	v_lshl_add_u32 v22, s25, 5, v14
	v_mov_b32_e32 v12, v20
	s_cmp_le_i32 s34, s25
	s_mov_b32 s28, s26
	s_mov_b32 s29, s34
	ds_load_b64 v[10:11], v22
	s_cbranch_scc1 .LBB71_53
.LBB71_52:                              ;   Parent Loop BB71_3 Depth=1
                                        ;     Parent Loop BB71_51 Depth=2
                                        ; =>    This Inner Loop Header: Depth=3
	v_mov_b32_e32 v13, s28
	s_add_co_i32 s29, s29, -1
	s_add_co_i32 s28, s28, -8
	s_cmp_le_u32 s29, s25
	ds_load_b64 v[24:25], v12
	ds_load_b64 v[26:27], v13
	v_subrev_nc_u32_e32 v12, 32, v12
	s_wait_dscnt 0x0
	v_fma_f64 v[10:11], -v[24:25], v[26:27], v[10:11]
	s_cbranch_scc0 .LBB71_52
.LBB71_53:                              ;   in Loop: Header=BB71_51 Depth=2
	s_mul_i32 s29, s25, 40
	s_add_co_i32 s28, s25, -1
	v_mov_b32_e32 v12, s29
	v_lshl_add_u32 v23, s28, 5, v14
	s_cmp_le_i32 s33, s25
	s_mov_b32 s46, s27
	s_mov_b32 s47, s34
	ds_load_b64 v[24:25], v12
	ds_load_b64 v[12:13], v23
	s_wait_dscnt 0x1
	v_div_scale_f64 v[26:27], null, v[24:25], v[24:25], v[10:11]
	s_delay_alu instid0(VALU_DEP_1) | instskip(SKIP_1) | instid1(TRANS32_DEP_1)
	v_rcp_f64_e32 v[28:29], v[26:27]
	v_nop
	v_fma_f64 v[30:31], -v[26:27], v[28:29], 1.0
	s_delay_alu instid0(VALU_DEP_1) | instskip(NEXT) | instid1(VALU_DEP_1)
	v_fmac_f64_e32 v[28:29], v[28:29], v[30:31]
	v_fma_f64 v[30:31], -v[26:27], v[28:29], 1.0
	s_delay_alu instid0(VALU_DEP_1) | instskip(SKIP_1) | instid1(VALU_DEP_1)
	v_fmac_f64_e32 v[28:29], v[28:29], v[30:31]
	v_div_scale_f64 v[30:31], vcc_lo, v[10:11], v[24:25], v[10:11]
	v_mul_f64_e32 v[32:33], v[30:31], v[28:29]
	s_delay_alu instid0(VALU_DEP_1) | instskip(NEXT) | instid1(VALU_DEP_1)
	v_fma_f64 v[26:27], -v[26:27], v[32:33], v[30:31]
	v_div_fmas_f64 v[26:27], v[26:27], v[28:29], v[32:33]
	s_delay_alu instid0(VALU_DEP_1)
	v_div_fixup_f64 v[24:25], v[26:27], v[24:25], v[10:11]
	v_mov_b32_e32 v10, v20
	ds_store_b64 v22, v[24:25]
	s_cbranch_scc1 .LBB71_50
.LBB71_54:                              ;   Parent Loop BB71_3 Depth=1
                                        ;     Parent Loop BB71_51 Depth=2
                                        ; =>    This Inner Loop Header: Depth=3
	v_mov_b32_e32 v11, s46
	s_add_co_i32 s47, s47, -1
	s_add_co_i32 s46, s46, -8
	s_cmp_gt_u32 s47, s28
	ds_load_b64 v[24:25], v10
	ds_load_b64 v[26:27], v11
	v_subrev_nc_u32_e32 v10, 32, v10
	s_wait_dscnt 0x0
	v_fma_f64 v[12:13], -v[24:25], v[26:27], v[12:13]
	s_cbranch_scc1 .LBB71_54
	s_branch .LBB71_50
.LBB71_55:                              ;   in Loop: Header=BB71_3 Depth=1
	s_mov_b32 s25, 0
.LBB71_56:                              ;   in Loop: Header=BB71_3 Depth=1
	s_delay_alu instid0(SALU_CYCLE_1)
	s_and_not1_b32 vcc_lo, exec_lo, s25
	s_cbranch_vccnz .LBB71_64
; %bb.57:                               ;   in Loop: Header=BB71_3 Depth=1
	s_and_b32 vcc_lo, exec_lo, s14
	s_mov_b32 s25, 0
	s_cbranch_vccz .LBB71_59
; %bb.58:                               ;   in Loop: Header=BB71_3 Depth=1
	ds_load_2addr_b64 v[10:13], v3 offset1:10
	ds_load_2addr_b64 v[22:25], v14 offset1:4
	s_mov_b32 s25, 4
	s_wait_dscnt 0x0
	v_div_scale_f64 v[26:27], null, v[10:11], v[10:11], v[22:23]
	v_div_scale_f64 v[32:33], vcc_lo, v[22:23], v[10:11], v[22:23]
	s_delay_alu instid0(VALU_DEP_2) | instskip(SKIP_1) | instid1(TRANS32_DEP_1)
	v_rcp_f64_e32 v[28:29], v[26:27]
	v_nop
	v_fma_f64 v[30:31], -v[26:27], v[28:29], 1.0
	s_delay_alu instid0(VALU_DEP_1) | instskip(NEXT) | instid1(VALU_DEP_1)
	v_fmac_f64_e32 v[28:29], v[28:29], v[30:31]
	v_fma_f64 v[30:31], -v[26:27], v[28:29], 1.0
	s_delay_alu instid0(VALU_DEP_1) | instskip(NEXT) | instid1(VALU_DEP_1)
	v_fmac_f64_e32 v[28:29], v[28:29], v[30:31]
	v_mul_f64_e32 v[30:31], v[32:33], v[28:29]
	s_delay_alu instid0(VALU_DEP_1) | instskip(NEXT) | instid1(VALU_DEP_1)
	v_fma_f64 v[26:27], -v[26:27], v[30:31], v[32:33]
	v_div_fmas_f64 v[26:27], v[26:27], v[28:29], v[30:31]
	s_delay_alu instid0(VALU_DEP_1) | instskip(SKIP_3) | instid1(VALU_DEP_1)
	v_div_fixup_f64 v[10:11], v[26:27], v[10:11], v[22:23]
	ds_load_b128 v[26:29], v3 offset:32
	s_wait_dscnt 0x0
	v_fma_f64 v[26:27], -v[10:11], v[26:27], v[24:25]
	v_div_scale_f64 v[22:23], null, v[28:29], v[28:29], v[26:27]
	v_div_scale_f64 v[32:33], vcc_lo, v[26:27], v[28:29], v[26:27]
	s_delay_alu instid0(VALU_DEP_2) | instskip(SKIP_1) | instid1(TRANS32_DEP_1)
	v_rcp_f64_e32 v[24:25], v[22:23]
	v_nop
	v_fma_f64 v[30:31], -v[22:23], v[24:25], 1.0
	s_delay_alu instid0(VALU_DEP_1) | instskip(NEXT) | instid1(VALU_DEP_1)
	v_fmac_f64_e32 v[24:25], v[24:25], v[30:31]
	v_fma_f64 v[30:31], -v[22:23], v[24:25], 1.0
	s_delay_alu instid0(VALU_DEP_1) | instskip(NEXT) | instid1(VALU_DEP_1)
	v_fmac_f64_e32 v[24:25], v[24:25], v[30:31]
	v_mul_f64_e32 v[30:31], v[32:33], v[24:25]
	s_delay_alu instid0(VALU_DEP_1) | instskip(NEXT) | instid1(VALU_DEP_1)
	v_fma_f64 v[22:23], -v[22:23], v[30:31], v[32:33]
	v_div_fmas_f64 v[34:35], v[22:23], v[24:25], v[30:31]
	ds_load_b128 v[22:25], v3 offset:64
	ds_load_2addr_b64 v[30:33], v14 offset0:8 offset1:12
	s_wait_dscnt 0x0
	v_fma_f64 v[22:23], -v[10:11], v[22:23], v[30:31]
	v_div_fixup_f64 v[30:31], v[34:35], v[28:29], v[26:27]
	s_delay_alu instid0(VALU_DEP_1) | instskip(NEXT) | instid1(VALU_DEP_1)
	v_fma_f64 v[34:35], -v[30:31], v[24:25], v[22:23]
	v_div_scale_f64 v[22:23], null, v[12:13], v[12:13], v[34:35]
	v_div_scale_f64 v[26:27], vcc_lo, v[34:35], v[12:13], v[34:35]
	s_delay_alu instid0(VALU_DEP_2) | instskip(SKIP_1) | instid1(TRANS32_DEP_1)
	v_rcp_f64_e32 v[36:37], v[22:23]
	v_nop
	v_fma_f64 v[24:25], -v[22:23], v[36:37], 1.0
	s_delay_alu instid0(VALU_DEP_1) | instskip(NEXT) | instid1(VALU_DEP_1)
	v_fmac_f64_e32 v[36:37], v[36:37], v[24:25]
	v_fma_f64 v[24:25], -v[22:23], v[36:37], 1.0
	s_delay_alu instid0(VALU_DEP_1) | instskip(NEXT) | instid1(VALU_DEP_1)
	v_fmac_f64_e32 v[36:37], v[36:37], v[24:25]
	v_mul_f64_e32 v[38:39], v[26:27], v[36:37]
	s_delay_alu instid0(VALU_DEP_1)
	v_fma_f64 v[40:41], -v[22:23], v[38:39], v[26:27]
	ds_load_b128 v[22:25], v3 offset:96
	ds_load_b128 v[26:29], v3 offset:112
	ds_store_2addr_b64 v14, v[10:11], v[30:31] offset1:4
	s_wait_dscnt 0x2
	v_fma_f64 v[22:23], -v[10:11], v[22:23], v[32:33]
	v_div_fmas_f64 v[32:33], v[40:41], v[36:37], v[38:39]
	s_delay_alu instid0(VALU_DEP_2) | instskip(NEXT) | instid1(VALU_DEP_2)
	v_fma_f64 v[22:23], -v[30:31], v[24:25], v[22:23]
	v_div_fixup_f64 v[12:13], v[32:33], v[12:13], v[34:35]
	s_wait_dscnt 0x1
	s_delay_alu instid0(VALU_DEP_1) | instskip(NEXT) | instid1(VALU_DEP_1)
	v_fma_f64 v[22:23], -v[12:13], v[26:27], v[22:23]
	v_div_scale_f64 v[24:25], null, v[28:29], v[28:29], v[22:23]
	s_delay_alu instid0(VALU_DEP_1) | instskip(SKIP_1) | instid1(TRANS32_DEP_1)
	v_rcp_f64_e32 v[26:27], v[24:25]
	v_nop
	v_fma_f64 v[32:33], -v[24:25], v[26:27], 1.0
	s_delay_alu instid0(VALU_DEP_1) | instskip(NEXT) | instid1(VALU_DEP_1)
	v_fmac_f64_e32 v[26:27], v[26:27], v[32:33]
	v_fma_f64 v[32:33], -v[24:25], v[26:27], 1.0
	s_delay_alu instid0(VALU_DEP_1) | instskip(SKIP_1) | instid1(VALU_DEP_1)
	v_fmac_f64_e32 v[26:27], v[26:27], v[32:33]
	v_div_scale_f64 v[32:33], vcc_lo, v[22:23], v[28:29], v[22:23]
	v_mul_f64_e32 v[34:35], v[32:33], v[26:27]
	s_delay_alu instid0(VALU_DEP_1) | instskip(NEXT) | instid1(VALU_DEP_1)
	v_fma_f64 v[24:25], -v[24:25], v[34:35], v[32:33]
	v_div_fmas_f64 v[24:25], v[24:25], v[26:27], v[34:35]
	s_delay_alu instid0(VALU_DEP_1)
	v_div_fixup_f64 v[22:23], v[24:25], v[28:29], v[22:23]
	ds_store_2addr_b64 v14, v[12:13], v[22:23] offset0:8 offset1:12
.LBB71_59:                              ;   in Loop: Header=BB71_3 Depth=1
	s_cmp_ge_i32 s25, s33
	s_cbranch_scc1 .LBB71_64
; %bb.60:                               ;   in Loop: Header=BB71_3 Depth=1
	s_lshl_b32 s26, s25, 5
	s_branch .LBB71_62
.LBB71_61:                              ;   in Loop: Header=BB71_62 Depth=2
	s_mul_i32 s27, s25, 40
	s_add_co_i32 s25, s25, 1
	v_mov_b32_e32 v13, s27
	s_add_co_i32 s26, s26, 32
	s_cmp_ge_i32 s25, s33
	ds_load_b64 v[22:23], v13
	s_wait_dscnt 0x0
	v_div_scale_f64 v[24:25], null, v[22:23], v[22:23], v[10:11]
	s_delay_alu instid0(VALU_DEP_1) | instskip(SKIP_1) | instid1(TRANS32_DEP_1)
	v_rcp_f64_e32 v[26:27], v[24:25]
	v_nop
	v_fma_f64 v[28:29], -v[24:25], v[26:27], 1.0
	s_delay_alu instid0(VALU_DEP_1) | instskip(NEXT) | instid1(VALU_DEP_1)
	v_fmac_f64_e32 v[26:27], v[26:27], v[28:29]
	v_fma_f64 v[28:29], -v[24:25], v[26:27], 1.0
	s_delay_alu instid0(VALU_DEP_1) | instskip(SKIP_1) | instid1(VALU_DEP_1)
	v_fmac_f64_e32 v[26:27], v[26:27], v[28:29]
	v_div_scale_f64 v[28:29], vcc_lo, v[10:11], v[22:23], v[10:11]
	v_mul_f64_e32 v[30:31], v[28:29], v[26:27]
	s_delay_alu instid0(VALU_DEP_1) | instskip(NEXT) | instid1(VALU_DEP_1)
	v_fma_f64 v[24:25], -v[24:25], v[30:31], v[28:29]
	v_div_fmas_f64 v[24:25], v[24:25], v[26:27], v[30:31]
	s_delay_alu instid0(VALU_DEP_1)
	v_div_fixup_f64 v[10:11], v[24:25], v[22:23], v[10:11]
	ds_store_b64 v12, v[10:11]
	s_cbranch_scc1 .LBB71_64
.LBB71_62:                              ;   Parent Loop BB71_3 Depth=1
                                        ; =>  This Loop Header: Depth=2
                                        ;       Child Loop BB71_63 Depth 3
	v_lshl_add_u32 v12, s25, 5, v14
	v_mov_b32_e32 v13, v14
	s_cmp_eq_u32 s25, 0
	s_mov_b32 s27, s26
	s_mov_b32 s28, s25
	ds_load_b64 v[10:11], v12
	s_cbranch_scc1 .LBB71_61
.LBB71_63:                              ;   Parent Loop BB71_3 Depth=1
                                        ;     Parent Loop BB71_62 Depth=2
                                        ; =>    This Inner Loop Header: Depth=3
	v_mov_b32_e32 v24, s27
	s_add_co_i32 s28, s28, -1
	s_add_co_i32 s27, s27, 8
	s_cmp_eq_u32 s28, 0
	ds_load_b64 v[22:23], v13
	ds_load_b64 v[24:25], v24
	v_add_nc_u32_e32 v13, 32, v13
	s_wait_dscnt 0x0
	v_fma_f64 v[10:11], -v[22:23], v[24:25], v[10:11]
	s_cbranch_scc0 .LBB71_63
	s_branch .LBB71_61
.LBB71_64:                              ;   in Loop: Header=BB71_3 Depth=1
	s_and_saveexec_b32 s25, s15
	s_cbranch_execz .LBB71_2
; %bb.65:                               ;   in Loop: Header=BB71_3 Depth=1
	v_mov_b32_e32 v10, v14
	s_mov_b32 s26, s31
.LBB71_66:                              ;   Parent Loop BB71_3 Depth=1
                                        ; =>  This Inner Loop Header: Depth=2
	ds_load_b64 v[12:13], v10
	v_add_nc_u32_e32 v10, 32, v10
	s_add_co_i32 s26, s26, -1
	s_delay_alu instid0(SALU_CYCLE_1)
	s_cmp_lg_u32 s26, 0
	s_wait_dscnt 0x0
	global_store_b64 v[8:9], v[12:13], off
	s_wait_xcnt 0x0
	v_add_nc_u64_e32 v[8:9], s[10:11], v[8:9]
	s_cbranch_scc1 .LBB71_66
	s_branch .LBB71_2
.LBB71_67:
	s_endpgm
	.section	.rodata,"a",@progbits
	.p2align	6, 0x0
	.amdhsa_kernel _ZL31rocblas_trsm_small_right_deviceIddPKdPdLi4EEv13rocblas_fill_18rocblas_operation_17rocblas_diagonal_iiT0_T1_lilT2_lili
		.amdhsa_group_segment_fixed_size 256
		.amdhsa_private_segment_fixed_size 0
		.amdhsa_kernarg_size 360
		.amdhsa_user_sgpr_count 2
		.amdhsa_user_sgpr_dispatch_ptr 0
		.amdhsa_user_sgpr_queue_ptr 0
		.amdhsa_user_sgpr_kernarg_segment_ptr 1
		.amdhsa_user_sgpr_dispatch_id 0
		.amdhsa_user_sgpr_kernarg_preload_length 0
		.amdhsa_user_sgpr_kernarg_preload_offset 0
		.amdhsa_user_sgpr_private_segment_size 0
		.amdhsa_wavefront_size32 1
		.amdhsa_uses_dynamic_stack 0
		.amdhsa_enable_private_segment 0
		.amdhsa_system_sgpr_workgroup_id_x 1
		.amdhsa_system_sgpr_workgroup_id_y 0
		.amdhsa_system_sgpr_workgroup_id_z 1
		.amdhsa_system_sgpr_workgroup_info 0
		.amdhsa_system_vgpr_workitem_id 0
		.amdhsa_next_free_vgpr 44
		.amdhsa_next_free_sgpr 51
		.amdhsa_named_barrier_count 0
		.amdhsa_reserve_vcc 1
		.amdhsa_float_round_mode_32 0
		.amdhsa_float_round_mode_16_64 0
		.amdhsa_float_denorm_mode_32 3
		.amdhsa_float_denorm_mode_16_64 3
		.amdhsa_fp16_overflow 0
		.amdhsa_memory_ordered 1
		.amdhsa_forward_progress 1
		.amdhsa_inst_pref_size 42
		.amdhsa_round_robin_scheduling 0
		.amdhsa_exception_fp_ieee_invalid_op 0
		.amdhsa_exception_fp_denorm_src 0
		.amdhsa_exception_fp_ieee_div_zero 0
		.amdhsa_exception_fp_ieee_overflow 0
		.amdhsa_exception_fp_ieee_underflow 0
		.amdhsa_exception_fp_ieee_inexact 0
		.amdhsa_exception_int_div_zero 0
	.end_amdhsa_kernel
	.section	.text._ZL31rocblas_trsm_small_right_deviceIddPKdPdLi4EEv13rocblas_fill_18rocblas_operation_17rocblas_diagonal_iiT0_T1_lilT2_lili,"axG",@progbits,_ZL31rocblas_trsm_small_right_deviceIddPKdPdLi4EEv13rocblas_fill_18rocblas_operation_17rocblas_diagonal_iiT0_T1_lilT2_lili,comdat
.Lfunc_end71:
	.size	_ZL31rocblas_trsm_small_right_deviceIddPKdPdLi4EEv13rocblas_fill_18rocblas_operation_17rocblas_diagonal_iiT0_T1_lilT2_lili, .Lfunc_end71-_ZL31rocblas_trsm_small_right_deviceIddPKdPdLi4EEv13rocblas_fill_18rocblas_operation_17rocblas_diagonal_iiT0_T1_lilT2_lili
                                        ; -- End function
	.set _ZL31rocblas_trsm_small_right_deviceIddPKdPdLi4EEv13rocblas_fill_18rocblas_operation_17rocblas_diagonal_iiT0_T1_lilT2_lili.num_vgpr, 44
	.set _ZL31rocblas_trsm_small_right_deviceIddPKdPdLi4EEv13rocblas_fill_18rocblas_operation_17rocblas_diagonal_iiT0_T1_lilT2_lili.num_agpr, 0
	.set _ZL31rocblas_trsm_small_right_deviceIddPKdPdLi4EEv13rocblas_fill_18rocblas_operation_17rocblas_diagonal_iiT0_T1_lilT2_lili.numbered_sgpr, 51
	.set _ZL31rocblas_trsm_small_right_deviceIddPKdPdLi4EEv13rocblas_fill_18rocblas_operation_17rocblas_diagonal_iiT0_T1_lilT2_lili.num_named_barrier, 0
	.set _ZL31rocblas_trsm_small_right_deviceIddPKdPdLi4EEv13rocblas_fill_18rocblas_operation_17rocblas_diagonal_iiT0_T1_lilT2_lili.private_seg_size, 0
	.set _ZL31rocblas_trsm_small_right_deviceIddPKdPdLi4EEv13rocblas_fill_18rocblas_operation_17rocblas_diagonal_iiT0_T1_lilT2_lili.uses_vcc, 1
	.set _ZL31rocblas_trsm_small_right_deviceIddPKdPdLi4EEv13rocblas_fill_18rocblas_operation_17rocblas_diagonal_iiT0_T1_lilT2_lili.uses_flat_scratch, 0
	.set _ZL31rocblas_trsm_small_right_deviceIddPKdPdLi4EEv13rocblas_fill_18rocblas_operation_17rocblas_diagonal_iiT0_T1_lilT2_lili.has_dyn_sized_stack, 0
	.set _ZL31rocblas_trsm_small_right_deviceIddPKdPdLi4EEv13rocblas_fill_18rocblas_operation_17rocblas_diagonal_iiT0_T1_lilT2_lili.has_recursion, 0
	.set _ZL31rocblas_trsm_small_right_deviceIddPKdPdLi4EEv13rocblas_fill_18rocblas_operation_17rocblas_diagonal_iiT0_T1_lilT2_lili.has_indirect_call, 0
	.section	.AMDGPU.csdata,"",@progbits
; Kernel info:
; codeLenInByte = 5288
; TotalNumSgprs: 53
; NumVgprs: 44
; ScratchSize: 0
; MemoryBound: 0
; FloatMode: 240
; IeeeMode: 1
; LDSByteSize: 256 bytes/workgroup (compile time only)
; SGPRBlocks: 0
; VGPRBlocks: 2
; NumSGPRsForWavesPerEU: 53
; NumVGPRsForWavesPerEU: 44
; NamedBarCnt: 0
; Occupancy: 16
; WaveLimiterHint : 0
; COMPUTE_PGM_RSRC2:SCRATCH_EN: 0
; COMPUTE_PGM_RSRC2:USER_SGPR: 2
; COMPUTE_PGM_RSRC2:TRAP_HANDLER: 0
; COMPUTE_PGM_RSRC2:TGID_X_EN: 1
; COMPUTE_PGM_RSRC2:TGID_Y_EN: 0
; COMPUTE_PGM_RSRC2:TGID_Z_EN: 1
; COMPUTE_PGM_RSRC2:TIDIG_COMP_CNT: 0
	.section	.text._ZL38rocblas_trsm_small_left_device_sharedBILi8ELi8ELb0EddPKdPdEv13rocblas_fill_18rocblas_operation_17rocblas_diagonal_iiT3_T4_lilT5_lili,"axG",@progbits,_ZL38rocblas_trsm_small_left_device_sharedBILi8ELi8ELb0EddPKdPdEv13rocblas_fill_18rocblas_operation_17rocblas_diagonal_iiT3_T4_lilT5_lili,comdat
	.globl	_ZL38rocblas_trsm_small_left_device_sharedBILi8ELi8ELb0EddPKdPdEv13rocblas_fill_18rocblas_operation_17rocblas_diagonal_iiT3_T4_lilT5_lili ; -- Begin function _ZL38rocblas_trsm_small_left_device_sharedBILi8ELi8ELb0EddPKdPdEv13rocblas_fill_18rocblas_operation_17rocblas_diagonal_iiT3_T4_lilT5_lili
	.p2align	8
	.type	_ZL38rocblas_trsm_small_left_device_sharedBILi8ELi8ELb0EddPKdPdEv13rocblas_fill_18rocblas_operation_17rocblas_diagonal_iiT3_T4_lilT5_lili,@function
_ZL38rocblas_trsm_small_left_device_sharedBILi8ELi8ELb0EddPKdPdEv13rocblas_fill_18rocblas_operation_17rocblas_diagonal_iiT3_T4_lilT5_lili: ; @_ZL38rocblas_trsm_small_left_device_sharedBILi8ELi8ELb0EddPKdPdEv13rocblas_fill_18rocblas_operation_17rocblas_diagonal_iiT3_T4_lilT5_lili
; %bb.0:
	s_load_b32 s19, s[0:1], 0x60
	s_bfe_u32 s2, ttmp6, 0x40014
	s_lshr_b32 s3, ttmp7, 16
	s_add_co_i32 s2, s2, 1
	s_bfe_u32 s5, ttmp6, 0x40008
	s_mul_i32 s4, s3, s2
	s_getreg_b32 s2, hwreg(HW_REG_IB_STS2, 6, 4)
	s_add_co_i32 s5, s5, s4
	s_cmp_eq_u32 s2, 0
	s_cselect_b32 s20, s3, s5
	s_wait_kmcnt 0x0
	s_cmp_ge_u32 s20, s19
	s_cbranch_scc1 .LBB72_55
; %bb.1:
	s_clause 0x4
	s_load_b96 s[12:14], s[0:1], 0x28
	s_load_b96 s[16:18], s[0:1], 0x48
	s_load_b128 s[24:27], s[0:1], 0x4
	s_load_b32 s3, s[0:1], 0x68
	s_load_b64 s[28:29], s[0:1], 0x58
	s_bfe_u32 s8, ttmp6, 0x4000c
	s_load_b128 s[4:7], s[0:1], 0x18
	s_add_co_i32 s8, s8, 1
	s_and_b32 s15, ttmp6, 15
	s_mul_i32 s21, ttmp9, s8
	s_load_b128 s[8:11], s[0:1], 0x38
	s_wait_xcnt 0x0
	s_add_co_i32 s0, s15, s21
	v_dual_mov_b32 v35, 0 :: v_dual_lshlrev_b32 v34, 3, v0
	v_lshlrev_b32_e32 v18, 6, v0
	s_delay_alu instid0(VALU_DEP_2) | instskip(NEXT) | instid1(VALU_DEP_3)
	v_or_b32_e32 v42, 0x200, v34
	v_dual_mov_b32 v2, v35 :: v_dual_mov_b32 v3, v35
	s_wait_kmcnt 0x0
	s_ashr_i32 s15, s14, 31
	s_ashr_i32 s30, s18, 31
	s_min_i32 s1, s26, 8
	s_add_co_i32 s3, s3, -1
	s_add_co_i32 s21, s1, -1
	s_cmp_eq_u32 s2, 0
	v_dual_mov_b32 v4, v35 :: v_dual_mov_b32 v5, v35
	s_cselect_b32 s0, ttmp9, s0
	v_dual_mov_b32 v6, v35 :: v_dual_mov_b32 v7, v35
	s_lshl_b32 s2, s0, 3
	v_dual_mov_b32 v8, v35 :: v_dual_mov_b32 v9, v35
	s_sub_co_i32 s22, s27, s2
	s_cmp_ge_u32 s0, s3
	v_dual_mov_b32 v10, v35 :: v_dual_mov_b32 v11, v35
	s_cselect_b32 s0, s22, 8
	s_ashr_i32 s3, s2, 31
	s_cmp_lg_u32 s25, 0x84
	v_cmp_gt_i32_e32 vcc_lo, s0, v0
	s_cselect_b32 s22, -1, 0
	s_cmp_gt_i32 s26, 0
	v_cmp_gt_i32_e64 s0, s1, v0
	s_cselect_b32 s25, -1, 0
	s_cmp_lg_u32 s24, 0x6f
	v_mov_b32_e32 v12, v35
	s_cselect_b32 s23, -1, 0
	s_lshl_b64 s[2:3], s[2:3], 3
	s_lshl_b64 s[16:17], s[16:17], 3
	v_or_b32_e32 v13, s2, v34
	s_add_nc_u64 s[10:11], s[10:11], s[16:17]
	v_dual_mov_b32 v16, v35 :: v_dual_mov_b32 v17, v35
	v_mov_b32_e32 v15, v35
	s_delay_alu instid0(VALU_DEP_3) | instskip(SKIP_2) | instid1(SALU_CYCLE_1)
	v_mad_nc_u64_u32 v[36:37], v13, s18, s[10:11]
	s_lshl_b64 s[10:11], s[12:13], 3
	s_lshl_b32 s12, s1, 6
	s_sub_co_i32 s24, s12, 64
	s_delay_alu instid0(VALU_DEP_1)
	v_mad_u32 v14, s3, s18, v37
	s_lshl_b64 s[2:3], s[8:9], 3
	s_add_nc_u64 s[8:9], s[6:7], s[10:11]
	s_and_b32 s18, vcc_lo, s25
	v_add_nc_u64_e32 v[0:1], s[8:9], v[34:35]
	s_lshl_b64 s[6:7], s[14:15], 3
	s_lshl_b64 s[10:11], s[28:29], 3
	s_get_pc_i64 s[8:9]
	s_add_nc_u64 s[8:9], s[8:9], __const._ZL38rocblas_trsm_small_left_device_sharedBILi8ELi8ELb0EddPKdPdEv13rocblas_fill_18rocblas_operation_17rocblas_diagonal_iiT3_T4_lilT5_lili.step_sizes@rel64+4
	s_delay_alu instid0(VALU_DEP_2)
	v_mad_u32 v37, v13, s30, v14
	v_dual_mov_b32 v13, v35 :: v_dual_mov_b32 v14, v35
	v_add_nc_u32_e32 v35, v34, v18
	s_branch .LBB72_3
.LBB72_2:                               ;   in Loop: Header=BB72_3 Depth=1
	s_or_b32 exec_lo, exec_lo, s12
	s_delay_alu instid0(VALU_DEP_1)
	v_mov_b64_e32 v[2:3], v[18:19]
	v_mov_b64_e32 v[4:5], v[20:21]
	;; [unrolled: 1-line block ×8, first 2 shown]
	s_add_co_i32 s20, s20, 0x10000
	s_delay_alu instid0(SALU_CYCLE_1)
	s_cmp_lt_u32 s20, s19
	s_cbranch_scc0 .LBB72_55
.LBB72_3:                               ; =>This Loop Header: Depth=1
                                        ;     Child Loop BB72_5 Depth 2
                                        ;     Child Loop BB72_11 Depth 2
	;; [unrolled: 1-line block ×3, first 2 shown]
                                        ;       Child Loop BB72_17 Depth 3
                                        ;         Child Loop BB72_18 Depth 4
                                        ;         Child Loop BB72_21 Depth 4
                                        ;           Child Loop BB72_22 Depth 5
                                        ;         Child Loop BB72_27 Depth 4
                                        ;           Child Loop BB72_29 Depth 5
                                        ;     Child Loop BB72_37 Depth 2
                                        ;       Child Loop BB72_38 Depth 3
                                        ;       Child Loop BB72_40 Depth 3
                                        ;         Child Loop BB72_41 Depth 4
                                        ;       Child Loop BB72_46 Depth 3
                                        ;         Child Loop BB72_48 Depth 4
                                        ;     Child Loop BB72_49 Depth 2
                                        ;     Child Loop BB72_54 Depth 2
	s_and_saveexec_b32 s12, s0
	s_cbranch_execz .LBB72_9
; %bb.4:                                ;   in Loop: Header=BB72_3 Depth=1
	v_mad_nc_u64_u32 v[18:19], s2, s20, v[0:1]
	v_mov_b32_e32 v20, v34
	s_mov_b32 s13, s1
	s_delay_alu instid0(VALU_DEP_2)
	v_mad_u32 v19, s3, s20, v19
.LBB72_5:                               ;   Parent Loop BB72_3 Depth=1
                                        ; =>  This Inner Loop Header: Depth=2
	global_load_b64 v[22:23], v[18:19], off
	s_wait_xcnt 0x0
	v_add_nc_u64_e32 v[18:19], s[6:7], v[18:19]
	s_add_co_i32 s13, s13, -1
	s_delay_alu instid0(SALU_CYCLE_1)
	s_cmp_eq_u32 s13, 0
	s_wait_loadcnt 0x0
	ds_store_b64 v20, v[22:23]
	v_add_nc_u32_e32 v20, 64, v20
	s_cbranch_scc0 .LBB72_5
; %bb.6:                                ;   in Loop: Header=BB72_3 Depth=1
	v_mov_b64_e32 v[18:19], 1.0
	s_and_b32 vcc_lo, exec_lo, s22
	s_cbranch_vccz .LBB72_8
; %bb.7:                                ;   in Loop: Header=BB72_3 Depth=1
	ds_load_b64 v[18:19], v35
	s_wait_dscnt 0x0
	v_div_scale_f64 v[20:21], null, v[18:19], v[18:19], 1.0
	s_delay_alu instid0(VALU_DEP_1) | instskip(SKIP_1) | instid1(TRANS32_DEP_1)
	v_rcp_f64_e32 v[22:23], v[20:21]
	v_nop
	v_fma_f64 v[24:25], -v[20:21], v[22:23], 1.0
	s_delay_alu instid0(VALU_DEP_1) | instskip(NEXT) | instid1(VALU_DEP_1)
	v_fmac_f64_e32 v[22:23], v[22:23], v[24:25]
	v_fma_f64 v[24:25], -v[20:21], v[22:23], 1.0
	s_delay_alu instid0(VALU_DEP_1) | instskip(SKIP_1) | instid1(VALU_DEP_1)
	v_fmac_f64_e32 v[22:23], v[22:23], v[24:25]
	v_div_scale_f64 v[24:25], vcc_lo, 1.0, v[18:19], 1.0
	v_mul_f64_e32 v[26:27], v[24:25], v[22:23]
	s_delay_alu instid0(VALU_DEP_1) | instskip(NEXT) | instid1(VALU_DEP_1)
	v_fma_f64 v[20:21], -v[20:21], v[26:27], v[24:25]
	v_div_fmas_f64 v[20:21], v[20:21], v[22:23], v[26:27]
	s_delay_alu instid0(VALU_DEP_1)
	v_div_fixup_f64 v[18:19], v[20:21], v[18:19], 1.0
.LBB72_8:                               ;   in Loop: Header=BB72_3 Depth=1
	ds_store_b64 v35, v[18:19]
.LBB72_9:                               ;   in Loop: Header=BB72_3 Depth=1
	s_or_b32 exec_lo, exec_lo, s12
	s_delay_alu instid0(VALU_DEP_3) | instskip(NEXT) | instid1(VALU_DEP_1)
	v_mad_nc_u64_u32 v[38:39], s10, s20, v[36:37]
	v_mad_u32 v39, s11, s20, v39
	s_and_saveexec_b32 s12, s18
	s_cbranch_execz .LBB72_12
; %bb.10:                               ;   in Loop: Header=BB72_3 Depth=1
	s_delay_alu instid0(VALU_DEP_1)
	v_mov_b64_e32 v[18:19], v[38:39]
	v_mov_b32_e32 v20, v42
	s_mov_b32 s13, s1
.LBB72_11:                              ;   Parent Loop BB72_3 Depth=1
                                        ; =>  This Inner Loop Header: Depth=2
	global_load_b64 v[22:23], v[18:19], off
	s_wait_xcnt 0x0
	v_add_nc_u64_e32 v[18:19], 8, v[18:19]
	s_add_co_i32 s13, s13, -1
	s_delay_alu instid0(SALU_CYCLE_1)
	s_cmp_lg_u32 s13, 0
	s_wait_loadcnt 0x0
	v_mul_f64_e32 v[22:23], s[4:5], v[22:23]
	ds_store_b64 v20, v[22:23]
	v_add_nc_u32_e32 v20, 64, v20
	s_cbranch_scc1 .LBB72_11
.LBB72_12:                              ;   in Loop: Header=BB72_3 Depth=1
	s_or_b32 exec_lo, exec_lo, s12
	s_delay_alu instid0(SALU_CYCLE_1)
	s_and_not1_b32 vcc_lo, exec_lo, s23
	s_mov_b32 s12, -1
	s_wait_dscnt 0x0
	; wave barrier
                                        ; implicit-def: $vgpr18_vgpr19_vgpr20_vgpr21_vgpr22_vgpr23_vgpr24_vgpr25_vgpr26_vgpr27_vgpr28_vgpr29_vgpr30_vgpr31_vgpr32_vgpr33
	s_cbranch_vccnz .LBB72_33
; %bb.13:                               ;   in Loop: Header=BB72_3 Depth=1
	v_mov_b64_e32 v[32:33], v[16:17]
	v_mov_b64_e32 v[30:31], v[14:15]
	;; [unrolled: 1-line block ×8, first 2 shown]
	s_wait_xcnt 0x0
	s_mov_b32 s26, 0
	s_mov_b32 s25, 0
.LBB72_14:                              ;   Parent Loop BB72_3 Depth=1
                                        ; =>  This Loop Header: Depth=2
                                        ;       Child Loop BB72_17 Depth 3
                                        ;         Child Loop BB72_18 Depth 4
                                        ;         Child Loop BB72_21 Depth 4
                                        ;           Child Loop BB72_22 Depth 5
                                        ;         Child Loop BB72_27 Depth 4
                                        ;           Child Loop BB72_29 Depth 5
	s_load_b32 s27, s[8:9], s26 offset:0x0 scale_offset
	s_wait_kmcnt 0x0
	s_add_co_i32 s28, s27, -1
	s_delay_alu instid0(SALU_CYCLE_1) | instskip(NEXT) | instid1(SALU_CYCLE_1)
	s_add_co_i32 s12, s28, s25
	s_cmp_ge_i32 s12, s1
	s_cbranch_scc1 .LBB72_30
; %bb.15:                               ;   in Loop: Header=BB72_14 Depth=2
	s_lshl_b32 s29, s25, 6
	s_max_i32 s30, s27, 1
	v_add_nc_u32_e32 v43, s29, v42
	s_lshl_b32 s31, s27, 6
	s_mul_i32 s33, s25, 0x48
	s_mul_i32 s34, s27, 0x48
	s_branch .LBB72_17
.LBB72_16:                              ;   in Loop: Header=BB72_17 Depth=3
	s_add_co_i32 s25, s25, s27
	v_add_nc_u32_e32 v43, s31, v43
	s_add_co_i32 s12, s28, s25
	s_add_co_i32 s29, s29, s31
	;; [unrolled: 1-line block ×3, first 2 shown]
	s_cmp_ge_i32 s12, s1
	s_cbranch_scc1 .LBB72_30
.LBB72_17:                              ;   Parent Loop BB72_3 Depth=1
                                        ;     Parent Loop BB72_14 Depth=2
                                        ; =>    This Loop Header: Depth=3
                                        ;         Child Loop BB72_18 Depth 4
                                        ;         Child Loop BB72_21 Depth 4
                                        ;           Child Loop BB72_22 Depth 5
                                        ;         Child Loop BB72_27 Depth 4
                                        ;           Child Loop BB72_29 Depth 5
	v_mov_b32_e32 v40, v43
	s_mov_b64 s[12:13], 0
.LBB72_18:                              ;   Parent Loop BB72_3 Depth=1
                                        ;     Parent Loop BB72_14 Depth=2
                                        ;       Parent Loop BB72_17 Depth=3
                                        ; =>      This Inner Loop Header: Depth=4
	ds_load_b64 v[44:45], v40
	v_add_nc_u32_e32 v40, 64, v40
	s_lshl_b32 m0, s12, 1
	s_add_nc_u64 s[12:13], s[12:13], 1
	s_delay_alu instid0(SALU_CYCLE_1)
	s_cmp_eq_u32 s30, s12
	s_wait_dscnt 0x0
	v_movreld_b32_e32 v18, v44
	v_movreld_b32_e32 v19, v45
	s_cbranch_scc0 .LBB72_18
; %bb.19:                               ;   in Loop: Header=BB72_17 Depth=3
	s_cmp_lt_i32 s25, 1
	s_cbranch_scc1 .LBB72_24
; %bb.20:                               ;   in Loop: Header=BB72_17 Depth=3
	s_mov_b32 s14, 0
	s_mov_b32 s15, s29
.LBB72_21:                              ;   Parent Loop BB72_3 Depth=1
                                        ;     Parent Loop BB72_14 Depth=2
                                        ;       Parent Loop BB72_17 Depth=3
                                        ; =>      This Loop Header: Depth=4
                                        ;           Child Loop BB72_22 Depth 5
	v_lshl_add_u32 v40, s14, 6, v42
	s_mov_b64 s[12:13], 0
	s_mov_b32 s16, s15
	ds_load_b64 v[40:41], v40
.LBB72_22:                              ;   Parent Loop BB72_3 Depth=1
                                        ;     Parent Loop BB72_14 Depth=2
                                        ;       Parent Loop BB72_17 Depth=3
                                        ;         Parent Loop BB72_21 Depth=4
                                        ; =>        This Inner Loop Header: Depth=5
	v_mov_b32_e32 v44, s16
	s_lshl_b32 m0, s12, 1
	s_add_nc_u64 s[12:13], s[12:13], 1
	v_movrels_b32_e32 v47, v19
	v_movrels_b32_e32 v46, v18
	ds_load_b64 v[44:45], v44
	s_add_co_i32 s16, s16, 64
	s_cmp_eq_u32 s30, s12
	s_wait_dscnt 0x0
	v_fma_f64 v[44:45], -v[40:41], v[44:45], v[46:47]
	s_delay_alu instid0(VALU_DEP_1) | instskip(NEXT) | instid1(VALU_DEP_2)
	v_movreld_b32_e32 v18, v44
	v_movreld_b32_e32 v19, v45
	s_cbranch_scc0 .LBB72_22
; %bb.23:                               ;   in Loop: Header=BB72_21 Depth=4
	s_add_co_i32 s14, s14, 1
	s_add_co_i32 s15, s15, 8
	s_cmp_eq_u32 s14, s25
	s_cbranch_scc0 .LBB72_21
.LBB72_24:                              ;   in Loop: Header=BB72_17 Depth=3
	s_lshl_b32 s35, s25, 6
	s_mov_b64 s[12:13], 0
	s_mov_b32 s36, s33
	s_branch .LBB72_27
.LBB72_25:                              ;   in Loop: Header=BB72_27 Depth=4
	s_mov_b32 s38, s25
	s_mov_b64 s[14:15], 0
	s_mov_b32 s37, s35
.LBB72_26:                              ;   in Loop: Header=BB72_27 Depth=4
	s_mul_i32 s15, s38, 0x48
	s_lshl_b32 m0, s14, 1
	v_mov_b32_e32 v40, s15
	v_movrels_b32_e32 v45, v19
	v_movrels_b32_e32 v44, v18
	s_add_nc_u64 s[12:13], s[12:13], 1
	s_add_co_i32 s36, s36, 64
	ds_load_b64 v[40:41], v40
	s_cmp_eq_u32 s12, s30
	s_wait_dscnt 0x0
	v_dual_mul_f64 v[40:41], v[44:45], v[40:41] :: v_dual_add_nc_u32 v44, s37, v42
	s_delay_alu instid0(VALU_DEP_1) | instskip(NEXT) | instid1(VALU_DEP_2)
	v_movreld_b32_e32 v18, v40
	v_movreld_b32_e32 v19, v41
	ds_store_b64 v44, v[40:41]
	s_cbranch_scc1 .LBB72_16
.LBB72_27:                              ;   Parent Loop BB72_3 Depth=1
                                        ;     Parent Loop BB72_14 Depth=2
                                        ;       Parent Loop BB72_17 Depth=3
                                        ; =>      This Loop Header: Depth=4
                                        ;           Child Loop BB72_29 Depth 5
	s_cmp_eq_u32 s12, 0
	s_cbranch_scc1 .LBB72_25
; %bb.28:                               ;   in Loop: Header=BB72_27 Depth=4
	s_add_co_i32 s38, s12, s25
	s_mov_b64 s[14:15], s[12:13]
	s_mov_b64 s[16:17], 0
	s_lshl_b32 s37, s38, 6
	s_lshl_b32 s15, s12, 1
	s_mov_b32 s39, s36
.LBB72_29:                              ;   Parent Loop BB72_3 Depth=1
                                        ;     Parent Loop BB72_14 Depth=2
                                        ;       Parent Loop BB72_17 Depth=3
                                        ;         Parent Loop BB72_27 Depth=4
                                        ; =>        This Inner Loop Header: Depth=5
	s_delay_alu instid0(SALU_CYCLE_1)
	v_mov_b32_e32 v40, s39
	s_lshl_b32 m0, s16, 1
	s_add_nc_u64 s[16:17], s[16:17], 1
	v_movrels_b32_e32 v45, v19
	v_movrels_b32_e32 v44, v18
	ds_load_b64 v[40:41], v40
	s_mov_b32 m0, s15
	s_add_co_i32 s39, s39, 8
	v_movrels_b32_e32 v47, v19
	v_movrels_b32_e32 v46, v18
	s_cmp_eq_u32 s12, s16
	s_wait_dscnt 0x0
	s_delay_alu instid0(VALU_DEP_1) | instskip(NEXT) | instid1(VALU_DEP_1)
	v_fma_f64 v[40:41], -v[44:45], v[40:41], v[46:47]
	v_movreld_b32_e32 v18, v40
	s_delay_alu instid0(VALU_DEP_2)
	v_movreld_b32_e32 v19, v41
	s_cbranch_scc0 .LBB72_29
	s_branch .LBB72_26
.LBB72_30:                              ;   in Loop: Header=BB72_14 Depth=2
	s_cmp_lt_i32 s25, s1
	s_cselect_b32 s13, -1, 0
	s_add_co_i32 s12, s26, 1
	s_cmp_lt_u32 s26, 2
	s_cselect_b32 s14, -1, 0
	s_delay_alu instid0(SALU_CYCLE_1) | instskip(NEXT) | instid1(SALU_CYCLE_1)
	s_and_b32 s13, s13, s14
	s_and_b32 vcc_lo, exec_lo, s13
	s_cbranch_vccz .LBB72_32
; %bb.31:                               ;   in Loop: Header=BB72_14 Depth=2
	s_wait_xcnt 0x0
	s_mov_b32 s26, s12
	s_branch .LBB72_14
.LBB72_32:                              ;   in Loop: Header=BB72_3 Depth=1
	s_mov_b32 s12, 0
.LBB72_33:                              ;   in Loop: Header=BB72_3 Depth=1
	s_delay_alu instid0(SALU_CYCLE_1)
	s_and_b32 vcc_lo, exec_lo, s12
	s_cbranch_vccz .LBB72_52
; %bb.34:                               ;   in Loop: Header=BB72_3 Depth=1
	s_wait_xcnt 0x0
	s_mov_b32 s26, 0
	s_mov_b32 s25, s21
	s_load_b32 s27, s[8:9], s26 offset:0x0 scale_offset
	s_wait_kmcnt 0x0
	s_add_co_i32 s28, s27, -1
	s_delay_alu instid0(SALU_CYCLE_1)
	s_cmp_lt_i32 s25, s28
	s_cbranch_scc1 .LBB72_49
.LBB72_35:                              ;   in Loop: Header=BB72_3 Depth=1
	s_lshl_b32 s12, s27, 6
	v_lshl_add_u32 v20, s25, 6, v42
	s_sub_co_i32 s30, 0, s12
	s_lshl_b32 s12, s25, 3
	s_lshl_b32 s13, s27, 3
	s_max_i32 s29, s27, 1
	s_add_co_i32 s31, s24, s12
	s_sub_co_i32 s33, 0, s13
	s_mul_i32 s34, s25, 0x48
	s_mul_i32 s35, s27, 0xffffffb8
	s_branch .LBB72_37
.LBB72_36:                              ;   in Loop: Header=BB72_37 Depth=2
	v_add_nc_u32_e32 v20, s30, v20
	s_sub_co_i32 s25, s25, s27
	s_add_co_i32 s31, s31, s33
	s_add_co_i32 s34, s34, s35
	s_cmp_lt_i32 s25, s28
	s_cbranch_scc1 .LBB72_49
.LBB72_37:                              ;   Parent Loop BB72_3 Depth=1
                                        ; =>  This Loop Header: Depth=2
                                        ;       Child Loop BB72_38 Depth 3
                                        ;       Child Loop BB72_40 Depth 3
                                        ;         Child Loop BB72_41 Depth 4
                                        ;       Child Loop BB72_46 Depth 3
                                        ;         Child Loop BB72_48 Depth 4
	v_mov_b32_e32 v18, v20
	s_mov_b64 s[12:13], 0
.LBB72_38:                              ;   Parent Loop BB72_3 Depth=1
                                        ;     Parent Loop BB72_37 Depth=2
                                        ; =>    This Inner Loop Header: Depth=3
	ds_load_b64 v[22:23], v18
	v_subrev_nc_u32_e32 v18, 64, v18
	s_lshl_b32 m0, s12, 1
	s_add_nc_u64 s[12:13], s[12:13], 1
	s_delay_alu instid0(SALU_CYCLE_1)
	s_cmp_eq_u32 s29, s12
	s_wait_dscnt 0x0
	v_movreld_b32_e32 v2, v22
	v_movreld_b32_e32 v3, v23
	s_cbranch_scc0 .LBB72_38
; %bb.39:                               ;   in Loop: Header=BB72_37 Depth=2
	s_cmp_le_i32 s21, s25
	s_mov_b32 s14, s31
	s_mov_b32 s15, s21
	s_cbranch_scc1 .LBB72_43
.LBB72_40:                              ;   Parent Loop BB72_3 Depth=1
                                        ;     Parent Loop BB72_37 Depth=2
                                        ; =>    This Loop Header: Depth=3
                                        ;         Child Loop BB72_41 Depth 4
	v_lshl_add_u32 v18, s15, 6, v42
	s_mov_b64 s[12:13], 0
	s_mov_b32 s16, s14
	ds_load_b64 v[18:19], v18
.LBB72_41:                              ;   Parent Loop BB72_3 Depth=1
                                        ;     Parent Loop BB72_37 Depth=2
                                        ;       Parent Loop BB72_40 Depth=3
                                        ; =>      This Inner Loop Header: Depth=4
	s_lshl_b32 m0, s12, 1
	s_add_nc_u64 s[12:13], s[12:13], 1
	v_movrels_b32_e32 v25, v3
	v_movrels_b32_e32 v24, v2
	v_mov_b32_e32 v21, s16
	s_add_co_i32 s16, s16, -8
	s_cmp_eq_u32 s29, s12
	ds_load_b64 v[22:23], v21
	s_wait_dscnt 0x0
	v_fma_f64 v[22:23], -v[18:19], v[22:23], v[24:25]
	s_delay_alu instid0(VALU_DEP_1) | instskip(NEXT) | instid1(VALU_DEP_2)
	v_movreld_b32_e32 v2, v22
	v_movreld_b32_e32 v3, v23
	s_cbranch_scc0 .LBB72_41
; %bb.42:                               ;   in Loop: Header=BB72_40 Depth=3
	s_add_co_i32 s15, s15, -1
	s_sub_co_i32 s14, s14, 64
	s_cmp_le_i32 s15, s25
	s_cbranch_scc0 .LBB72_40
.LBB72_43:                              ;   in Loop: Header=BB72_37 Depth=2
	s_mov_b64 s[12:13], 0
	s_mov_b32 s36, s34
	s_branch .LBB72_46
.LBB72_44:                              ;   in Loop: Header=BB72_46 Depth=3
	s_mov_b32 s37, s25
	s_mov_b64 s[14:15], 0
.LBB72_45:                              ;   in Loop: Header=BB72_46 Depth=3
	s_mul_i32 s15, s37, 0x48
	s_lshl_b32 m0, s14, 1
	v_mov_b32_e32 v18, s15
	v_movrels_b32_e32 v23, v3
	v_movrels_b32_e32 v22, v2
	v_lshl_add_u32 v21, s37, 6, v42
	s_add_nc_u64 s[12:13], s[12:13], 1
	ds_load_b64 v[18:19], v18
	s_add_co_i32 s36, s36, -8
	s_cmp_eq_u32 s12, s29
	s_wait_dscnt 0x0
	v_mul_f64_e32 v[18:19], v[22:23], v[18:19]
	s_delay_alu instid0(VALU_DEP_1) | instskip(NEXT) | instid1(VALU_DEP_2)
	v_movreld_b32_e32 v2, v18
	v_movreld_b32_e32 v3, v19
	ds_store_b64 v21, v[18:19]
	s_cbranch_scc1 .LBB72_36
.LBB72_46:                              ;   Parent Loop BB72_3 Depth=1
                                        ;     Parent Loop BB72_37 Depth=2
                                        ; =>    This Loop Header: Depth=3
                                        ;         Child Loop BB72_48 Depth 4
	s_cmp_eq_u32 s12, 0
	s_cbranch_scc1 .LBB72_44
; %bb.47:                               ;   in Loop: Header=BB72_46 Depth=3
	s_mov_b64 s[14:15], s[12:13]
	s_sub_co_i32 s37, s25, s12
	s_mov_b64 s[16:17], 0
	s_lshl_b32 s15, s12, 1
	s_mov_b32 s38, s36
.LBB72_48:                              ;   Parent Loop BB72_3 Depth=1
                                        ;     Parent Loop BB72_37 Depth=2
                                        ;       Parent Loop BB72_46 Depth=3
                                        ; =>      This Inner Loop Header: Depth=4
	s_delay_alu instid0(SALU_CYCLE_1)
	v_mov_b32_e32 v18, s38
	s_lshl_b32 m0, s16, 1
	s_add_nc_u64 s[16:17], s[16:17], 1
	v_movrels_b32_e32 v23, v3
	v_movrels_b32_e32 v22, v2
	ds_load_b64 v[18:19], v18
	s_mov_b32 m0, s15
	s_sub_co_i32 s38, s38, 64
	v_movrels_b32_e32 v25, v3
	v_movrels_b32_e32 v24, v2
	s_cmp_eq_u32 s12, s16
	s_wait_dscnt 0x0
	s_delay_alu instid0(VALU_DEP_1) | instskip(NEXT) | instid1(VALU_DEP_1)
	v_fma_f64 v[18:19], -v[22:23], v[18:19], v[24:25]
	v_movreld_b32_e32 v2, v18
	s_delay_alu instid0(VALU_DEP_2)
	v_movreld_b32_e32 v3, v19
	s_cbranch_scc0 .LBB72_48
	s_branch .LBB72_45
.LBB72_49:                              ;   Parent Loop BB72_3 Depth=1
                                        ; =>  This Inner Loop Header: Depth=2
	s_cmp_gt_i32 s25, -1
	s_cselect_b32 s13, -1, 0
	s_add_co_i32 s12, s26, 1
	s_cmp_lt_u32 s26, 2
	s_cselect_b32 s14, -1, 0
	s_delay_alu instid0(SALU_CYCLE_1) | instskip(NEXT) | instid1(SALU_CYCLE_1)
	s_and_b32 s13, s13, s14
	s_and_not1_b32 vcc_lo, exec_lo, s13
	s_cbranch_vccnz .LBB72_51
; %bb.50:                               ;   in Loop: Header=BB72_49 Depth=2
	s_wait_xcnt 0x0
	s_mov_b32 s26, s12
	s_load_b32 s27, s[8:9], s26 offset:0x0 scale_offset
	s_wait_kmcnt 0x0
	s_add_co_i32 s28, s27, -1
	s_delay_alu instid0(SALU_CYCLE_1)
	s_cmp_lt_i32 s25, s28
	s_cbranch_scc0 .LBB72_35
	s_branch .LBB72_49
.LBB72_51:                              ;   in Loop: Header=BB72_3 Depth=1
	v_mov_b64_e32 v[32:33], v[16:17]
	v_mov_b64_e32 v[30:31], v[14:15]
	;; [unrolled: 1-line block ×8, first 2 shown]
.LBB72_52:                              ;   in Loop: Header=BB72_3 Depth=1
	s_wait_dscnt 0x0
	; wave barrier
	s_and_saveexec_b32 s12, s18
	s_cbranch_execz .LBB72_2
; %bb.53:                               ;   in Loop: Header=BB72_3 Depth=1
	v_mov_b32_e32 v2, v42
	s_mov_b32 s13, s1
.LBB72_54:                              ;   Parent Loop BB72_3 Depth=1
                                        ; =>  This Inner Loop Header: Depth=2
	ds_load_b64 v[4:5], v2
	v_add_nc_u32_e32 v2, 64, v2
	s_add_co_i32 s13, s13, -1
	s_delay_alu instid0(SALU_CYCLE_1)
	s_cmp_lg_u32 s13, 0
	s_wait_dscnt 0x0
	global_store_b64 v[38:39], v[4:5], off
	s_wait_xcnt 0x0
	v_add_nc_u64_e32 v[38:39], 8, v[38:39]
	s_cbranch_scc1 .LBB72_54
	s_branch .LBB72_2
.LBB72_55:
	s_endpgm
	.section	.rodata,"a",@progbits
	.p2align	6, 0x0
	.amdhsa_kernel _ZL38rocblas_trsm_small_left_device_sharedBILi8ELi8ELb0EddPKdPdEv13rocblas_fill_18rocblas_operation_17rocblas_diagonal_iiT3_T4_lilT5_lili
		.amdhsa_group_segment_fixed_size 1024
		.amdhsa_private_segment_fixed_size 0
		.amdhsa_kernarg_size 360
		.amdhsa_user_sgpr_count 2
		.amdhsa_user_sgpr_dispatch_ptr 0
		.amdhsa_user_sgpr_queue_ptr 0
		.amdhsa_user_sgpr_kernarg_segment_ptr 1
		.amdhsa_user_sgpr_dispatch_id 0
		.amdhsa_user_sgpr_kernarg_preload_length 0
		.amdhsa_user_sgpr_kernarg_preload_offset 0
		.amdhsa_user_sgpr_private_segment_size 0
		.amdhsa_wavefront_size32 1
		.amdhsa_uses_dynamic_stack 0
		.amdhsa_enable_private_segment 0
		.amdhsa_system_sgpr_workgroup_id_x 1
		.amdhsa_system_sgpr_workgroup_id_y 0
		.amdhsa_system_sgpr_workgroup_id_z 1
		.amdhsa_system_sgpr_workgroup_info 0
		.amdhsa_system_vgpr_workitem_id 0
		.amdhsa_next_free_vgpr 48
		.amdhsa_next_free_sgpr 40
		.amdhsa_named_barrier_count 0
		.amdhsa_reserve_vcc 1
		.amdhsa_float_round_mode_32 0
		.amdhsa_float_round_mode_16_64 0
		.amdhsa_float_denorm_mode_32 3
		.amdhsa_float_denorm_mode_16_64 3
		.amdhsa_fp16_overflow 0
		.amdhsa_memory_ordered 1
		.amdhsa_forward_progress 1
		.amdhsa_inst_pref_size 17
		.amdhsa_round_robin_scheduling 0
		.amdhsa_exception_fp_ieee_invalid_op 0
		.amdhsa_exception_fp_denorm_src 0
		.amdhsa_exception_fp_ieee_div_zero 0
		.amdhsa_exception_fp_ieee_overflow 0
		.amdhsa_exception_fp_ieee_underflow 0
		.amdhsa_exception_fp_ieee_inexact 0
		.amdhsa_exception_int_div_zero 0
	.end_amdhsa_kernel
	.section	.text._ZL38rocblas_trsm_small_left_device_sharedBILi8ELi8ELb0EddPKdPdEv13rocblas_fill_18rocblas_operation_17rocblas_diagonal_iiT3_T4_lilT5_lili,"axG",@progbits,_ZL38rocblas_trsm_small_left_device_sharedBILi8ELi8ELb0EddPKdPdEv13rocblas_fill_18rocblas_operation_17rocblas_diagonal_iiT3_T4_lilT5_lili,comdat
.Lfunc_end72:
	.size	_ZL38rocblas_trsm_small_left_device_sharedBILi8ELi8ELb0EddPKdPdEv13rocblas_fill_18rocblas_operation_17rocblas_diagonal_iiT3_T4_lilT5_lili, .Lfunc_end72-_ZL38rocblas_trsm_small_left_device_sharedBILi8ELi8ELb0EddPKdPdEv13rocblas_fill_18rocblas_operation_17rocblas_diagonal_iiT3_T4_lilT5_lili
                                        ; -- End function
	.set _ZL38rocblas_trsm_small_left_device_sharedBILi8ELi8ELb0EddPKdPdEv13rocblas_fill_18rocblas_operation_17rocblas_diagonal_iiT3_T4_lilT5_lili.num_vgpr, 48
	.set _ZL38rocblas_trsm_small_left_device_sharedBILi8ELi8ELb0EddPKdPdEv13rocblas_fill_18rocblas_operation_17rocblas_diagonal_iiT3_T4_lilT5_lili.num_agpr, 0
	.set _ZL38rocblas_trsm_small_left_device_sharedBILi8ELi8ELb0EddPKdPdEv13rocblas_fill_18rocblas_operation_17rocblas_diagonal_iiT3_T4_lilT5_lili.numbered_sgpr, 40
	.set _ZL38rocblas_trsm_small_left_device_sharedBILi8ELi8ELb0EddPKdPdEv13rocblas_fill_18rocblas_operation_17rocblas_diagonal_iiT3_T4_lilT5_lili.num_named_barrier, 0
	.set _ZL38rocblas_trsm_small_left_device_sharedBILi8ELi8ELb0EddPKdPdEv13rocblas_fill_18rocblas_operation_17rocblas_diagonal_iiT3_T4_lilT5_lili.private_seg_size, 0
	.set _ZL38rocblas_trsm_small_left_device_sharedBILi8ELi8ELb0EddPKdPdEv13rocblas_fill_18rocblas_operation_17rocblas_diagonal_iiT3_T4_lilT5_lili.uses_vcc, 1
	.set _ZL38rocblas_trsm_small_left_device_sharedBILi8ELi8ELb0EddPKdPdEv13rocblas_fill_18rocblas_operation_17rocblas_diagonal_iiT3_T4_lilT5_lili.uses_flat_scratch, 0
	.set _ZL38rocblas_trsm_small_left_device_sharedBILi8ELi8ELb0EddPKdPdEv13rocblas_fill_18rocblas_operation_17rocblas_diagonal_iiT3_T4_lilT5_lili.has_dyn_sized_stack, 0
	.set _ZL38rocblas_trsm_small_left_device_sharedBILi8ELi8ELb0EddPKdPdEv13rocblas_fill_18rocblas_operation_17rocblas_diagonal_iiT3_T4_lilT5_lili.has_recursion, 0
	.set _ZL38rocblas_trsm_small_left_device_sharedBILi8ELi8ELb0EddPKdPdEv13rocblas_fill_18rocblas_operation_17rocblas_diagonal_iiT3_T4_lilT5_lili.has_indirect_call, 0
	.section	.AMDGPU.csdata,"",@progbits
; Kernel info:
; codeLenInByte = 2160
; TotalNumSgprs: 42
; NumVgprs: 48
; ScratchSize: 0
; MemoryBound: 0
; FloatMode: 240
; IeeeMode: 1
; LDSByteSize: 1024 bytes/workgroup (compile time only)
; SGPRBlocks: 0
; VGPRBlocks: 2
; NumSGPRsForWavesPerEU: 42
; NumVGPRsForWavesPerEU: 48
; NamedBarCnt: 0
; Occupancy: 16
; WaveLimiterHint : 0
; COMPUTE_PGM_RSRC2:SCRATCH_EN: 0
; COMPUTE_PGM_RSRC2:USER_SGPR: 2
; COMPUTE_PGM_RSRC2:TRAP_HANDLER: 0
; COMPUTE_PGM_RSRC2:TGID_X_EN: 1
; COMPUTE_PGM_RSRC2:TGID_Y_EN: 0
; COMPUTE_PGM_RSRC2:TGID_Z_EN: 1
; COMPUTE_PGM_RSRC2:TIDIG_COMP_CNT: 0
	.section	.text._ZL30rocblas_trsm_small_left_deviceILi8ELi8ELb0EddPKdPdEv13rocblas_fill_18rocblas_operation_17rocblas_diagonal_iiT3_T4_lilT5_lili,"axG",@progbits,_ZL30rocblas_trsm_small_left_deviceILi8ELi8ELb0EddPKdPdEv13rocblas_fill_18rocblas_operation_17rocblas_diagonal_iiT3_T4_lilT5_lili,comdat
	.globl	_ZL30rocblas_trsm_small_left_deviceILi8ELi8ELb0EddPKdPdEv13rocblas_fill_18rocblas_operation_17rocblas_diagonal_iiT3_T4_lilT5_lili ; -- Begin function _ZL30rocblas_trsm_small_left_deviceILi8ELi8ELb0EddPKdPdEv13rocblas_fill_18rocblas_operation_17rocblas_diagonal_iiT3_T4_lilT5_lili
	.p2align	8
	.type	_ZL30rocblas_trsm_small_left_deviceILi8ELi8ELb0EddPKdPdEv13rocblas_fill_18rocblas_operation_17rocblas_diagonal_iiT3_T4_lilT5_lili,@function
_ZL30rocblas_trsm_small_left_deviceILi8ELi8ELb0EddPKdPdEv13rocblas_fill_18rocblas_operation_17rocblas_diagonal_iiT3_T4_lilT5_lili: ; @_ZL30rocblas_trsm_small_left_deviceILi8ELi8ELb0EddPKdPdEv13rocblas_fill_18rocblas_operation_17rocblas_diagonal_iiT3_T4_lilT5_lili
; %bb.0:
	s_load_b32 s33, s[0:1], 0x60
	s_bfe_u32 s2, ttmp6, 0x40014
	s_lshr_b32 s4, ttmp7, 16
	s_add_co_i32 s2, s2, 1
	s_bfe_u32 s5, ttmp6, 0x40008
	s_mul_i32 s2, s4, s2
	s_getreg_b32 s3, hwreg(HW_REG_IB_STS2, 6, 4)
	s_add_co_i32 s5, s5, s2
	s_cmp_eq_u32 s3, 0
	s_mov_b32 s19, 0
	s_cselect_b32 s2, s4, s5
	s_wait_kmcnt 0x0
	s_cmp_ge_u32 s2, s33
	s_cbranch_scc1 .LBB73_52
; %bb.1:
	s_clause 0x4
	s_load_b96 s[16:18], s[0:1], 0x28
	s_load_b96 s[20:22], s[0:1], 0x48
	s_load_b128 s[8:11], s[0:1], 0x4
	s_load_b32 s28, s[0:1], 0x68
	s_load_b64 s[24:25], s[0:1], 0x58
	s_bfe_u32 s12, ttmp6, 0x4000c
	s_and_b32 s23, ttmp6, 15
	s_add_co_i32 s12, s12, 1
	s_load_b128 s[4:7], s[0:1], 0x18
	s_mul_i32 s26, ttmp9, s12
	s_load_b128 s[12:15], s[0:1], 0x38
	s_wait_xcnt 0x0
	s_add_co_i32 s0, s23, s26
	v_dual_lshlrev_b32 v34, 3, v0 :: v_dual_lshlrev_b32 v20, 6, v0
	s_mov_b32 s41, 0
	v_mov_b32_e32 v35, 0
	s_wait_kmcnt 0x0
	s_ashr_i32 s23, s18, 31
	s_ashr_i32 s1, s22, 31
	s_min_i32 s36, s10, 8
	s_lshl_b64 s[26:27], s[20:21], 3
	s_add_co_i32 s28, s28, -1
	s_add_co_i32 s37, s36, -1
	s_cmp_eq_u32 s3, 0
	s_get_pc_i64 s[20:21]
	s_add_nc_u64 s[20:21], s[20:21], __const._ZL30rocblas_trsm_small_left_deviceILi8ELi8ELb0EddPKdPdEv13rocblas_fill_18rocblas_operation_17rocblas_diagonal_iiT3_T4_lilT5_lili.step_sizes@rel64+4
	s_cselect_b32 s3, ttmp9, s0
	s_mov_b32 s0, s22
	s_lshl_b32 s10, s3, 3
	s_add_nc_u64 s[14:15], s[14:15], s[26:27]
	v_or_b32_e32 v4, s10, v0
	s_mov_b32 s22, s18
	v_dual_mov_b32 v2, v35 :: v_dual_mov_b32 v3, v35
	v_dual_mov_b32 v7, v35 :: v_dual_mov_b32 v8, v35
	s_delay_alu instid0(VALU_DEP_3) | instskip(SKIP_2) | instid1(VALU_DEP_3)
	v_dual_ashrrev_i32 v5, 31, v4 :: v_dual_mov_b32 v9, v35
	v_dual_mov_b32 v10, v35 :: v_dual_mov_b32 v6, v35
	v_dual_mov_b32 v11, v35 :: v_dual_mov_b32 v12, v35
	v_mul_u64_e32 v[18:19], s[0:1], v[4:5]
	s_sub_co_i32 s0, s11, s10
	s_cmp_ge_u32 s3, s28
	v_mov_b32_e32 v4, v35
	s_cselect_b32 s1, s0, 8
	s_cmp_lg_u32 s9, 0x84
	v_cmp_gt_i32_e64 s0, s36, v0
	s_cselect_b32 s38, -1, 0
	s_cmp_lg_u32 s8, 0x6f
	v_cmp_gt_i32_e64 s1, s1, v0
	s_cselect_b32 s39, -1, 0
	s_lshl_b64 s[16:17], s[16:17], 3
	v_mov_b32_e32 v5, v35
	s_add_nc_u64 s[6:7], s[6:7], s[16:17]
	v_dual_mov_b32 v13, v35 :: v_dual_mov_b32 v14, v35
	v_add_nc_u64_e32 v[0:1], s[6:7], v[34:35]
	v_dual_mov_b32 v15, v35 :: v_dual_mov_b32 v16, v35
	v_dual_mov_b32 v17, v35 :: v_dual_add_nc_u32 v35, v34, v20
	s_lshl_b32 s3, s36, 6
	s_lshl_b64 s[8:9], s[12:13], 3
	s_lshl_b64 s[10:11], s[22:23], 3
	;; [unrolled: 1-line block ×3, first 2 shown]
	s_sub_co_i32 s40, s3, 64
	v_lshl_add_u64 v[36:37], v[18:19], 3, s[14:15]
	s_branch .LBB73_5
.LBB73_2:                               ;   in Loop: Header=BB73_5 Depth=1
	s_wait_xcnt 0x0
	v_mov_b64_e32 v[32:33], v[16:17]
	v_mov_b64_e32 v[30:31], v[14:15]
	;; [unrolled: 1-line block ×8, first 2 shown]
.LBB73_3:                               ;   in Loop: Header=BB73_5 Depth=1
	s_add_co_i32 s2, s2, 0x10000
	s_delay_alu instid0(SALU_CYCLE_1) | instskip(SKIP_1) | instid1(SALU_CYCLE_1)
	s_cmp_ge_u32 s2, s33
	s_cselect_b32 s3, -1, 0
	s_or_not1_b32 s12, s3, exec_lo
.LBB73_4:                               ;   in Loop: Header=BB73_5 Depth=1
	s_wait_xcnt 0x0
	s_or_b32 exec_lo, exec_lo, s42
	v_mov_b64_e32 v[2:3], v[18:19]
	v_mov_b64_e32 v[4:5], v[20:21]
	;; [unrolled: 1-line block ×8, first 2 shown]
	s_and_b32 s3, exec_lo, s12
	s_delay_alu instid0(SALU_CYCLE_1) | instskip(NEXT) | instid1(SALU_CYCLE_1)
	s_or_b32 s41, s3, s41
	s_and_not1_b32 exec_lo, exec_lo, s41
	s_cbranch_execz .LBB73_52
.LBB73_5:                               ; =>This Loop Header: Depth=1
                                        ;     Child Loop BB73_7 Depth 2
                                        ;     Child Loop BB73_14 Depth 2
                                        ;       Child Loop BB73_17 Depth 3
                                        ;         Child Loop BB73_18 Depth 4
                                        ;         Child Loop BB73_21 Depth 4
                                        ;           Child Loop BB73_22 Depth 5
                                        ;         Child Loop BB73_27 Depth 4
                                        ;           Child Loop BB73_29 Depth 5
                                        ;     Child Loop BB73_37 Depth 2
                                        ;       Child Loop BB73_38 Depth 3
                                        ;       Child Loop BB73_40 Depth 3
                                        ;         Child Loop BB73_41 Depth 4
                                        ;       Child Loop BB73_46 Depth 3
                                        ;         Child Loop BB73_48 Depth 4
                                        ;     Child Loop BB73_50 Depth 2
	s_mov_b32 s3, s19
	s_and_saveexec_b32 s12, s0
	s_cbranch_execz .LBB73_11
; %bb.6:                                ;   in Loop: Header=BB73_5 Depth=1
	v_mad_nc_u64_u32 v[18:19], s8, s2, v[0:1]
	v_mov_b32_e32 v20, v34
	s_mov_b32 s13, s36
	s_delay_alu instid0(VALU_DEP_2)
	v_mad_u32 v19, s9, s2, v19
.LBB73_7:                               ;   Parent Loop BB73_5 Depth=1
                                        ; =>  This Inner Loop Header: Depth=2
	global_load_b64 v[22:23], v[18:19], off
	s_wait_xcnt 0x0
	v_add_nc_u64_e32 v[18:19], s[10:11], v[18:19]
	s_add_co_i32 s13, s13, -1
	s_delay_alu instid0(SALU_CYCLE_1)
	s_cmp_eq_u32 s13, 0
	s_wait_loadcnt 0x0
	ds_store_b64 v20, v[22:23]
	v_add_nc_u32_e32 v20, 64, v20
	s_cbranch_scc0 .LBB73_7
; %bb.8:                                ;   in Loop: Header=BB73_5 Depth=1
	v_mov_b64_e32 v[18:19], 1.0
	s_and_b32 vcc_lo, exec_lo, s38
	s_cbranch_vccz .LBB73_10
; %bb.9:                                ;   in Loop: Header=BB73_5 Depth=1
	ds_load_b64 v[18:19], v35
	s_wait_dscnt 0x0
	v_div_scale_f64 v[20:21], null, v[18:19], v[18:19], 1.0
	s_delay_alu instid0(VALU_DEP_1) | instskip(SKIP_1) | instid1(TRANS32_DEP_1)
	v_rcp_f64_e32 v[22:23], v[20:21]
	v_nop
	v_fma_f64 v[24:25], -v[20:21], v[22:23], 1.0
	s_delay_alu instid0(VALU_DEP_1) | instskip(NEXT) | instid1(VALU_DEP_1)
	v_fmac_f64_e32 v[22:23], v[22:23], v[24:25]
	v_fma_f64 v[24:25], -v[20:21], v[22:23], 1.0
	s_delay_alu instid0(VALU_DEP_1) | instskip(SKIP_1) | instid1(VALU_DEP_1)
	v_fmac_f64_e32 v[22:23], v[22:23], v[24:25]
	v_div_scale_f64 v[24:25], vcc_lo, 1.0, v[18:19], 1.0
	v_mul_f64_e32 v[26:27], v[24:25], v[22:23]
	s_delay_alu instid0(VALU_DEP_1) | instskip(NEXT) | instid1(VALU_DEP_1)
	v_fma_f64 v[20:21], -v[20:21], v[26:27], v[24:25]
	v_div_fmas_f64 v[20:21], v[20:21], v[22:23], v[26:27]
	s_delay_alu instid0(VALU_DEP_1)
	v_div_fixup_f64 v[18:19], v[20:21], v[18:19], 1.0
.LBB73_10:                              ;   in Loop: Header=BB73_5 Depth=1
	ds_store_b64 v35, v[18:19]
.LBB73_11:                              ;   in Loop: Header=BB73_5 Depth=1
	s_or_b32 exec_lo, exec_lo, s12
	s_mov_b32 s12, -1
	s_wait_dscnt 0x0
	; wave barrier
                                        ; implicit-def: $vgpr18_vgpr19_vgpr20_vgpr21_vgpr22_vgpr23_vgpr24_vgpr25_vgpr26_vgpr27_vgpr28_vgpr29_vgpr30_vgpr31_vgpr32_vgpr33
	s_and_saveexec_b32 s42, s1
	s_cbranch_execz .LBB73_4
; %bb.12:                               ;   in Loop: Header=BB73_5 Depth=1
	s_mul_u64 s[12:13], s[24:25], s[2:3]
	s_and_not1_b32 vcc_lo, exec_lo, s39
	v_lshl_add_u64 v[38:39], s[12:13], 3, v[36:37]
	s_mul_u64 s[12:13], s[6:7], s[2:3]
	s_mov_b32 s3, -1
                                        ; implicit-def: $vgpr18_vgpr19_vgpr20_vgpr21_vgpr22_vgpr23_vgpr24_vgpr25_vgpr26_vgpr27_vgpr28_vgpr29_vgpr30_vgpr31_vgpr32_vgpr33
	s_cbranch_vccnz .LBB73_33
; %bb.13:                               ;   in Loop: Header=BB73_5 Depth=1
	v_mov_b64_e32 v[32:33], v[16:17]
	v_add_nc_u64_e32 v[40:41], s[12:13], v[36:37]
	v_mov_b64_e32 v[30:31], v[14:15]
	v_mov_b64_e32 v[28:29], v[12:13]
	v_mov_b64_e32 v[26:27], v[10:11]
	v_mov_b64_e32 v[24:25], v[8:9]
	v_mov_b64_e32 v[22:23], v[6:7]
	v_mov_b64_e32 v[20:21], v[4:5]
	v_mov_b64_e32 v[18:19], v[2:3]
	s_mov_b32 s3, 0
	s_mov_b32 s14, 0
.LBB73_14:                              ;   Parent Loop BB73_5 Depth=1
                                        ; =>  This Loop Header: Depth=2
                                        ;       Child Loop BB73_17 Depth 3
                                        ;         Child Loop BB73_18 Depth 4
                                        ;         Child Loop BB73_21 Depth 4
                                        ;           Child Loop BB73_22 Depth 5
                                        ;         Child Loop BB73_27 Depth 4
                                        ;           Child Loop BB73_29 Depth 5
	s_load_b32 s16, s[20:21], s3 offset:0x0 scale_offset
	s_wait_kmcnt 0x0
	s_add_co_i32 s43, s16, -1
	s_delay_alu instid0(SALU_CYCLE_1) | instskip(NEXT) | instid1(SALU_CYCLE_1)
	s_add_co_i32 s15, s43, s14
	s_cmp_ge_i32 s15, s36
	s_cbranch_scc1 .LBB73_30
; %bb.15:                               ;   in Loop: Header=BB73_14 Depth=2
	s_ashr_i32 s15, s14, 31
	s_ashr_i32 s17, s16, 31
	v_lshl_add_u64 v[42:43], s[14:15], 3, v[40:41]
	s_max_i32 s44, s16, 1
	s_lshl_b64 s[22:23], s[16:17], 3
	s_lshl_b32 s15, s14, 6
	s_lshl_b32 s17, s16, 6
	s_mul_i32 s45, s14, 0x48
	s_mul_i32 s46, s16, 0x48
	s_branch .LBB73_17
.LBB73_16:                              ;   in Loop: Header=BB73_17 Depth=3
	v_add_nc_u64_e32 v[42:43], s[22:23], v[42:43]
	s_add_co_i32 s14, s14, s16
	s_add_co_i32 s15, s15, s17
	;; [unrolled: 1-line block ×4, first 2 shown]
	s_cmp_ge_i32 s18, s36
	s_cbranch_scc1 .LBB73_30
.LBB73_17:                              ;   Parent Loop BB73_5 Depth=1
                                        ;     Parent Loop BB73_14 Depth=2
                                        ; =>    This Loop Header: Depth=3
                                        ;         Child Loop BB73_18 Depth 4
                                        ;         Child Loop BB73_21 Depth 4
                                        ;           Child Loop BB73_22 Depth 5
                                        ;         Child Loop BB73_27 Depth 4
                                        ;           Child Loop BB73_29 Depth 5
	s_wait_xcnt 0x0
	v_mov_b64_e32 v[44:45], v[42:43]
	s_mov_b64 s[26:27], 0
.LBB73_18:                              ;   Parent Loop BB73_5 Depth=1
                                        ;     Parent Loop BB73_14 Depth=2
                                        ;       Parent Loop BB73_17 Depth=3
                                        ; =>      This Inner Loop Header: Depth=4
	global_load_b64 v[46:47], v[44:45], off
	s_wait_xcnt 0x0
	v_add_nc_u64_e32 v[44:45], 8, v[44:45]
	s_lshl_b32 m0, s26, 1
	s_add_nc_u64 s[26:27], s[26:27], 1
	s_delay_alu instid0(SALU_CYCLE_1) | instskip(SKIP_2) | instid1(VALU_DEP_1)
	s_cmp_eq_u32 s44, s26
	s_wait_loadcnt 0x0
	v_mul_f64_e32 v[46:47], s[4:5], v[46:47]
	v_movreld_b32_e32 v18, v46
	s_delay_alu instid0(VALU_DEP_2)
	v_movreld_b32_e32 v19, v47
	s_cbranch_scc0 .LBB73_18
; %bb.19:                               ;   in Loop: Header=BB73_17 Depth=3
	s_cmp_lt_i32 s14, 1
	s_cbranch_scc1 .LBB73_24
; %bb.20:                               ;   in Loop: Header=BB73_17 Depth=3
	s_mov_b32 s18, 0
	s_mov_b32 s28, s15
.LBB73_21:                              ;   Parent Loop BB73_5 Depth=1
                                        ;     Parent Loop BB73_14 Depth=2
                                        ;       Parent Loop BB73_17 Depth=3
                                        ; =>      This Loop Header: Depth=4
                                        ;           Child Loop BB73_22 Depth 5
	s_wait_xcnt 0x0
	v_lshl_add_u64 v[44:45], s[18:19], 3, v[38:39]
	s_mov_b64 s[26:27], 0
	s_mov_b32 s29, s28
	global_load_b64 v[44:45], v[44:45], off
.LBB73_22:                              ;   Parent Loop BB73_5 Depth=1
                                        ;     Parent Loop BB73_14 Depth=2
                                        ;       Parent Loop BB73_17 Depth=3
                                        ;         Parent Loop BB73_21 Depth=4
                                        ; =>        This Inner Loop Header: Depth=5
	v_mov_b32_e32 v46, s29
	s_lshl_b32 m0, s26, 1
	s_add_nc_u64 s[26:27], s[26:27], 1
	v_movrels_b32_e32 v49, v19
	v_movrels_b32_e32 v48, v18
	ds_load_b64 v[46:47], v46
	s_add_co_i32 s29, s29, 64
	s_cmp_eq_u32 s44, s26
	s_wait_loadcnt_dscnt 0x0
	v_fma_f64 v[46:47], -v[44:45], v[46:47], v[48:49]
	s_delay_alu instid0(VALU_DEP_1) | instskip(NEXT) | instid1(VALU_DEP_2)
	v_movreld_b32_e32 v18, v46
	v_movreld_b32_e32 v19, v47
	s_cbranch_scc0 .LBB73_22
; %bb.23:                               ;   in Loop: Header=BB73_21 Depth=4
	s_add_co_i32 s18, s18, 1
	s_add_co_i32 s28, s28, 8
	s_cmp_eq_u32 s18, s14
	s_cbranch_scc0 .LBB73_21
.LBB73_24:                              ;   in Loop: Header=BB73_17 Depth=3
	s_mov_b64 s[26:27], 0
	s_mov_b32 s18, s45
	s_branch .LBB73_27
.LBB73_25:                              ;   in Loop: Header=BB73_27 Depth=4
	s_mov_b32 s28, s14
	s_mov_b64 s[30:31], 0
.LBB73_26:                              ;   in Loop: Header=BB73_27 Depth=4
	s_mul_i32 s29, s28, 0x48
	s_lshl_b32 m0, s30, 1
	s_wait_xcnt 0x0
	v_mov_b32_e32 v44, s29
	v_movrels_b32_e32 v47, v19
	v_movrels_b32_e32 v46, v18
	s_ashr_i32 s29, s28, 31
	s_add_nc_u64 s[26:27], s[26:27], 1
	ds_load_b64 v[44:45], v44
	s_add_co_i32 s18, s18, 64
	s_cmp_eq_u32 s26, s44
	s_wait_dscnt 0x0
	v_mul_f64_e32 v[44:45], v[46:47], v[44:45]
	v_lshl_add_u64 v[46:47], s[28:29], 3, v[38:39]
	s_delay_alu instid0(VALU_DEP_2) | instskip(NEXT) | instid1(VALU_DEP_3)
	v_movreld_b32_e32 v18, v44
	v_movreld_b32_e32 v19, v45
	global_store_b64 v[46:47], v[44:45], off
	s_cbranch_scc1 .LBB73_16
.LBB73_27:                              ;   Parent Loop BB73_5 Depth=1
                                        ;     Parent Loop BB73_14 Depth=2
                                        ;       Parent Loop BB73_17 Depth=3
                                        ; =>      This Loop Header: Depth=4
                                        ;           Child Loop BB73_29 Depth 5
	s_cmp_eq_u32 s26, 0
	s_cbranch_scc1 .LBB73_25
; %bb.28:                               ;   in Loop: Header=BB73_27 Depth=4
	s_mov_b64 s[30:31], s[26:27]
	s_add_co_i32 s28, s26, s14
	s_mov_b64 s[34:35], 0
	s_lshl_b32 s29, s26, 1
	s_mov_b32 s31, s18
.LBB73_29:                              ;   Parent Loop BB73_5 Depth=1
                                        ;     Parent Loop BB73_14 Depth=2
                                        ;       Parent Loop BB73_17 Depth=3
                                        ;         Parent Loop BB73_27 Depth=4
                                        ; =>        This Inner Loop Header: Depth=5
	s_wait_xcnt 0x0
	v_mov_b32_e32 v44, s31
	s_lshl_b32 m0, s34, 1
	s_add_nc_u64 s[34:35], s[34:35], 1
	v_movrels_b32_e32 v47, v19
	v_movrels_b32_e32 v46, v18
	ds_load_b64 v[44:45], v44
	s_mov_b32 m0, s29
	s_add_co_i32 s31, s31, 8
	v_movrels_b32_e32 v49, v19
	v_movrels_b32_e32 v48, v18
	s_cmp_eq_u32 s26, s34
	s_wait_dscnt 0x0
	s_delay_alu instid0(VALU_DEP_1) | instskip(NEXT) | instid1(VALU_DEP_1)
	v_fma_f64 v[44:45], -v[46:47], v[44:45], v[48:49]
	v_movreld_b32_e32 v18, v44
	s_delay_alu instid0(VALU_DEP_2)
	v_movreld_b32_e32 v19, v45
	s_cbranch_scc0 .LBB73_29
	s_branch .LBB73_26
.LBB73_30:                              ;   in Loop: Header=BB73_14 Depth=2
	s_cmp_lt_i32 s14, s36
	s_cselect_b32 s16, -1, 0
	s_add_co_i32 s15, s3, 1
	s_cmp_lt_u32 s3, 2
	s_wait_xcnt 0x0
	s_cselect_b32 s3, -1, 0
	s_delay_alu instid0(SALU_CYCLE_1) | instskip(NEXT) | instid1(SALU_CYCLE_1)
	s_and_b32 s3, s16, s3
	s_and_b32 vcc_lo, exec_lo, s3
	s_cbranch_vccz .LBB73_32
; %bb.31:                               ;   in Loop: Header=BB73_14 Depth=2
	s_mov_b32 s3, s15
	s_branch .LBB73_14
.LBB73_32:                              ;   in Loop: Header=BB73_5 Depth=1
	s_mov_b32 s3, 0
.LBB73_33:                              ;   in Loop: Header=BB73_5 Depth=1
	s_delay_alu instid0(SALU_CYCLE_1)
	s_and_b32 vcc_lo, exec_lo, s3
	s_cbranch_vccz .LBB73_3
; %bb.34:                               ;   in Loop: Header=BB73_5 Depth=1
	v_add_nc_u64_e32 v[18:19], s[12:13], v[36:37]
	s_mov_b32 s3, 0
	s_mov_b32 s12, s37
	s_load_b32 s18, s[20:21], s3 offset:0x0 scale_offset
	s_wait_kmcnt 0x0
	s_add_co_i32 s28, s18, -1
	s_delay_alu instid0(SALU_CYCLE_1)
	s_cmp_lt_i32 s12, s28
	s_cbranch_scc1 .LBB73_50
.LBB73_35:                              ;   in Loop: Header=BB73_5 Depth=1
	s_lshl_b32 s13, s12, 3
	s_lshl_b32 s14, s18, 3
	s_max_i32 s29, s18, 1
	s_add_co_i32 s30, s40, s13
	s_sub_co_i32 s31, 0, s14
	s_mul_i32 s34, s12, 0x48
	s_mul_i32 s35, s18, 0xffffffb8
	s_branch .LBB73_37
.LBB73_36:                              ;   in Loop: Header=BB73_37 Depth=2
	s_sub_co_i32 s12, s12, s18
	s_add_co_i32 s30, s30, s31
	s_add_co_i32 s34, s34, s35
	s_cmp_lt_i32 s12, s28
	s_cbranch_scc1 .LBB73_50
.LBB73_37:                              ;   Parent Loop BB73_5 Depth=1
                                        ; =>  This Loop Header: Depth=2
                                        ;       Child Loop BB73_38 Depth 3
                                        ;       Child Loop BB73_40 Depth 3
                                        ;         Child Loop BB73_41 Depth 4
                                        ;       Child Loop BB73_46 Depth 3
                                        ;         Child Loop BB73_48 Depth 4
	s_ashr_i32 s13, s12, 31
	s_mov_b64 s[14:15], 0
	s_wait_xcnt 0x0
	v_lshl_add_u64 v[20:21], s[12:13], 3, v[18:19]
.LBB73_38:                              ;   Parent Loop BB73_5 Depth=1
                                        ;     Parent Loop BB73_37 Depth=2
                                        ; =>    This Inner Loop Header: Depth=3
	global_load_b64 v[22:23], v[20:21], off
	s_wait_xcnt 0x0
	v_add_nc_u64_e32 v[20:21], -8, v[20:21]
	s_lshl_b32 m0, s14, 1
	s_add_nc_u64 s[14:15], s[14:15], 1
	s_delay_alu instid0(SALU_CYCLE_1) | instskip(SKIP_2) | instid1(VALU_DEP_1)
	s_cmp_eq_u32 s29, s14
	s_wait_loadcnt 0x0
	v_mul_f64_e32 v[22:23], s[4:5], v[22:23]
	v_movreld_b32_e32 v2, v22
	s_delay_alu instid0(VALU_DEP_2)
	v_movreld_b32_e32 v3, v23
	s_cbranch_scc0 .LBB73_38
; %bb.39:                               ;   in Loop: Header=BB73_37 Depth=2
	s_cmp_le_i32 s37, s12
	s_mov_b32 s22, s30
	s_mov_b32 s14, s37
	s_cbranch_scc1 .LBB73_43
.LBB73_40:                              ;   Parent Loop BB73_5 Depth=1
                                        ;     Parent Loop BB73_37 Depth=2
                                        ; =>    This Loop Header: Depth=3
                                        ;         Child Loop BB73_41 Depth 4
	s_ashr_i32 s15, s14, 31
	s_mov_b64 s[16:17], 0
	s_wait_xcnt 0x0
	v_lshl_add_u64 v[20:21], s[14:15], 3, v[38:39]
	s_mov_b32 s15, s22
	global_load_b64 v[20:21], v[20:21], off
.LBB73_41:                              ;   Parent Loop BB73_5 Depth=1
                                        ;     Parent Loop BB73_37 Depth=2
                                        ;       Parent Loop BB73_40 Depth=3
                                        ; =>      This Inner Loop Header: Depth=4
	v_mov_b32_e32 v22, s15
	s_lshl_b32 m0, s16, 1
	s_add_nc_u64 s[16:17], s[16:17], 1
	v_movrels_b32_e32 v25, v3
	v_movrels_b32_e32 v24, v2
	ds_load_b64 v[22:23], v22
	s_add_co_i32 s15, s15, -8
	s_cmp_eq_u32 s29, s16
	s_wait_loadcnt_dscnt 0x0
	v_fma_f64 v[22:23], -v[20:21], v[22:23], v[24:25]
	s_delay_alu instid0(VALU_DEP_1) | instskip(NEXT) | instid1(VALU_DEP_2)
	v_movreld_b32_e32 v2, v22
	v_movreld_b32_e32 v3, v23
	s_cbranch_scc0 .LBB73_41
; %bb.42:                               ;   in Loop: Header=BB73_40 Depth=3
	s_add_co_i32 s14, s14, -1
	s_sub_co_i32 s22, s22, 64
	s_cmp_le_i32 s14, s12
	s_cbranch_scc0 .LBB73_40
.LBB73_43:                              ;   in Loop: Header=BB73_37 Depth=2
	s_mov_b64 s[14:15], 0
	s_mov_b32 s43, s34
	s_branch .LBB73_46
.LBB73_44:                              ;   in Loop: Header=BB73_46 Depth=3
	s_mov_b32 s26, s12
	s_mov_b64 s[16:17], 0
	s_mov_b64 s[22:23], s[12:13]
.LBB73_45:                              ;   in Loop: Header=BB73_46 Depth=3
	s_mul_i32 s17, s26, 0x48
	s_lshl_b32 m0, s16, 1
	s_wait_xcnt 0x0
	v_mov_b32_e32 v20, s17
	v_movrels_b32_e32 v23, v3
	v_movrels_b32_e32 v22, v2
	s_add_nc_u64 s[14:15], s[14:15], 1
	s_add_co_i32 s43, s43, -8
	ds_load_b64 v[20:21], v20
	s_cmp_eq_u32 s14, s29
	s_wait_dscnt 0x0
	v_mul_f64_e32 v[20:21], v[22:23], v[20:21]
	v_lshl_add_u64 v[22:23], s[22:23], 3, v[38:39]
	s_delay_alu instid0(VALU_DEP_2) | instskip(NEXT) | instid1(VALU_DEP_3)
	v_movreld_b32_e32 v2, v20
	v_movreld_b32_e32 v3, v21
	global_store_b64 v[22:23], v[20:21], off
	s_cbranch_scc1 .LBB73_36
.LBB73_46:                              ;   Parent Loop BB73_5 Depth=1
                                        ;     Parent Loop BB73_37 Depth=2
                                        ; =>    This Loop Header: Depth=3
                                        ;         Child Loop BB73_48 Depth 4
	s_cmp_eq_u32 s14, 0
	s_cbranch_scc1 .LBB73_44
; %bb.47:                               ;   in Loop: Header=BB73_46 Depth=3
	s_mov_b64 s[16:17], s[14:15]
	s_mov_b64 s[22:23], 0
	s_lshl_b32 s17, s14, 1
	s_mov_b32 s26, s43
.LBB73_48:                              ;   Parent Loop BB73_5 Depth=1
                                        ;     Parent Loop BB73_37 Depth=2
                                        ;       Parent Loop BB73_46 Depth=3
                                        ; =>      This Inner Loop Header: Depth=4
	s_wait_xcnt 0x0
	v_mov_b32_e32 v20, s26
	s_lshl_b32 m0, s22, 1
	s_add_nc_u64 s[22:23], s[22:23], 1
	v_movrels_b32_e32 v23, v3
	v_movrels_b32_e32 v22, v2
	ds_load_b64 v[20:21], v20
	s_mov_b32 m0, s17
	s_sub_co_i32 s26, s26, 64
	v_movrels_b32_e32 v25, v3
	v_movrels_b32_e32 v24, v2
	s_cmp_eq_u32 s14, s22
	s_wait_dscnt 0x0
	s_delay_alu instid0(VALU_DEP_1) | instskip(NEXT) | instid1(VALU_DEP_1)
	v_fma_f64 v[20:21], -v[22:23], v[20:21], v[24:25]
	v_movreld_b32_e32 v2, v20
	s_delay_alu instid0(VALU_DEP_2)
	v_movreld_b32_e32 v3, v21
	s_cbranch_scc0 .LBB73_48
; %bb.49:                               ;   in Loop: Header=BB73_46 Depth=3
	s_sub_co_i32 s26, s12, s14
	s_delay_alu instid0(SALU_CYCLE_1) | instskip(NEXT) | instid1(SALU_CYCLE_1)
	s_ashr_i32 s27, s26, 31
	s_mov_b64 s[22:23], s[26:27]
	s_branch .LBB73_45
.LBB73_50:                              ;   Parent Loop BB73_5 Depth=1
                                        ; =>  This Inner Loop Header: Depth=2
	s_cmp_gt_i32 s12, -1
	s_cselect_b32 s14, -1, 0
	s_add_co_i32 s13, s3, 1
	s_cmp_lt_u32 s3, 2
	s_cselect_b32 s3, -1, 0
	s_delay_alu instid0(SALU_CYCLE_1) | instskip(NEXT) | instid1(SALU_CYCLE_1)
	s_and_b32 s3, s14, s3
	s_and_not1_b32 vcc_lo, exec_lo, s3
	s_cbranch_vccnz .LBB73_2
; %bb.51:                               ;   in Loop: Header=BB73_50 Depth=2
	s_mov_b32 s3, s13
	s_load_b32 s18, s[20:21], s3 offset:0x0 scale_offset
	s_wait_kmcnt 0x0
	s_add_co_i32 s28, s18, -1
	s_delay_alu instid0(SALU_CYCLE_1)
	s_cmp_lt_i32 s12, s28
	s_cbranch_scc0 .LBB73_35
	s_branch .LBB73_50
.LBB73_52:
	s_endpgm
	.section	.rodata,"a",@progbits
	.p2align	6, 0x0
	.amdhsa_kernel _ZL30rocblas_trsm_small_left_deviceILi8ELi8ELb0EddPKdPdEv13rocblas_fill_18rocblas_operation_17rocblas_diagonal_iiT3_T4_lilT5_lili
		.amdhsa_group_segment_fixed_size 512
		.amdhsa_private_segment_fixed_size 0
		.amdhsa_kernarg_size 360
		.amdhsa_user_sgpr_count 2
		.amdhsa_user_sgpr_dispatch_ptr 0
		.amdhsa_user_sgpr_queue_ptr 0
		.amdhsa_user_sgpr_kernarg_segment_ptr 1
		.amdhsa_user_sgpr_dispatch_id 0
		.amdhsa_user_sgpr_kernarg_preload_length 0
		.amdhsa_user_sgpr_kernarg_preload_offset 0
		.amdhsa_user_sgpr_private_segment_size 0
		.amdhsa_wavefront_size32 1
		.amdhsa_uses_dynamic_stack 0
		.amdhsa_enable_private_segment 0
		.amdhsa_system_sgpr_workgroup_id_x 1
		.amdhsa_system_sgpr_workgroup_id_y 0
		.amdhsa_system_sgpr_workgroup_id_z 1
		.amdhsa_system_sgpr_workgroup_info 0
		.amdhsa_system_vgpr_workitem_id 0
		.amdhsa_next_free_vgpr 50
		.amdhsa_next_free_sgpr 47
		.amdhsa_named_barrier_count 0
		.amdhsa_reserve_vcc 1
		.amdhsa_float_round_mode_32 0
		.amdhsa_float_round_mode_16_64 0
		.amdhsa_float_denorm_mode_32 3
		.amdhsa_float_denorm_mode_16_64 3
		.amdhsa_fp16_overflow 0
		.amdhsa_memory_ordered 1
		.amdhsa_forward_progress 1
		.amdhsa_inst_pref_size 17
		.amdhsa_round_robin_scheduling 0
		.amdhsa_exception_fp_ieee_invalid_op 0
		.amdhsa_exception_fp_denorm_src 0
		.amdhsa_exception_fp_ieee_div_zero 0
		.amdhsa_exception_fp_ieee_overflow 0
		.amdhsa_exception_fp_ieee_underflow 0
		.amdhsa_exception_fp_ieee_inexact 0
		.amdhsa_exception_int_div_zero 0
	.end_amdhsa_kernel
	.section	.text._ZL30rocblas_trsm_small_left_deviceILi8ELi8ELb0EddPKdPdEv13rocblas_fill_18rocblas_operation_17rocblas_diagonal_iiT3_T4_lilT5_lili,"axG",@progbits,_ZL30rocblas_trsm_small_left_deviceILi8ELi8ELb0EddPKdPdEv13rocblas_fill_18rocblas_operation_17rocblas_diagonal_iiT3_T4_lilT5_lili,comdat
.Lfunc_end73:
	.size	_ZL30rocblas_trsm_small_left_deviceILi8ELi8ELb0EddPKdPdEv13rocblas_fill_18rocblas_operation_17rocblas_diagonal_iiT3_T4_lilT5_lili, .Lfunc_end73-_ZL30rocblas_trsm_small_left_deviceILi8ELi8ELb0EddPKdPdEv13rocblas_fill_18rocblas_operation_17rocblas_diagonal_iiT3_T4_lilT5_lili
                                        ; -- End function
	.set _ZL30rocblas_trsm_small_left_deviceILi8ELi8ELb0EddPKdPdEv13rocblas_fill_18rocblas_operation_17rocblas_diagonal_iiT3_T4_lilT5_lili.num_vgpr, 50
	.set _ZL30rocblas_trsm_small_left_deviceILi8ELi8ELb0EddPKdPdEv13rocblas_fill_18rocblas_operation_17rocblas_diagonal_iiT3_T4_lilT5_lili.num_agpr, 0
	.set _ZL30rocblas_trsm_small_left_deviceILi8ELi8ELb0EddPKdPdEv13rocblas_fill_18rocblas_operation_17rocblas_diagonal_iiT3_T4_lilT5_lili.numbered_sgpr, 47
	.set _ZL30rocblas_trsm_small_left_deviceILi8ELi8ELb0EddPKdPdEv13rocblas_fill_18rocblas_operation_17rocblas_diagonal_iiT3_T4_lilT5_lili.num_named_barrier, 0
	.set _ZL30rocblas_trsm_small_left_deviceILi8ELi8ELb0EddPKdPdEv13rocblas_fill_18rocblas_operation_17rocblas_diagonal_iiT3_T4_lilT5_lili.private_seg_size, 0
	.set _ZL30rocblas_trsm_small_left_deviceILi8ELi8ELb0EddPKdPdEv13rocblas_fill_18rocblas_operation_17rocblas_diagonal_iiT3_T4_lilT5_lili.uses_vcc, 1
	.set _ZL30rocblas_trsm_small_left_deviceILi8ELi8ELb0EddPKdPdEv13rocblas_fill_18rocblas_operation_17rocblas_diagonal_iiT3_T4_lilT5_lili.uses_flat_scratch, 0
	.set _ZL30rocblas_trsm_small_left_deviceILi8ELi8ELb0EddPKdPdEv13rocblas_fill_18rocblas_operation_17rocblas_diagonal_iiT3_T4_lilT5_lili.has_dyn_sized_stack, 0
	.set _ZL30rocblas_trsm_small_left_deviceILi8ELi8ELb0EddPKdPdEv13rocblas_fill_18rocblas_operation_17rocblas_diagonal_iiT3_T4_lilT5_lili.has_recursion, 0
	.set _ZL30rocblas_trsm_small_left_deviceILi8ELi8ELb0EddPKdPdEv13rocblas_fill_18rocblas_operation_17rocblas_diagonal_iiT3_T4_lilT5_lili.has_indirect_call, 0
	.section	.AMDGPU.csdata,"",@progbits
; Kernel info:
; codeLenInByte = 2108
; TotalNumSgprs: 49
; NumVgprs: 50
; ScratchSize: 0
; MemoryBound: 0
; FloatMode: 240
; IeeeMode: 1
; LDSByteSize: 512 bytes/workgroup (compile time only)
; SGPRBlocks: 0
; VGPRBlocks: 3
; NumSGPRsForWavesPerEU: 49
; NumVGPRsForWavesPerEU: 50
; NamedBarCnt: 0
; Occupancy: 16
; WaveLimiterHint : 0
; COMPUTE_PGM_RSRC2:SCRATCH_EN: 0
; COMPUTE_PGM_RSRC2:USER_SGPR: 2
; COMPUTE_PGM_RSRC2:TRAP_HANDLER: 0
; COMPUTE_PGM_RSRC2:TGID_X_EN: 1
; COMPUTE_PGM_RSRC2:TGID_Y_EN: 0
; COMPUTE_PGM_RSRC2:TGID_Z_EN: 1
; COMPUTE_PGM_RSRC2:TIDIG_COMP_CNT: 0
	.section	.text._ZL38rocblas_trsm_small_left_device_sharedBILi8ELi8ELb1EddPKdPdEv13rocblas_fill_18rocblas_operation_17rocblas_diagonal_iiT3_T4_lilT5_lili,"axG",@progbits,_ZL38rocblas_trsm_small_left_device_sharedBILi8ELi8ELb1EddPKdPdEv13rocblas_fill_18rocblas_operation_17rocblas_diagonal_iiT3_T4_lilT5_lili,comdat
	.globl	_ZL38rocblas_trsm_small_left_device_sharedBILi8ELi8ELb1EddPKdPdEv13rocblas_fill_18rocblas_operation_17rocblas_diagonal_iiT3_T4_lilT5_lili ; -- Begin function _ZL38rocblas_trsm_small_left_device_sharedBILi8ELi8ELb1EddPKdPdEv13rocblas_fill_18rocblas_operation_17rocblas_diagonal_iiT3_T4_lilT5_lili
	.p2align	8
	.type	_ZL38rocblas_trsm_small_left_device_sharedBILi8ELi8ELb1EddPKdPdEv13rocblas_fill_18rocblas_operation_17rocblas_diagonal_iiT3_T4_lilT5_lili,@function
_ZL38rocblas_trsm_small_left_device_sharedBILi8ELi8ELb1EddPKdPdEv13rocblas_fill_18rocblas_operation_17rocblas_diagonal_iiT3_T4_lilT5_lili: ; @_ZL38rocblas_trsm_small_left_device_sharedBILi8ELi8ELb1EddPKdPdEv13rocblas_fill_18rocblas_operation_17rocblas_diagonal_iiT3_T4_lilT5_lili
; %bb.0:
	s_load_b32 s19, s[0:1], 0x60
	s_bfe_u32 s2, ttmp6, 0x40014
	s_lshr_b32 s3, ttmp7, 16
	s_add_co_i32 s2, s2, 1
	s_bfe_u32 s5, ttmp6, 0x40008
	s_mul_i32 s4, s3, s2
	s_getreg_b32 s2, hwreg(HW_REG_IB_STS2, 6, 4)
	s_add_co_i32 s5, s5, s4
	s_cmp_eq_u32 s2, 0
	s_cselect_b32 s20, s3, s5
	s_wait_kmcnt 0x0
	s_cmp_ge_u32 s20, s19
	s_cbranch_scc1 .LBB74_55
; %bb.1:
	s_clause 0x4
	s_load_b96 s[12:14], s[0:1], 0x28
	s_load_b96 s[16:18], s[0:1], 0x48
	s_load_b128 s[24:27], s[0:1], 0x4
	s_load_b32 s3, s[0:1], 0x68
	s_load_b64 s[28:29], s[0:1], 0x58
	s_bfe_u32 s8, ttmp6, 0x4000c
	s_load_b128 s[4:7], s[0:1], 0x18
	s_add_co_i32 s8, s8, 1
	s_and_b32 s15, ttmp6, 15
	s_mul_i32 s21, ttmp9, s8
	s_load_b128 s[8:11], s[0:1], 0x38
	s_wait_xcnt 0x0
	s_add_co_i32 s0, s15, s21
	v_dual_mov_b32 v35, 0 :: v_dual_lshlrev_b32 v34, 3, v0
	v_lshlrev_b32_e32 v18, 6, v0
	s_delay_alu instid0(VALU_DEP_2) | instskip(NEXT) | instid1(VALU_DEP_3)
	v_or_b32_e32 v42, 0x200, v34
	v_dual_mov_b32 v2, v35 :: v_dual_mov_b32 v3, v35
	s_wait_kmcnt 0x0
	s_ashr_i32 s15, s14, 31
	s_ashr_i32 s30, s18, 31
	s_min_i32 s1, s26, 8
	s_add_co_i32 s3, s3, -1
	s_add_co_i32 s21, s1, -1
	s_cmp_eq_u32 s2, 0
	v_dual_mov_b32 v4, v35 :: v_dual_mov_b32 v5, v35
	s_cselect_b32 s0, ttmp9, s0
	v_dual_mov_b32 v6, v35 :: v_dual_mov_b32 v7, v35
	s_lshl_b32 s2, s0, 3
	v_dual_mov_b32 v8, v35 :: v_dual_mov_b32 v9, v35
	s_sub_co_i32 s22, s27, s2
	s_cmp_ge_u32 s0, s3
	v_dual_mov_b32 v10, v35 :: v_dual_mov_b32 v11, v35
	s_cselect_b32 s0, s22, 8
	s_ashr_i32 s3, s2, 31
	s_cmp_lg_u32 s25, 0x84
	v_cmp_gt_i32_e32 vcc_lo, s0, v0
	s_cselect_b32 s22, -1, 0
	s_cmp_gt_i32 s26, 0
	v_cmp_gt_i32_e64 s0, s1, v0
	s_cselect_b32 s25, -1, 0
	s_cmp_lg_u32 s24, 0x6f
	v_mov_b32_e32 v12, v35
	s_cselect_b32 s23, -1, 0
	s_lshl_b64 s[2:3], s[2:3], 3
	s_lshl_b64 s[16:17], s[16:17], 3
	v_or_b32_e32 v13, s2, v34
	s_add_nc_u64 s[10:11], s[10:11], s[16:17]
	v_dual_mov_b32 v16, v35 :: v_dual_mov_b32 v17, v35
	s_lshl_b32 s24, s1, 3
	s_delay_alu instid0(VALU_DEP_2) | instskip(SKIP_3) | instid1(VALU_DEP_2)
	v_mad_nc_u64_u32 v[36:37], v13, s18, s[10:11]
	s_lshl_b64 s[10:11], s[12:13], 3
	s_add_co_i32 s24, s24, -8
	v_mov_b32_e32 v15, v35
	v_mad_u32 v14, s3, s18, v37
	s_lshl_b64 s[2:3], s[8:9], 3
	s_add_nc_u64 s[8:9], s[6:7], s[10:11]
	s_and_b32 s18, vcc_lo, s25
	v_add_nc_u64_e32 v[0:1], s[8:9], v[34:35]
	s_lshl_b64 s[6:7], s[14:15], 3
	s_lshl_b64 s[10:11], s[28:29], 3
	s_get_pc_i64 s[8:9]
	s_add_nc_u64 s[8:9], s[8:9], __const._ZL38rocblas_trsm_small_left_device_sharedBILi8ELi8ELb1EddPKdPdEv13rocblas_fill_18rocblas_operation_17rocblas_diagonal_iiT3_T4_lilT5_lili.step_sizes@rel64+4
	s_delay_alu instid0(VALU_DEP_2)
	v_mad_u32 v37, v13, s30, v14
	v_dual_mov_b32 v13, v35 :: v_dual_mov_b32 v14, v35
	v_add_nc_u32_e32 v35, v34, v18
	s_branch .LBB74_3
.LBB74_2:                               ;   in Loop: Header=BB74_3 Depth=1
	s_or_b32 exec_lo, exec_lo, s12
	s_delay_alu instid0(VALU_DEP_1)
	v_mov_b64_e32 v[2:3], v[18:19]
	v_mov_b64_e32 v[4:5], v[20:21]
	;; [unrolled: 1-line block ×8, first 2 shown]
	s_add_co_i32 s20, s20, 0x10000
	s_delay_alu instid0(SALU_CYCLE_1)
	s_cmp_lt_u32 s20, s19
	s_cbranch_scc0 .LBB74_55
.LBB74_3:                               ; =>This Loop Header: Depth=1
                                        ;     Child Loop BB74_5 Depth 2
                                        ;     Child Loop BB74_11 Depth 2
	;; [unrolled: 1-line block ×3, first 2 shown]
                                        ;       Child Loop BB74_17 Depth 3
                                        ;       Child Loop BB74_19 Depth 3
                                        ;         Child Loop BB74_20 Depth 4
                                        ;       Child Loop BB74_25 Depth 3
                                        ;         Child Loop BB74_27 Depth 4
                                        ;     Child Loop BB74_28 Depth 2
                                        ;     Child Loop BB74_33 Depth 2
                                        ;       Child Loop BB74_36 Depth 3
                                        ;         Child Loop BB74_37 Depth 4
                                        ;         Child Loop BB74_40 Depth 4
                                        ;           Child Loop BB74_41 Depth 5
                                        ;         Child Loop BB74_46 Depth 4
                                        ;           Child Loop BB74_48 Depth 5
                                        ;     Child Loop BB74_54 Depth 2
	s_and_saveexec_b32 s12, s0
	s_cbranch_execz .LBB74_9
; %bb.4:                                ;   in Loop: Header=BB74_3 Depth=1
	v_mad_nc_u64_u32 v[18:19], s2, s20, v[0:1]
	v_mov_b32_e32 v20, v34
	s_mov_b32 s13, s1
	s_delay_alu instid0(VALU_DEP_2)
	v_mad_u32 v19, s3, s20, v19
.LBB74_5:                               ;   Parent Loop BB74_3 Depth=1
                                        ; =>  This Inner Loop Header: Depth=2
	global_load_b64 v[22:23], v[18:19], off
	s_wait_xcnt 0x0
	v_add_nc_u64_e32 v[18:19], s[6:7], v[18:19]
	s_add_co_i32 s13, s13, -1
	s_delay_alu instid0(SALU_CYCLE_1)
	s_cmp_eq_u32 s13, 0
	s_wait_loadcnt 0x0
	ds_store_b64 v20, v[22:23]
	v_add_nc_u32_e32 v20, 64, v20
	s_cbranch_scc0 .LBB74_5
; %bb.6:                                ;   in Loop: Header=BB74_3 Depth=1
	v_mov_b64_e32 v[18:19], 1.0
	s_and_b32 vcc_lo, exec_lo, s22
	s_cbranch_vccz .LBB74_8
; %bb.7:                                ;   in Loop: Header=BB74_3 Depth=1
	ds_load_b64 v[18:19], v35
	s_wait_dscnt 0x0
	v_div_scale_f64 v[20:21], null, v[18:19], v[18:19], 1.0
	s_delay_alu instid0(VALU_DEP_1) | instskip(SKIP_1) | instid1(TRANS32_DEP_1)
	v_rcp_f64_e32 v[22:23], v[20:21]
	v_nop
	v_fma_f64 v[24:25], -v[20:21], v[22:23], 1.0
	s_delay_alu instid0(VALU_DEP_1) | instskip(NEXT) | instid1(VALU_DEP_1)
	v_fmac_f64_e32 v[22:23], v[22:23], v[24:25]
	v_fma_f64 v[24:25], -v[20:21], v[22:23], 1.0
	s_delay_alu instid0(VALU_DEP_1) | instskip(SKIP_1) | instid1(VALU_DEP_1)
	v_fmac_f64_e32 v[22:23], v[22:23], v[24:25]
	v_div_scale_f64 v[24:25], vcc_lo, 1.0, v[18:19], 1.0
	v_mul_f64_e32 v[26:27], v[24:25], v[22:23]
	s_delay_alu instid0(VALU_DEP_1) | instskip(NEXT) | instid1(VALU_DEP_1)
	v_fma_f64 v[20:21], -v[20:21], v[26:27], v[24:25]
	v_div_fmas_f64 v[20:21], v[20:21], v[22:23], v[26:27]
	s_delay_alu instid0(VALU_DEP_1)
	v_div_fixup_f64 v[18:19], v[20:21], v[18:19], 1.0
.LBB74_8:                               ;   in Loop: Header=BB74_3 Depth=1
	ds_store_b64 v35, v[18:19]
.LBB74_9:                               ;   in Loop: Header=BB74_3 Depth=1
	s_or_b32 exec_lo, exec_lo, s12
	s_delay_alu instid0(VALU_DEP_3) | instskip(NEXT) | instid1(VALU_DEP_1)
	v_mad_nc_u64_u32 v[38:39], s10, s20, v[36:37]
	v_mad_u32 v39, s11, s20, v39
	s_and_saveexec_b32 s12, s18
	s_cbranch_execz .LBB74_12
; %bb.10:                               ;   in Loop: Header=BB74_3 Depth=1
	s_delay_alu instid0(VALU_DEP_1)
	v_mov_b64_e32 v[18:19], v[38:39]
	v_mov_b32_e32 v20, v42
	s_mov_b32 s13, s1
.LBB74_11:                              ;   Parent Loop BB74_3 Depth=1
                                        ; =>  This Inner Loop Header: Depth=2
	global_load_b64 v[22:23], v[18:19], off
	s_wait_xcnt 0x0
	v_add_nc_u64_e32 v[18:19], 8, v[18:19]
	s_add_co_i32 s13, s13, -1
	s_delay_alu instid0(SALU_CYCLE_1)
	s_cmp_lg_u32 s13, 0
	s_wait_loadcnt 0x0
	v_mul_f64_e32 v[22:23], s[4:5], v[22:23]
	ds_store_b64 v20, v[22:23]
	v_add_nc_u32_e32 v20, 64, v20
	s_cbranch_scc1 .LBB74_11
.LBB74_12:                              ;   in Loop: Header=BB74_3 Depth=1
	s_or_b32 exec_lo, exec_lo, s12
	s_delay_alu instid0(SALU_CYCLE_1)
	s_and_not1_b32 vcc_lo, exec_lo, s23
	s_mov_b32 s12, -1
	s_wait_dscnt 0x0
	; wave barrier
                                        ; implicit-def: $vgpr18_vgpr19_vgpr20_vgpr21_vgpr22_vgpr23_vgpr24_vgpr25_vgpr26_vgpr27_vgpr28_vgpr29_vgpr30_vgpr31_vgpr32_vgpr33
	s_cbranch_vccnz .LBB74_31
; %bb.13:                               ;   in Loop: Header=BB74_3 Depth=1
	v_mov_b64_e32 v[32:33], v[16:17]
	v_mov_b64_e32 v[30:31], v[14:15]
	;; [unrolled: 1-line block ×8, first 2 shown]
	s_wait_xcnt 0x0
	s_mov_b32 s26, 0
	s_mov_b32 s25, s21
	s_load_b32 s27, s[8:9], s26 offset:0x0 scale_offset
	s_wait_kmcnt 0x0
	s_add_co_i32 s28, s27, -1
	s_delay_alu instid0(SALU_CYCLE_1)
	s_cmp_lt_i32 s25, s28
	s_cbranch_scc1 .LBB74_28
.LBB74_14:                              ;   in Loop: Header=BB74_3 Depth=1
	s_lshl_b32 s12, s25, 6
	s_lshl_b32 s13, s27, 6
	v_add_nc_u32_e32 v43, s12, v42
	s_max_i32 s29, s27, 1
	s_sub_co_i32 s30, 0, s13
	s_add_co_i32 s31, s24, s12
	s_mul_i32 s33, s25, 0x48
	s_mul_i32 s34, s27, 0xffffffb8
	s_branch .LBB74_16
.LBB74_15:                              ;   in Loop: Header=BB74_16 Depth=2
	v_add_nc_u32_e32 v43, s30, v43
	s_sub_co_i32 s25, s25, s27
	s_add_co_i32 s31, s31, s30
	s_add_co_i32 s33, s33, s34
	s_cmp_lt_i32 s25, s28
	s_cbranch_scc1 .LBB74_28
.LBB74_16:                              ;   Parent Loop BB74_3 Depth=1
                                        ; =>  This Loop Header: Depth=2
                                        ;       Child Loop BB74_17 Depth 3
                                        ;       Child Loop BB74_19 Depth 3
                                        ;         Child Loop BB74_20 Depth 4
                                        ;       Child Loop BB74_25 Depth 3
                                        ;         Child Loop BB74_27 Depth 4
	v_mov_b32_e32 v40, v43
	s_mov_b64 s[12:13], 0
.LBB74_17:                              ;   Parent Loop BB74_3 Depth=1
                                        ;     Parent Loop BB74_16 Depth=2
                                        ; =>    This Inner Loop Header: Depth=3
	ds_load_b64 v[44:45], v40
	v_subrev_nc_u32_e32 v40, 64, v40
	s_lshl_b32 m0, s12, 1
	s_add_nc_u64 s[12:13], s[12:13], 1
	s_delay_alu instid0(SALU_CYCLE_1)
	s_cmp_eq_u32 s29, s12
	s_wait_dscnt 0x0
	v_movreld_b32_e32 v18, v44
	v_movreld_b32_e32 v19, v45
	s_cbranch_scc0 .LBB74_17
; %bb.18:                               ;   in Loop: Header=BB74_16 Depth=2
	s_cmp_le_i32 s21, s25
	s_mov_b32 s14, s31
	s_mov_b32 s15, s21
	s_cbranch_scc1 .LBB74_22
.LBB74_19:                              ;   Parent Loop BB74_3 Depth=1
                                        ;     Parent Loop BB74_16 Depth=2
                                        ; =>    This Loop Header: Depth=3
                                        ;         Child Loop BB74_20 Depth 4
	v_lshl_add_u32 v40, s15, 6, v42
	s_mov_b64 s[12:13], 0
	s_mov_b32 s16, s14
	ds_load_b64 v[40:41], v40
.LBB74_20:                              ;   Parent Loop BB74_3 Depth=1
                                        ;     Parent Loop BB74_16 Depth=2
                                        ;       Parent Loop BB74_19 Depth=3
                                        ; =>      This Inner Loop Header: Depth=4
	v_mov_b32_e32 v44, s16
	s_lshl_b32 m0, s12, 1
	s_add_nc_u64 s[12:13], s[12:13], 1
	v_movrels_b32_e32 v47, v19
	v_movrels_b32_e32 v46, v18
	ds_load_b64 v[44:45], v44
	s_sub_co_i32 s16, s16, 64
	s_cmp_eq_u32 s29, s12
	s_wait_dscnt 0x0
	v_fma_f64 v[44:45], -v[40:41], v[44:45], v[46:47]
	s_delay_alu instid0(VALU_DEP_1) | instskip(NEXT) | instid1(VALU_DEP_2)
	v_movreld_b32_e32 v18, v44
	v_movreld_b32_e32 v19, v45
	s_cbranch_scc0 .LBB74_20
; %bb.21:                               ;   in Loop: Header=BB74_19 Depth=3
	s_add_co_i32 s15, s15, -1
	s_add_co_i32 s14, s14, -8
	s_cmp_le_i32 s15, s25
	s_cbranch_scc0 .LBB74_19
.LBB74_22:                              ;   in Loop: Header=BB74_16 Depth=2
	s_lshl_b32 s35, s25, 6
	s_mov_b64 s[12:13], 0
	s_mov_b32 s36, s33
	s_branch .LBB74_25
.LBB74_23:                              ;   in Loop: Header=BB74_25 Depth=3
	s_mov_b32 s38, s25
	s_mov_b64 s[14:15], 0
	s_mov_b32 s37, s35
.LBB74_24:                              ;   in Loop: Header=BB74_25 Depth=3
	s_mul_i32 s15, s38, 0x48
	s_lshl_b32 m0, s14, 1
	v_mov_b32_e32 v40, s15
	v_movrels_b32_e32 v45, v19
	v_movrels_b32_e32 v44, v18
	s_add_nc_u64 s[12:13], s[12:13], 1
	s_sub_co_i32 s36, s36, 64
	ds_load_b64 v[40:41], v40
	s_cmp_eq_u32 s12, s29
	s_wait_dscnt 0x0
	v_dual_mul_f64 v[40:41], v[44:45], v[40:41] :: v_dual_add_nc_u32 v44, s37, v42
	s_delay_alu instid0(VALU_DEP_1) | instskip(NEXT) | instid1(VALU_DEP_2)
	v_movreld_b32_e32 v18, v40
	v_movreld_b32_e32 v19, v41
	ds_store_b64 v44, v[40:41]
	s_cbranch_scc1 .LBB74_15
.LBB74_25:                              ;   Parent Loop BB74_3 Depth=1
                                        ;     Parent Loop BB74_16 Depth=2
                                        ; =>    This Loop Header: Depth=3
                                        ;         Child Loop BB74_27 Depth 4
	s_cmp_eq_u32 s12, 0
	s_cbranch_scc1 .LBB74_23
; %bb.26:                               ;   in Loop: Header=BB74_25 Depth=3
	s_sub_co_i32 s38, s25, s12
	s_mov_b64 s[14:15], s[12:13]
	s_mov_b64 s[16:17], 0
	s_lshl_b32 s37, s38, 6
	s_lshl_b32 s15, s12, 1
	s_mov_b32 s39, s36
.LBB74_27:                              ;   Parent Loop BB74_3 Depth=1
                                        ;     Parent Loop BB74_16 Depth=2
                                        ;       Parent Loop BB74_25 Depth=3
                                        ; =>      This Inner Loop Header: Depth=4
	s_delay_alu instid0(SALU_CYCLE_1)
	v_mov_b32_e32 v40, s39
	s_lshl_b32 m0, s16, 1
	s_add_nc_u64 s[16:17], s[16:17], 1
	v_movrels_b32_e32 v45, v19
	v_movrels_b32_e32 v44, v18
	ds_load_b64 v[40:41], v40
	s_mov_b32 m0, s15
	s_add_co_i32 s39, s39, -8
	v_movrels_b32_e32 v47, v19
	v_movrels_b32_e32 v46, v18
	s_cmp_eq_u32 s12, s16
	s_wait_dscnt 0x0
	s_delay_alu instid0(VALU_DEP_1) | instskip(NEXT) | instid1(VALU_DEP_1)
	v_fma_f64 v[40:41], -v[44:45], v[40:41], v[46:47]
	v_movreld_b32_e32 v18, v40
	s_delay_alu instid0(VALU_DEP_2)
	v_movreld_b32_e32 v19, v41
	s_cbranch_scc0 .LBB74_27
	s_branch .LBB74_24
.LBB74_28:                              ;   Parent Loop BB74_3 Depth=1
                                        ; =>  This Inner Loop Header: Depth=2
	s_cmp_gt_i32 s25, -1
	s_cselect_b32 s13, -1, 0
	s_add_co_i32 s12, s26, 1
	s_cmp_lt_u32 s26, 2
	s_cselect_b32 s14, -1, 0
	s_delay_alu instid0(SALU_CYCLE_1) | instskip(NEXT) | instid1(SALU_CYCLE_1)
	s_and_b32 s13, s13, s14
	s_and_b32 vcc_lo, exec_lo, s13
	s_cbranch_vccz .LBB74_30
; %bb.29:                               ;   in Loop: Header=BB74_28 Depth=2
	s_wait_xcnt 0x0
	s_mov_b32 s26, s12
	s_load_b32 s27, s[8:9], s26 offset:0x0 scale_offset
	s_wait_kmcnt 0x0
	s_add_co_i32 s28, s27, -1
	s_delay_alu instid0(SALU_CYCLE_1)
	s_cmp_lt_i32 s25, s28
	s_cbranch_scc0 .LBB74_14
	s_branch .LBB74_28
.LBB74_30:                              ;   in Loop: Header=BB74_3 Depth=1
	s_mov_b32 s12, 0
.LBB74_31:                              ;   in Loop: Header=BB74_3 Depth=1
	s_delay_alu instid0(SALU_CYCLE_1)
	s_and_b32 vcc_lo, exec_lo, s12
	s_cbranch_vccz .LBB74_52
; %bb.32:                               ;   in Loop: Header=BB74_3 Depth=1
	s_mov_b32 s25, 0
	s_wait_xcnt 0x0
	s_mov_b32 s26, 0
.LBB74_33:                              ;   Parent Loop BB74_3 Depth=1
                                        ; =>  This Loop Header: Depth=2
                                        ;       Child Loop BB74_36 Depth 3
                                        ;         Child Loop BB74_37 Depth 4
                                        ;         Child Loop BB74_40 Depth 4
                                        ;           Child Loop BB74_41 Depth 5
                                        ;         Child Loop BB74_46 Depth 4
                                        ;           Child Loop BB74_48 Depth 5
	s_load_b32 s27, s[8:9], s26 offset:0x0 scale_offset
	s_wait_kmcnt 0x0
	s_add_co_i32 s28, s27, -1
	s_delay_alu instid0(SALU_CYCLE_1) | instskip(NEXT) | instid1(SALU_CYCLE_1)
	s_add_co_i32 s12, s28, s25
	s_cmp_ge_i32 s12, s1
	s_cbranch_scc1 .LBB74_49
; %bb.34:                               ;   in Loop: Header=BB74_33 Depth=2
	v_lshl_add_u32 v20, s25, 6, v42
	s_max_i32 s29, s27, 1
	s_lshl_b32 s30, s27, 6
	s_lshl_b32 s31, s25, 3
	;; [unrolled: 1-line block ×3, first 2 shown]
	s_mul_i32 s34, s25, 0x48
	s_mul_i32 s35, s27, 0x48
	s_branch .LBB74_36
.LBB74_35:                              ;   in Loop: Header=BB74_36 Depth=3
	s_add_co_i32 s25, s25, s27
	v_add_nc_u32_e32 v20, s30, v20
	s_add_co_i32 s12, s28, s25
	s_add_co_i32 s31, s31, s33
	;; [unrolled: 1-line block ×3, first 2 shown]
	s_cmp_ge_i32 s12, s1
	s_cbranch_scc1 .LBB74_49
.LBB74_36:                              ;   Parent Loop BB74_3 Depth=1
                                        ;     Parent Loop BB74_33 Depth=2
                                        ; =>    This Loop Header: Depth=3
                                        ;         Child Loop BB74_37 Depth 4
                                        ;         Child Loop BB74_40 Depth 4
                                        ;           Child Loop BB74_41 Depth 5
                                        ;         Child Loop BB74_46 Depth 4
                                        ;           Child Loop BB74_48 Depth 5
	v_mov_b32_e32 v18, v20
	s_mov_b64 s[12:13], 0
.LBB74_37:                              ;   Parent Loop BB74_3 Depth=1
                                        ;     Parent Loop BB74_33 Depth=2
                                        ;       Parent Loop BB74_36 Depth=3
                                        ; =>      This Inner Loop Header: Depth=4
	ds_load_b64 v[22:23], v18
	v_add_nc_u32_e32 v18, 64, v18
	s_lshl_b32 m0, s12, 1
	s_add_nc_u64 s[12:13], s[12:13], 1
	s_delay_alu instid0(SALU_CYCLE_1)
	s_cmp_eq_u32 s29, s12
	s_wait_dscnt 0x0
	v_movreld_b32_e32 v2, v22
	v_movreld_b32_e32 v3, v23
	s_cbranch_scc0 .LBB74_37
; %bb.38:                               ;   in Loop: Header=BB74_36 Depth=3
	s_cmp_lt_i32 s25, 1
	s_cbranch_scc1 .LBB74_43
; %bb.39:                               ;   in Loop: Header=BB74_36 Depth=3
	s_mov_b32 s14, 0
	s_mov_b32 s15, s31
.LBB74_40:                              ;   Parent Loop BB74_3 Depth=1
                                        ;     Parent Loop BB74_33 Depth=2
                                        ;       Parent Loop BB74_36 Depth=3
                                        ; =>      This Loop Header: Depth=4
                                        ;           Child Loop BB74_41 Depth 5
	v_lshl_add_u32 v18, s14, 6, v42
	s_mov_b64 s[12:13], 0
	s_mov_b32 s16, s15
	ds_load_b64 v[18:19], v18
.LBB74_41:                              ;   Parent Loop BB74_3 Depth=1
                                        ;     Parent Loop BB74_33 Depth=2
                                        ;       Parent Loop BB74_36 Depth=3
                                        ;         Parent Loop BB74_40 Depth=4
                                        ; =>        This Inner Loop Header: Depth=5
	s_lshl_b32 m0, s12, 1
	s_add_nc_u64 s[12:13], s[12:13], 1
	v_movrels_b32_e32 v25, v3
	v_movrels_b32_e32 v24, v2
	v_mov_b32_e32 v21, s16
	s_add_co_i32 s16, s16, 8
	s_cmp_eq_u32 s29, s12
	ds_load_b64 v[22:23], v21
	s_wait_dscnt 0x0
	v_fma_f64 v[22:23], -v[18:19], v[22:23], v[24:25]
	s_delay_alu instid0(VALU_DEP_1) | instskip(NEXT) | instid1(VALU_DEP_2)
	v_movreld_b32_e32 v2, v22
	v_movreld_b32_e32 v3, v23
	s_cbranch_scc0 .LBB74_41
; %bb.42:                               ;   in Loop: Header=BB74_40 Depth=4
	s_add_co_i32 s14, s14, 1
	s_add_co_i32 s15, s15, 64
	s_cmp_eq_u32 s14, s25
	s_cbranch_scc0 .LBB74_40
.LBB74_43:                              ;   in Loop: Header=BB74_36 Depth=3
	s_mov_b64 s[12:13], 0
	s_mov_b32 s36, s34
	s_branch .LBB74_46
.LBB74_44:                              ;   in Loop: Header=BB74_46 Depth=4
	s_mov_b64 s[14:15], 0
.LBB74_45:                              ;   in Loop: Header=BB74_46 Depth=4
	s_add_co_i32 s15, s12, s25
	s_lshl_b32 m0, s14, 1
	s_mul_i32 s16, s15, 0x48
	v_movrels_b32_e32 v23, v3
	v_mov_b32_e32 v18, s16
	v_movrels_b32_e32 v22, v2
	v_lshl_add_u32 v21, s15, 6, v42
	s_add_nc_u64 s[12:13], s[12:13], 1
	s_add_co_i32 s36, s36, 8
	ds_load_b64 v[18:19], v18
	s_cmp_eq_u32 s12, s29
	s_wait_dscnt 0x0
	v_mul_f64_e32 v[18:19], v[22:23], v[18:19]
	s_delay_alu instid0(VALU_DEP_1) | instskip(NEXT) | instid1(VALU_DEP_2)
	v_movreld_b32_e32 v2, v18
	v_movreld_b32_e32 v3, v19
	ds_store_b64 v21, v[18:19]
	s_cbranch_scc1 .LBB74_35
.LBB74_46:                              ;   Parent Loop BB74_3 Depth=1
                                        ;     Parent Loop BB74_33 Depth=2
                                        ;       Parent Loop BB74_36 Depth=3
                                        ; =>      This Loop Header: Depth=4
                                        ;           Child Loop BB74_48 Depth 5
	s_cmp_eq_u32 s12, 0
	s_cbranch_scc1 .LBB74_44
; %bb.47:                               ;   in Loop: Header=BB74_46 Depth=4
	s_mov_b64 s[14:15], s[12:13]
	s_mov_b64 s[16:17], 0
	s_lshl_b32 s15, s12, 1
	s_mov_b32 s37, s36
.LBB74_48:                              ;   Parent Loop BB74_3 Depth=1
                                        ;     Parent Loop BB74_33 Depth=2
                                        ;       Parent Loop BB74_36 Depth=3
                                        ;         Parent Loop BB74_46 Depth=4
                                        ; =>        This Inner Loop Header: Depth=5
	s_delay_alu instid0(SALU_CYCLE_1)
	v_mov_b32_e32 v18, s37
	s_lshl_b32 m0, s16, 1
	s_add_nc_u64 s[16:17], s[16:17], 1
	v_movrels_b32_e32 v23, v3
	v_movrels_b32_e32 v22, v2
	ds_load_b64 v[18:19], v18
	s_mov_b32 m0, s15
	s_add_co_i32 s37, s37, 64
	v_movrels_b32_e32 v25, v3
	v_movrels_b32_e32 v24, v2
	s_cmp_eq_u32 s12, s16
	s_wait_dscnt 0x0
	s_delay_alu instid0(VALU_DEP_1) | instskip(NEXT) | instid1(VALU_DEP_1)
	v_fma_f64 v[18:19], -v[22:23], v[18:19], v[24:25]
	v_movreld_b32_e32 v2, v18
	s_delay_alu instid0(VALU_DEP_2)
	v_movreld_b32_e32 v3, v19
	s_cbranch_scc0 .LBB74_48
	s_branch .LBB74_45
.LBB74_49:                              ;   in Loop: Header=BB74_33 Depth=2
	s_cmp_lt_i32 s25, s1
	s_cselect_b32 s13, -1, 0
	s_add_co_i32 s12, s26, 1
	s_cmp_lt_u32 s26, 2
	s_cselect_b32 s14, -1, 0
	s_delay_alu instid0(SALU_CYCLE_1) | instskip(NEXT) | instid1(SALU_CYCLE_1)
	s_and_b32 s13, s13, s14
	s_and_not1_b32 vcc_lo, exec_lo, s13
	s_cbranch_vccnz .LBB74_51
; %bb.50:                               ;   in Loop: Header=BB74_33 Depth=2
	s_wait_xcnt 0x0
	s_mov_b32 s26, s12
	s_branch .LBB74_33
.LBB74_51:                              ;   in Loop: Header=BB74_3 Depth=1
	v_mov_b64_e32 v[32:33], v[16:17]
	v_mov_b64_e32 v[30:31], v[14:15]
	;; [unrolled: 1-line block ×8, first 2 shown]
.LBB74_52:                              ;   in Loop: Header=BB74_3 Depth=1
	s_wait_dscnt 0x0
	; wave barrier
	s_and_saveexec_b32 s12, s18
	s_cbranch_execz .LBB74_2
; %bb.53:                               ;   in Loop: Header=BB74_3 Depth=1
	v_mov_b32_e32 v2, v42
	s_mov_b32 s13, s1
.LBB74_54:                              ;   Parent Loop BB74_3 Depth=1
                                        ; =>  This Inner Loop Header: Depth=2
	ds_load_b64 v[4:5], v2
	v_add_nc_u32_e32 v2, 64, v2
	s_add_co_i32 s13, s13, -1
	s_delay_alu instid0(SALU_CYCLE_1)
	s_cmp_lg_u32 s13, 0
	s_wait_dscnt 0x0
	global_store_b64 v[38:39], v[4:5], off
	s_wait_xcnt 0x0
	v_add_nc_u64_e32 v[38:39], 8, v[38:39]
	s_cbranch_scc1 .LBB74_54
	s_branch .LBB74_2
.LBB74_55:
	s_endpgm
	.section	.rodata,"a",@progbits
	.p2align	6, 0x0
	.amdhsa_kernel _ZL38rocblas_trsm_small_left_device_sharedBILi8ELi8ELb1EddPKdPdEv13rocblas_fill_18rocblas_operation_17rocblas_diagonal_iiT3_T4_lilT5_lili
		.amdhsa_group_segment_fixed_size 1024
		.amdhsa_private_segment_fixed_size 0
		.amdhsa_kernarg_size 360
		.amdhsa_user_sgpr_count 2
		.amdhsa_user_sgpr_dispatch_ptr 0
		.amdhsa_user_sgpr_queue_ptr 0
		.amdhsa_user_sgpr_kernarg_segment_ptr 1
		.amdhsa_user_sgpr_dispatch_id 0
		.amdhsa_user_sgpr_kernarg_preload_length 0
		.amdhsa_user_sgpr_kernarg_preload_offset 0
		.amdhsa_user_sgpr_private_segment_size 0
		.amdhsa_wavefront_size32 1
		.amdhsa_uses_dynamic_stack 0
		.amdhsa_enable_private_segment 0
		.amdhsa_system_sgpr_workgroup_id_x 1
		.amdhsa_system_sgpr_workgroup_id_y 0
		.amdhsa_system_sgpr_workgroup_id_z 1
		.amdhsa_system_sgpr_workgroup_info 0
		.amdhsa_system_vgpr_workitem_id 0
		.amdhsa_next_free_vgpr 48
		.amdhsa_next_free_sgpr 40
		.amdhsa_named_barrier_count 0
		.amdhsa_reserve_vcc 1
		.amdhsa_float_round_mode_32 0
		.amdhsa_float_round_mode_16_64 0
		.amdhsa_float_denorm_mode_32 3
		.amdhsa_float_denorm_mode_16_64 3
		.amdhsa_fp16_overflow 0
		.amdhsa_memory_ordered 1
		.amdhsa_forward_progress 1
		.amdhsa_inst_pref_size 17
		.amdhsa_round_robin_scheduling 0
		.amdhsa_exception_fp_ieee_invalid_op 0
		.amdhsa_exception_fp_denorm_src 0
		.amdhsa_exception_fp_ieee_div_zero 0
		.amdhsa_exception_fp_ieee_overflow 0
		.amdhsa_exception_fp_ieee_underflow 0
		.amdhsa_exception_fp_ieee_inexact 0
		.amdhsa_exception_int_div_zero 0
	.end_amdhsa_kernel
	.section	.text._ZL38rocblas_trsm_small_left_device_sharedBILi8ELi8ELb1EddPKdPdEv13rocblas_fill_18rocblas_operation_17rocblas_diagonal_iiT3_T4_lilT5_lili,"axG",@progbits,_ZL38rocblas_trsm_small_left_device_sharedBILi8ELi8ELb1EddPKdPdEv13rocblas_fill_18rocblas_operation_17rocblas_diagonal_iiT3_T4_lilT5_lili,comdat
.Lfunc_end74:
	.size	_ZL38rocblas_trsm_small_left_device_sharedBILi8ELi8ELb1EddPKdPdEv13rocblas_fill_18rocblas_operation_17rocblas_diagonal_iiT3_T4_lilT5_lili, .Lfunc_end74-_ZL38rocblas_trsm_small_left_device_sharedBILi8ELi8ELb1EddPKdPdEv13rocblas_fill_18rocblas_operation_17rocblas_diagonal_iiT3_T4_lilT5_lili
                                        ; -- End function
	.set _ZL38rocblas_trsm_small_left_device_sharedBILi8ELi8ELb1EddPKdPdEv13rocblas_fill_18rocblas_operation_17rocblas_diagonal_iiT3_T4_lilT5_lili.num_vgpr, 48
	.set _ZL38rocblas_trsm_small_left_device_sharedBILi8ELi8ELb1EddPKdPdEv13rocblas_fill_18rocblas_operation_17rocblas_diagonal_iiT3_T4_lilT5_lili.num_agpr, 0
	.set _ZL38rocblas_trsm_small_left_device_sharedBILi8ELi8ELb1EddPKdPdEv13rocblas_fill_18rocblas_operation_17rocblas_diagonal_iiT3_T4_lilT5_lili.numbered_sgpr, 40
	.set _ZL38rocblas_trsm_small_left_device_sharedBILi8ELi8ELb1EddPKdPdEv13rocblas_fill_18rocblas_operation_17rocblas_diagonal_iiT3_T4_lilT5_lili.num_named_barrier, 0
	.set _ZL38rocblas_trsm_small_left_device_sharedBILi8ELi8ELb1EddPKdPdEv13rocblas_fill_18rocblas_operation_17rocblas_diagonal_iiT3_T4_lilT5_lili.private_seg_size, 0
	.set _ZL38rocblas_trsm_small_left_device_sharedBILi8ELi8ELb1EddPKdPdEv13rocblas_fill_18rocblas_operation_17rocblas_diagonal_iiT3_T4_lilT5_lili.uses_vcc, 1
	.set _ZL38rocblas_trsm_small_left_device_sharedBILi8ELi8ELb1EddPKdPdEv13rocblas_fill_18rocblas_operation_17rocblas_diagonal_iiT3_T4_lilT5_lili.uses_flat_scratch, 0
	.set _ZL38rocblas_trsm_small_left_device_sharedBILi8ELi8ELb1EddPKdPdEv13rocblas_fill_18rocblas_operation_17rocblas_diagonal_iiT3_T4_lilT5_lili.has_dyn_sized_stack, 0
	.set _ZL38rocblas_trsm_small_left_device_sharedBILi8ELi8ELb1EddPKdPdEv13rocblas_fill_18rocblas_operation_17rocblas_diagonal_iiT3_T4_lilT5_lili.has_recursion, 0
	.set _ZL38rocblas_trsm_small_left_device_sharedBILi8ELi8ELb1EddPKdPdEv13rocblas_fill_18rocblas_operation_17rocblas_diagonal_iiT3_T4_lilT5_lili.has_indirect_call, 0
	.section	.AMDGPU.csdata,"",@progbits
; Kernel info:
; codeLenInByte = 2148
; TotalNumSgprs: 42
; NumVgprs: 48
; ScratchSize: 0
; MemoryBound: 0
; FloatMode: 240
; IeeeMode: 1
; LDSByteSize: 1024 bytes/workgroup (compile time only)
; SGPRBlocks: 0
; VGPRBlocks: 2
; NumSGPRsForWavesPerEU: 42
; NumVGPRsForWavesPerEU: 48
; NamedBarCnt: 0
; Occupancy: 16
; WaveLimiterHint : 0
; COMPUTE_PGM_RSRC2:SCRATCH_EN: 0
; COMPUTE_PGM_RSRC2:USER_SGPR: 2
; COMPUTE_PGM_RSRC2:TRAP_HANDLER: 0
; COMPUTE_PGM_RSRC2:TGID_X_EN: 1
; COMPUTE_PGM_RSRC2:TGID_Y_EN: 0
; COMPUTE_PGM_RSRC2:TGID_Z_EN: 1
; COMPUTE_PGM_RSRC2:TIDIG_COMP_CNT: 0
	.section	.text._ZL30rocblas_trsm_small_left_deviceILi8ELi8ELb1EddPKdPdEv13rocblas_fill_18rocblas_operation_17rocblas_diagonal_iiT3_T4_lilT5_lili,"axG",@progbits,_ZL30rocblas_trsm_small_left_deviceILi8ELi8ELb1EddPKdPdEv13rocblas_fill_18rocblas_operation_17rocblas_diagonal_iiT3_T4_lilT5_lili,comdat
	.globl	_ZL30rocblas_trsm_small_left_deviceILi8ELi8ELb1EddPKdPdEv13rocblas_fill_18rocblas_operation_17rocblas_diagonal_iiT3_T4_lilT5_lili ; -- Begin function _ZL30rocblas_trsm_small_left_deviceILi8ELi8ELb1EddPKdPdEv13rocblas_fill_18rocblas_operation_17rocblas_diagonal_iiT3_T4_lilT5_lili
	.p2align	8
	.type	_ZL30rocblas_trsm_small_left_deviceILi8ELi8ELb1EddPKdPdEv13rocblas_fill_18rocblas_operation_17rocblas_diagonal_iiT3_T4_lilT5_lili,@function
_ZL30rocblas_trsm_small_left_deviceILi8ELi8ELb1EddPKdPdEv13rocblas_fill_18rocblas_operation_17rocblas_diagonal_iiT3_T4_lilT5_lili: ; @_ZL30rocblas_trsm_small_left_deviceILi8ELi8ELb1EddPKdPdEv13rocblas_fill_18rocblas_operation_17rocblas_diagonal_iiT3_T4_lilT5_lili
; %bb.0:
	s_load_b32 s30, s[0:1], 0x60
	s_bfe_u32 s2, ttmp6, 0x40014
	s_lshr_b32 s4, ttmp7, 16
	s_add_co_i32 s2, s2, 1
	s_bfe_u32 s5, ttmp6, 0x40008
	s_mul_i32 s2, s4, s2
	s_getreg_b32 s3, hwreg(HW_REG_IB_STS2, 6, 4)
	s_add_co_i32 s5, s5, s2
	s_cmp_eq_u32 s3, 0
	s_mov_b32 s19, 0
	s_cselect_b32 s2, s4, s5
	s_wait_kmcnt 0x0
	s_cmp_ge_u32 s2, s30
	s_cbranch_scc1 .LBB75_52
; %bb.1:
	s_clause 0x4
	s_load_b96 s[16:18], s[0:1], 0x28
	s_load_b96 s[20:22], s[0:1], 0x48
	s_load_b128 s[8:11], s[0:1], 0x4
	s_load_b32 s28, s[0:1], 0x68
	s_load_b64 s[24:25], s[0:1], 0x58
	s_bfe_u32 s12, ttmp6, 0x4000c
	s_and_b32 s23, ttmp6, 15
	s_add_co_i32 s12, s12, 1
	s_load_b128 s[4:7], s[0:1], 0x18
	s_mul_i32 s26, ttmp9, s12
	s_load_b128 s[12:15], s[0:1], 0x38
	s_wait_xcnt 0x0
	s_add_co_i32 s0, s23, s26
	v_dual_lshlrev_b32 v34, 3, v0 :: v_dual_lshlrev_b32 v20, 6, v0
	s_mov_b32 s37, 0
	v_mov_b32_e32 v35, 0
	s_wait_kmcnt 0x0
	s_ashr_i32 s23, s18, 31
	s_ashr_i32 s1, s22, 31
	s_min_i32 s31, s10, 8
	s_lshl_b64 s[26:27], s[20:21], 3
	s_add_co_i32 s28, s28, -1
	s_add_co_i32 s33, s31, -1
	s_cmp_eq_u32 s3, 0
	s_get_pc_i64 s[20:21]
	s_add_nc_u64 s[20:21], s[20:21], __const._ZL30rocblas_trsm_small_left_deviceILi8ELi8ELb1EddPKdPdEv13rocblas_fill_18rocblas_operation_17rocblas_diagonal_iiT3_T4_lilT5_lili.step_sizes@rel64+4
	s_cselect_b32 s3, ttmp9, s0
	s_mov_b32 s0, s22
	s_lshl_b32 s10, s3, 3
	s_add_nc_u64 s[14:15], s[14:15], s[26:27]
	v_or_b32_e32 v4, s10, v0
	s_mov_b32 s22, s18
	v_dual_mov_b32 v2, v35 :: v_dual_mov_b32 v3, v35
	v_dual_mov_b32 v7, v35 :: v_dual_mov_b32 v8, v35
	s_delay_alu instid0(VALU_DEP_3) | instskip(SKIP_2) | instid1(VALU_DEP_3)
	v_dual_ashrrev_i32 v5, 31, v4 :: v_dual_mov_b32 v9, v35
	v_dual_mov_b32 v10, v35 :: v_dual_mov_b32 v6, v35
	v_dual_mov_b32 v11, v35 :: v_dual_mov_b32 v12, v35
	v_mul_u64_e32 v[18:19], s[0:1], v[4:5]
	s_sub_co_i32 s0, s11, s10
	s_cmp_ge_u32 s3, s28
	v_mov_b32_e32 v4, v35
	s_cselect_b32 s1, s0, 8
	s_cmp_lg_u32 s9, 0x84
	v_cmp_gt_i32_e64 s0, s31, v0
	s_cselect_b32 s34, -1, 0
	s_cmp_lg_u32 s8, 0x6f
	v_cmp_gt_i32_e64 s1, s1, v0
	s_cselect_b32 s35, -1, 0
	s_lshl_b64 s[16:17], s[16:17], 3
	v_mov_b32_e32 v5, v35
	s_add_nc_u64 s[6:7], s[6:7], s[16:17]
	v_dual_mov_b32 v13, v35 :: v_dual_mov_b32 v14, v35
	v_add_nc_u64_e32 v[0:1], s[6:7], v[34:35]
	v_dual_mov_b32 v15, v35 :: v_dual_mov_b32 v16, v35
	v_dual_mov_b32 v17, v35 :: v_dual_add_nc_u32 v35, v34, v20
	s_lshl_b32 s36, s31, 3
	s_lshl_b64 s[8:9], s[12:13], 3
	s_lshl_b64 s[10:11], s[22:23], 3
	;; [unrolled: 1-line block ×3, first 2 shown]
	s_add_co_i32 s36, s36, -8
	v_lshl_add_u64 v[36:37], v[18:19], 3, s[14:15]
	s_branch .LBB75_5
.LBB75_2:                               ;   in Loop: Header=BB75_5 Depth=1
	s_wait_xcnt 0x0
	v_mov_b64_e32 v[32:33], v[16:17]
	v_mov_b64_e32 v[30:31], v[14:15]
	;; [unrolled: 1-line block ×8, first 2 shown]
.LBB75_3:                               ;   in Loop: Header=BB75_5 Depth=1
	s_add_co_i32 s2, s2, 0x10000
	s_delay_alu instid0(SALU_CYCLE_1) | instskip(SKIP_1) | instid1(SALU_CYCLE_1)
	s_cmp_ge_u32 s2, s30
	s_cselect_b32 s3, -1, 0
	s_or_not1_b32 s12, s3, exec_lo
.LBB75_4:                               ;   in Loop: Header=BB75_5 Depth=1
	s_wait_xcnt 0x0
	s_or_b32 exec_lo, exec_lo, s38
	v_mov_b64_e32 v[2:3], v[18:19]
	v_mov_b64_e32 v[4:5], v[20:21]
	;; [unrolled: 1-line block ×8, first 2 shown]
	s_and_b32 s3, exec_lo, s12
	s_delay_alu instid0(SALU_CYCLE_1) | instskip(NEXT) | instid1(SALU_CYCLE_1)
	s_or_b32 s37, s3, s37
	s_and_not1_b32 exec_lo, exec_lo, s37
	s_cbranch_execz .LBB75_52
.LBB75_5:                               ; =>This Loop Header: Depth=1
                                        ;     Child Loop BB75_7 Depth 2
                                        ;     Child Loop BB75_16 Depth 2
                                        ;       Child Loop BB75_17 Depth 3
                                        ;       Child Loop BB75_19 Depth 3
                                        ;         Child Loop BB75_20 Depth 4
                                        ;       Child Loop BB75_25 Depth 3
                                        ;         Child Loop BB75_27 Depth 4
                                        ;     Child Loop BB75_29 Depth 2
                                        ;     Child Loop BB75_34 Depth 2
                                        ;       Child Loop BB75_37 Depth 3
                                        ;         Child Loop BB75_38 Depth 4
                                        ;         Child Loop BB75_41 Depth 4
                                        ;           Child Loop BB75_42 Depth 5
                                        ;         Child Loop BB75_47 Depth 4
                                        ;           Child Loop BB75_49 Depth 5
	s_mov_b32 s3, s19
	s_and_saveexec_b32 s12, s0
	s_cbranch_execz .LBB75_11
; %bb.6:                                ;   in Loop: Header=BB75_5 Depth=1
	v_mad_nc_u64_u32 v[18:19], s8, s2, v[0:1]
	v_mov_b32_e32 v20, v34
	s_mov_b32 s13, s31
	s_delay_alu instid0(VALU_DEP_2)
	v_mad_u32 v19, s9, s2, v19
.LBB75_7:                               ;   Parent Loop BB75_5 Depth=1
                                        ; =>  This Inner Loop Header: Depth=2
	global_load_b64 v[22:23], v[18:19], off
	s_wait_xcnt 0x0
	v_add_nc_u64_e32 v[18:19], s[10:11], v[18:19]
	s_add_co_i32 s13, s13, -1
	s_delay_alu instid0(SALU_CYCLE_1)
	s_cmp_eq_u32 s13, 0
	s_wait_loadcnt 0x0
	ds_store_b64 v20, v[22:23]
	v_add_nc_u32_e32 v20, 64, v20
	s_cbranch_scc0 .LBB75_7
; %bb.8:                                ;   in Loop: Header=BB75_5 Depth=1
	v_mov_b64_e32 v[18:19], 1.0
	s_and_b32 vcc_lo, exec_lo, s34
	s_cbranch_vccz .LBB75_10
; %bb.9:                                ;   in Loop: Header=BB75_5 Depth=1
	ds_load_b64 v[18:19], v35
	s_wait_dscnt 0x0
	v_div_scale_f64 v[20:21], null, v[18:19], v[18:19], 1.0
	s_delay_alu instid0(VALU_DEP_1) | instskip(SKIP_1) | instid1(TRANS32_DEP_1)
	v_rcp_f64_e32 v[22:23], v[20:21]
	v_nop
	v_fma_f64 v[24:25], -v[20:21], v[22:23], 1.0
	s_delay_alu instid0(VALU_DEP_1) | instskip(NEXT) | instid1(VALU_DEP_1)
	v_fmac_f64_e32 v[22:23], v[22:23], v[24:25]
	v_fma_f64 v[24:25], -v[20:21], v[22:23], 1.0
	s_delay_alu instid0(VALU_DEP_1) | instskip(SKIP_1) | instid1(VALU_DEP_1)
	v_fmac_f64_e32 v[22:23], v[22:23], v[24:25]
	v_div_scale_f64 v[24:25], vcc_lo, 1.0, v[18:19], 1.0
	v_mul_f64_e32 v[26:27], v[24:25], v[22:23]
	s_delay_alu instid0(VALU_DEP_1) | instskip(NEXT) | instid1(VALU_DEP_1)
	v_fma_f64 v[20:21], -v[20:21], v[26:27], v[24:25]
	v_div_fmas_f64 v[20:21], v[20:21], v[22:23], v[26:27]
	s_delay_alu instid0(VALU_DEP_1)
	v_div_fixup_f64 v[18:19], v[20:21], v[18:19], 1.0
.LBB75_10:                              ;   in Loop: Header=BB75_5 Depth=1
	ds_store_b64 v35, v[18:19]
.LBB75_11:                              ;   in Loop: Header=BB75_5 Depth=1
	s_or_b32 exec_lo, exec_lo, s12
	s_mov_b32 s12, -1
	s_wait_dscnt 0x0
	; wave barrier
                                        ; implicit-def: $vgpr18_vgpr19_vgpr20_vgpr21_vgpr22_vgpr23_vgpr24_vgpr25_vgpr26_vgpr27_vgpr28_vgpr29_vgpr30_vgpr31_vgpr32_vgpr33
	s_and_saveexec_b32 s38, s1
	s_cbranch_execz .LBB75_4
; %bb.12:                               ;   in Loop: Header=BB75_5 Depth=1
	s_mul_u64 s[12:13], s[24:25], s[2:3]
	s_and_not1_b32 vcc_lo, exec_lo, s35
	v_lshl_add_u64 v[38:39], s[12:13], 3, v[36:37]
	s_mul_u64 s[12:13], s[6:7], s[2:3]
	s_mov_b32 s3, -1
                                        ; implicit-def: $vgpr18_vgpr19_vgpr20_vgpr21_vgpr22_vgpr23_vgpr24_vgpr25_vgpr26_vgpr27_vgpr28_vgpr29_vgpr30_vgpr31_vgpr32_vgpr33
	s_cbranch_vccnz .LBB75_32
; %bb.13:                               ;   in Loop: Header=BB75_5 Depth=1
	v_mov_b64_e32 v[32:33], v[16:17]
	v_add_nc_u64_e32 v[40:41], s[12:13], v[36:37]
	v_mov_b64_e32 v[30:31], v[14:15]
	v_mov_b64_e32 v[28:29], v[12:13]
	;; [unrolled: 1-line block ×7, first 2 shown]
	s_mov_b32 s3, 0
	s_mov_b32 s14, s33
	s_load_b32 s18, s[20:21], s3 offset:0x0 scale_offset
	s_wait_kmcnt 0x0
	s_add_co_i32 s39, s18, -1
	s_delay_alu instid0(SALU_CYCLE_1)
	s_cmp_lt_i32 s14, s39
	s_cbranch_scc1 .LBB75_29
.LBB75_14:                              ;   in Loop: Header=BB75_5 Depth=1
	s_lshl_b32 s15, s14, 6
	s_lshl_b32 s16, s18, 6
	s_max_i32 s40, s18, 1
	s_add_co_i32 s41, s36, s15
	s_sub_co_i32 s42, 0, s16
	s_mul_i32 s43, s14, 0x48
	s_mul_i32 s44, s18, 0xffffffb8
	s_branch .LBB75_16
.LBB75_15:                              ;   in Loop: Header=BB75_16 Depth=2
	s_sub_co_i32 s14, s14, s18
	s_add_co_i32 s41, s41, s42
	s_add_co_i32 s43, s43, s44
	s_cmp_lt_i32 s14, s39
	s_cbranch_scc1 .LBB75_29
.LBB75_16:                              ;   Parent Loop BB75_5 Depth=1
                                        ; =>  This Loop Header: Depth=2
                                        ;       Child Loop BB75_17 Depth 3
                                        ;       Child Loop BB75_19 Depth 3
                                        ;         Child Loop BB75_20 Depth 4
                                        ;       Child Loop BB75_25 Depth 3
                                        ;         Child Loop BB75_27 Depth 4
	s_ashr_i32 s15, s14, 31
	s_mov_b64 s[16:17], 0
	s_wait_xcnt 0x0
	v_lshl_add_u64 v[42:43], s[14:15], 3, v[40:41]
.LBB75_17:                              ;   Parent Loop BB75_5 Depth=1
                                        ;     Parent Loop BB75_16 Depth=2
                                        ; =>    This Inner Loop Header: Depth=3
	global_load_b64 v[44:45], v[42:43], off
	s_wait_xcnt 0x0
	v_add_nc_u64_e32 v[42:43], -8, v[42:43]
	s_lshl_b32 m0, s16, 1
	s_add_nc_u64 s[16:17], s[16:17], 1
	s_delay_alu instid0(SALU_CYCLE_1) | instskip(SKIP_2) | instid1(VALU_DEP_1)
	s_cmp_eq_u32 s40, s16
	s_wait_loadcnt 0x0
	v_mul_f64_e32 v[44:45], s[4:5], v[44:45]
	v_movreld_b32_e32 v18, v44
	s_delay_alu instid0(VALU_DEP_2)
	v_movreld_b32_e32 v19, v45
	s_cbranch_scc0 .LBB75_17
; %bb.18:                               ;   in Loop: Header=BB75_16 Depth=2
	s_cmp_le_i32 s33, s14
	s_mov_b32 s26, s41
	s_mov_b32 s16, s33
	s_cbranch_scc1 .LBB75_22
.LBB75_19:                              ;   Parent Loop BB75_5 Depth=1
                                        ;     Parent Loop BB75_16 Depth=2
                                        ; =>    This Loop Header: Depth=3
                                        ;         Child Loop BB75_20 Depth 4
	s_ashr_i32 s17, s16, 31
	s_mov_b64 s[22:23], 0
	s_wait_xcnt 0x0
	v_lshl_add_u64 v[42:43], s[16:17], 3, v[38:39]
	s_mov_b32 s17, s26
	global_load_b64 v[42:43], v[42:43], off
.LBB75_20:                              ;   Parent Loop BB75_5 Depth=1
                                        ;     Parent Loop BB75_16 Depth=2
                                        ;       Parent Loop BB75_19 Depth=3
                                        ; =>      This Inner Loop Header: Depth=4
	v_mov_b32_e32 v44, s17
	s_lshl_b32 m0, s22, 1
	s_add_nc_u64 s[22:23], s[22:23], 1
	v_movrels_b32_e32 v47, v19
	v_movrels_b32_e32 v46, v18
	ds_load_b64 v[44:45], v44
	s_sub_co_i32 s17, s17, 64
	s_cmp_eq_u32 s40, s22
	s_wait_loadcnt_dscnt 0x0
	v_fma_f64 v[44:45], -v[42:43], v[44:45], v[46:47]
	s_delay_alu instid0(VALU_DEP_1) | instskip(NEXT) | instid1(VALU_DEP_2)
	v_movreld_b32_e32 v18, v44
	v_movreld_b32_e32 v19, v45
	s_cbranch_scc0 .LBB75_20
; %bb.21:                               ;   in Loop: Header=BB75_19 Depth=3
	s_add_co_i32 s16, s16, -1
	s_add_co_i32 s26, s26, -8
	s_cmp_le_i32 s16, s14
	s_cbranch_scc0 .LBB75_19
.LBB75_22:                              ;   in Loop: Header=BB75_16 Depth=2
	s_mov_b64 s[16:17], 0
	s_mov_b32 s45, s43
	s_branch .LBB75_25
.LBB75_23:                              ;   in Loop: Header=BB75_25 Depth=3
	s_mov_b32 s28, s14
	s_mov_b64 s[22:23], 0
	s_mov_b64 s[26:27], s[14:15]
.LBB75_24:                              ;   in Loop: Header=BB75_25 Depth=3
	s_mul_i32 s23, s28, 0x48
	s_lshl_b32 m0, s22, 1
	s_wait_xcnt 0x0
	v_mov_b32_e32 v42, s23
	v_movrels_b32_e32 v45, v19
	v_movrels_b32_e32 v44, v18
	s_add_nc_u64 s[16:17], s[16:17], 1
	s_sub_co_i32 s45, s45, 64
	ds_load_b64 v[42:43], v42
	s_cmp_eq_u32 s16, s40
	s_wait_dscnt 0x0
	v_mul_f64_e32 v[42:43], v[44:45], v[42:43]
	v_lshl_add_u64 v[44:45], s[26:27], 3, v[38:39]
	s_delay_alu instid0(VALU_DEP_2) | instskip(NEXT) | instid1(VALU_DEP_3)
	v_movreld_b32_e32 v18, v42
	v_movreld_b32_e32 v19, v43
	global_store_b64 v[44:45], v[42:43], off
	s_cbranch_scc1 .LBB75_15
.LBB75_25:                              ;   Parent Loop BB75_5 Depth=1
                                        ;     Parent Loop BB75_16 Depth=2
                                        ; =>    This Loop Header: Depth=3
                                        ;         Child Loop BB75_27 Depth 4
	s_cmp_eq_u32 s16, 0
	s_cbranch_scc1 .LBB75_23
; %bb.26:                               ;   in Loop: Header=BB75_25 Depth=3
	s_mov_b64 s[22:23], s[16:17]
	s_mov_b64 s[26:27], 0
	s_lshl_b32 s23, s16, 1
	s_mov_b32 s28, s45
.LBB75_27:                              ;   Parent Loop BB75_5 Depth=1
                                        ;     Parent Loop BB75_16 Depth=2
                                        ;       Parent Loop BB75_25 Depth=3
                                        ; =>      This Inner Loop Header: Depth=4
	s_wait_xcnt 0x0
	v_mov_b32_e32 v42, s28
	s_lshl_b32 m0, s26, 1
	s_add_nc_u64 s[26:27], s[26:27], 1
	v_movrels_b32_e32 v45, v19
	v_movrels_b32_e32 v44, v18
	ds_load_b64 v[42:43], v42
	s_mov_b32 m0, s23
	s_add_co_i32 s28, s28, -8
	v_movrels_b32_e32 v47, v19
	v_movrels_b32_e32 v46, v18
	s_cmp_eq_u32 s16, s26
	s_wait_dscnt 0x0
	s_delay_alu instid0(VALU_DEP_1) | instskip(NEXT) | instid1(VALU_DEP_1)
	v_fma_f64 v[42:43], -v[44:45], v[42:43], v[46:47]
	v_movreld_b32_e32 v18, v42
	s_delay_alu instid0(VALU_DEP_2)
	v_movreld_b32_e32 v19, v43
	s_cbranch_scc0 .LBB75_27
; %bb.28:                               ;   in Loop: Header=BB75_25 Depth=3
	s_sub_co_i32 s28, s14, s16
	s_delay_alu instid0(SALU_CYCLE_1) | instskip(NEXT) | instid1(SALU_CYCLE_1)
	s_ashr_i32 s29, s28, 31
	s_mov_b64 s[26:27], s[28:29]
	s_branch .LBB75_24
.LBB75_29:                              ;   Parent Loop BB75_5 Depth=1
                                        ; =>  This Inner Loop Header: Depth=2
	s_cmp_gt_i32 s14, -1
	s_cselect_b32 s16, -1, 0
	s_add_co_i32 s15, s3, 1
	s_cmp_lt_u32 s3, 2
	s_wait_xcnt 0x0
	s_cselect_b32 s3, -1, 0
	s_delay_alu instid0(SALU_CYCLE_1) | instskip(NEXT) | instid1(SALU_CYCLE_1)
	s_and_b32 s3, s16, s3
	s_and_b32 vcc_lo, exec_lo, s3
	s_cbranch_vccz .LBB75_31
; %bb.30:                               ;   in Loop: Header=BB75_29 Depth=2
	s_mov_b32 s3, s15
	s_load_b32 s18, s[20:21], s3 offset:0x0 scale_offset
	s_wait_kmcnt 0x0
	s_add_co_i32 s39, s18, -1
	s_delay_alu instid0(SALU_CYCLE_1)
	s_cmp_lt_i32 s14, s39
	s_cbranch_scc0 .LBB75_14
	s_branch .LBB75_29
.LBB75_31:                              ;   in Loop: Header=BB75_5 Depth=1
	s_mov_b32 s3, 0
.LBB75_32:                              ;   in Loop: Header=BB75_5 Depth=1
	s_delay_alu instid0(SALU_CYCLE_1)
	s_and_b32 vcc_lo, exec_lo, s3
	s_cbranch_vccz .LBB75_3
; %bb.33:                               ;   in Loop: Header=BB75_5 Depth=1
	v_add_nc_u64_e32 v[18:19], s[12:13], v[36:37]
	s_mov_b32 s12, 0
	s_mov_b32 s3, 0
.LBB75_34:                              ;   Parent Loop BB75_5 Depth=1
                                        ; =>  This Loop Header: Depth=2
                                        ;       Child Loop BB75_37 Depth 3
                                        ;         Child Loop BB75_38 Depth 4
                                        ;         Child Loop BB75_41 Depth 4
                                        ;           Child Loop BB75_42 Depth 5
                                        ;         Child Loop BB75_47 Depth 4
                                        ;           Child Loop BB75_49 Depth 5
	s_load_b32 s14, s[20:21], s3 offset:0x0 scale_offset
	s_wait_kmcnt 0x0
	s_add_co_i32 s39, s14, -1
	s_delay_alu instid0(SALU_CYCLE_1) | instskip(NEXT) | instid1(SALU_CYCLE_1)
	s_add_co_i32 s13, s39, s12
	s_cmp_ge_i32 s13, s31
	s_cbranch_scc1 .LBB75_50
; %bb.35:                               ;   in Loop: Header=BB75_34 Depth=2
	s_ashr_i32 s13, s12, 31
	s_ashr_i32 s15, s14, 31
	v_lshl_add_u64 v[20:21], s[12:13], 3, v[18:19]
	s_max_i32 s40, s14, 1
	s_lshl_b64 s[16:17], s[14:15], 3
	s_lshl_b32 s13, s12, 3
	s_lshl_b32 s15, s14, 3
	s_mul_i32 s41, s12, 0x48
	s_mul_i32 s42, s14, 0x48
	s_branch .LBB75_37
.LBB75_36:                              ;   in Loop: Header=BB75_37 Depth=3
	v_add_nc_u64_e32 v[20:21], s[16:17], v[20:21]
	s_add_co_i32 s12, s12, s14
	s_add_co_i32 s13, s13, s15
	;; [unrolled: 1-line block ×4, first 2 shown]
	s_cmp_ge_i32 s18, s31
	s_cbranch_scc1 .LBB75_50
.LBB75_37:                              ;   Parent Loop BB75_5 Depth=1
                                        ;     Parent Loop BB75_34 Depth=2
                                        ; =>    This Loop Header: Depth=3
                                        ;         Child Loop BB75_38 Depth 4
                                        ;         Child Loop BB75_41 Depth 4
                                        ;           Child Loop BB75_42 Depth 5
                                        ;         Child Loop BB75_47 Depth 4
                                        ;           Child Loop BB75_49 Depth 5
	s_wait_xcnt 0x0
	v_mov_b64_e32 v[22:23], v[20:21]
	s_mov_b64 s[22:23], 0
.LBB75_38:                              ;   Parent Loop BB75_5 Depth=1
                                        ;     Parent Loop BB75_34 Depth=2
                                        ;       Parent Loop BB75_37 Depth=3
                                        ; =>      This Inner Loop Header: Depth=4
	global_load_b64 v[24:25], v[22:23], off
	s_wait_xcnt 0x0
	v_add_nc_u64_e32 v[22:23], 8, v[22:23]
	s_lshl_b32 m0, s22, 1
	s_add_nc_u64 s[22:23], s[22:23], 1
	s_delay_alu instid0(SALU_CYCLE_1) | instskip(SKIP_2) | instid1(VALU_DEP_1)
	s_cmp_eq_u32 s40, s22
	s_wait_loadcnt 0x0
	v_mul_f64_e32 v[24:25], s[4:5], v[24:25]
	v_movreld_b32_e32 v2, v24
	s_delay_alu instid0(VALU_DEP_2)
	v_movreld_b32_e32 v3, v25
	s_cbranch_scc0 .LBB75_38
; %bb.39:                               ;   in Loop: Header=BB75_37 Depth=3
	s_cmp_lt_i32 s12, 1
	s_cbranch_scc1 .LBB75_44
; %bb.40:                               ;   in Loop: Header=BB75_37 Depth=3
	s_mov_b32 s18, 0
	s_mov_b32 s26, s13
.LBB75_41:                              ;   Parent Loop BB75_5 Depth=1
                                        ;     Parent Loop BB75_34 Depth=2
                                        ;       Parent Loop BB75_37 Depth=3
                                        ; =>      This Loop Header: Depth=4
                                        ;           Child Loop BB75_42 Depth 5
	s_wait_xcnt 0x0
	v_lshl_add_u64 v[22:23], s[18:19], 3, v[38:39]
	s_mov_b64 s[22:23], 0
	s_mov_b32 s27, s26
	global_load_b64 v[22:23], v[22:23], off
.LBB75_42:                              ;   Parent Loop BB75_5 Depth=1
                                        ;     Parent Loop BB75_34 Depth=2
                                        ;       Parent Loop BB75_37 Depth=3
                                        ;         Parent Loop BB75_41 Depth=4
                                        ; =>        This Inner Loop Header: Depth=5
	v_mov_b32_e32 v24, s27
	s_lshl_b32 m0, s22, 1
	s_add_nc_u64 s[22:23], s[22:23], 1
	v_movrels_b32_e32 v27, v3
	v_movrels_b32_e32 v26, v2
	ds_load_b64 v[24:25], v24
	s_add_co_i32 s27, s27, 8
	s_cmp_eq_u32 s40, s22
	s_wait_loadcnt_dscnt 0x0
	v_fma_f64 v[24:25], -v[22:23], v[24:25], v[26:27]
	s_delay_alu instid0(VALU_DEP_1) | instskip(NEXT) | instid1(VALU_DEP_2)
	v_movreld_b32_e32 v2, v24
	v_movreld_b32_e32 v3, v25
	s_cbranch_scc0 .LBB75_42
; %bb.43:                               ;   in Loop: Header=BB75_41 Depth=4
	s_add_co_i32 s18, s18, 1
	s_add_co_i32 s26, s26, 64
	s_cmp_eq_u32 s18, s12
	s_cbranch_scc0 .LBB75_41
.LBB75_44:                              ;   in Loop: Header=BB75_37 Depth=3
	s_mov_b64 s[22:23], 0
	s_mov_b32 s18, s41
	s_branch .LBB75_47
.LBB75_45:                              ;   in Loop: Header=BB75_47 Depth=4
	s_mov_b64 s[26:27], 0
.LBB75_46:                              ;   in Loop: Header=BB75_47 Depth=4
	s_add_co_i32 s28, s22, s12
	s_lshl_b32 m0, s26, 1
	s_mul_i32 s27, s28, 0x48
	s_wait_xcnt 0x0
	v_movrels_b32_e32 v25, v3
	s_wait_xcnt 0x0
	v_mov_b32_e32 v22, s27
	v_movrels_b32_e32 v24, v2
	s_ashr_i32 s29, s28, 31
	s_add_nc_u64 s[22:23], s[22:23], 1
	s_add_co_i32 s18, s18, 8
	ds_load_b64 v[22:23], v22
	s_cmp_eq_u32 s22, s40
	s_wait_dscnt 0x0
	v_mul_f64_e32 v[22:23], v[24:25], v[22:23]
	v_lshl_add_u64 v[24:25], s[28:29], 3, v[38:39]
	s_delay_alu instid0(VALU_DEP_2) | instskip(NEXT) | instid1(VALU_DEP_3)
	v_movreld_b32_e32 v2, v22
	v_movreld_b32_e32 v3, v23
	global_store_b64 v[24:25], v[22:23], off
	s_cbranch_scc1 .LBB75_36
.LBB75_47:                              ;   Parent Loop BB75_5 Depth=1
                                        ;     Parent Loop BB75_34 Depth=2
                                        ;       Parent Loop BB75_37 Depth=3
                                        ; =>      This Loop Header: Depth=4
                                        ;           Child Loop BB75_49 Depth 5
	s_cmp_eq_u32 s22, 0
	s_cbranch_scc1 .LBB75_45
; %bb.48:                               ;   in Loop: Header=BB75_47 Depth=4
	s_mov_b64 s[26:27], s[22:23]
	s_mov_b64 s[28:29], 0
	s_lshl_b32 s27, s22, 1
	s_mov_b32 s43, s18
.LBB75_49:                              ;   Parent Loop BB75_5 Depth=1
                                        ;     Parent Loop BB75_34 Depth=2
                                        ;       Parent Loop BB75_37 Depth=3
                                        ;         Parent Loop BB75_47 Depth=4
                                        ; =>        This Inner Loop Header: Depth=5
	s_wait_xcnt 0x0
	v_mov_b32_e32 v22, s43
	s_lshl_b32 m0, s28, 1
	s_add_nc_u64 s[28:29], s[28:29], 1
	v_movrels_b32_e32 v25, v3
	v_movrels_b32_e32 v24, v2
	ds_load_b64 v[22:23], v22
	s_mov_b32 m0, s27
	s_add_co_i32 s43, s43, 64
	v_movrels_b32_e32 v27, v3
	v_movrels_b32_e32 v26, v2
	s_cmp_eq_u32 s22, s28
	s_wait_dscnt 0x0
	s_delay_alu instid0(VALU_DEP_1) | instskip(NEXT) | instid1(VALU_DEP_1)
	v_fma_f64 v[22:23], -v[24:25], v[22:23], v[26:27]
	v_movreld_b32_e32 v2, v22
	s_delay_alu instid0(VALU_DEP_2)
	v_movreld_b32_e32 v3, v23
	s_cbranch_scc0 .LBB75_49
	s_branch .LBB75_46
.LBB75_50:                              ;   in Loop: Header=BB75_34 Depth=2
	s_cmp_lt_i32 s12, s31
	s_cselect_b32 s14, -1, 0
	s_add_co_i32 s13, s3, 1
	s_cmp_lt_u32 s3, 2
	s_wait_xcnt 0x0
	s_cselect_b32 s3, -1, 0
	s_delay_alu instid0(SALU_CYCLE_1) | instskip(NEXT) | instid1(SALU_CYCLE_1)
	s_and_b32 s3, s14, s3
	s_and_not1_b32 vcc_lo, exec_lo, s3
	s_cbranch_vccnz .LBB75_2
; %bb.51:                               ;   in Loop: Header=BB75_34 Depth=2
	s_mov_b32 s3, s13
	s_branch .LBB75_34
.LBB75_52:
	s_endpgm
	.section	.rodata,"a",@progbits
	.p2align	6, 0x0
	.amdhsa_kernel _ZL30rocblas_trsm_small_left_deviceILi8ELi8ELb1EddPKdPdEv13rocblas_fill_18rocblas_operation_17rocblas_diagonal_iiT3_T4_lilT5_lili
		.amdhsa_group_segment_fixed_size 512
		.amdhsa_private_segment_fixed_size 0
		.amdhsa_kernarg_size 360
		.amdhsa_user_sgpr_count 2
		.amdhsa_user_sgpr_dispatch_ptr 0
		.amdhsa_user_sgpr_queue_ptr 0
		.amdhsa_user_sgpr_kernarg_segment_ptr 1
		.amdhsa_user_sgpr_dispatch_id 0
		.amdhsa_user_sgpr_kernarg_preload_length 0
		.amdhsa_user_sgpr_kernarg_preload_offset 0
		.amdhsa_user_sgpr_private_segment_size 0
		.amdhsa_wavefront_size32 1
		.amdhsa_uses_dynamic_stack 0
		.amdhsa_enable_private_segment 0
		.amdhsa_system_sgpr_workgroup_id_x 1
		.amdhsa_system_sgpr_workgroup_id_y 0
		.amdhsa_system_sgpr_workgroup_id_z 1
		.amdhsa_system_sgpr_workgroup_info 0
		.amdhsa_system_vgpr_workitem_id 0
		.amdhsa_next_free_vgpr 48
		.amdhsa_next_free_sgpr 46
		.amdhsa_named_barrier_count 0
		.amdhsa_reserve_vcc 1
		.amdhsa_float_round_mode_32 0
		.amdhsa_float_round_mode_16_64 0
		.amdhsa_float_denorm_mode_32 3
		.amdhsa_float_denorm_mode_16_64 3
		.amdhsa_fp16_overflow 0
		.amdhsa_memory_ordered 1
		.amdhsa_forward_progress 1
		.amdhsa_inst_pref_size 17
		.amdhsa_round_robin_scheduling 0
		.amdhsa_exception_fp_ieee_invalid_op 0
		.amdhsa_exception_fp_denorm_src 0
		.amdhsa_exception_fp_ieee_div_zero 0
		.amdhsa_exception_fp_ieee_overflow 0
		.amdhsa_exception_fp_ieee_underflow 0
		.amdhsa_exception_fp_ieee_inexact 0
		.amdhsa_exception_int_div_zero 0
	.end_amdhsa_kernel
	.section	.text._ZL30rocblas_trsm_small_left_deviceILi8ELi8ELb1EddPKdPdEv13rocblas_fill_18rocblas_operation_17rocblas_diagonal_iiT3_T4_lilT5_lili,"axG",@progbits,_ZL30rocblas_trsm_small_left_deviceILi8ELi8ELb1EddPKdPdEv13rocblas_fill_18rocblas_operation_17rocblas_diagonal_iiT3_T4_lilT5_lili,comdat
.Lfunc_end75:
	.size	_ZL30rocblas_trsm_small_left_deviceILi8ELi8ELb1EddPKdPdEv13rocblas_fill_18rocblas_operation_17rocblas_diagonal_iiT3_T4_lilT5_lili, .Lfunc_end75-_ZL30rocblas_trsm_small_left_deviceILi8ELi8ELb1EddPKdPdEv13rocblas_fill_18rocblas_operation_17rocblas_diagonal_iiT3_T4_lilT5_lili
                                        ; -- End function
	.set _ZL30rocblas_trsm_small_left_deviceILi8ELi8ELb1EddPKdPdEv13rocblas_fill_18rocblas_operation_17rocblas_diagonal_iiT3_T4_lilT5_lili.num_vgpr, 48
	.set _ZL30rocblas_trsm_small_left_deviceILi8ELi8ELb1EddPKdPdEv13rocblas_fill_18rocblas_operation_17rocblas_diagonal_iiT3_T4_lilT5_lili.num_agpr, 0
	.set _ZL30rocblas_trsm_small_left_deviceILi8ELi8ELb1EddPKdPdEv13rocblas_fill_18rocblas_operation_17rocblas_diagonal_iiT3_T4_lilT5_lili.numbered_sgpr, 46
	.set _ZL30rocblas_trsm_small_left_deviceILi8ELi8ELb1EddPKdPdEv13rocblas_fill_18rocblas_operation_17rocblas_diagonal_iiT3_T4_lilT5_lili.num_named_barrier, 0
	.set _ZL30rocblas_trsm_small_left_deviceILi8ELi8ELb1EddPKdPdEv13rocblas_fill_18rocblas_operation_17rocblas_diagonal_iiT3_T4_lilT5_lili.private_seg_size, 0
	.set _ZL30rocblas_trsm_small_left_deviceILi8ELi8ELb1EddPKdPdEv13rocblas_fill_18rocblas_operation_17rocblas_diagonal_iiT3_T4_lilT5_lili.uses_vcc, 1
	.set _ZL30rocblas_trsm_small_left_deviceILi8ELi8ELb1EddPKdPdEv13rocblas_fill_18rocblas_operation_17rocblas_diagonal_iiT3_T4_lilT5_lili.uses_flat_scratch, 0
	.set _ZL30rocblas_trsm_small_left_deviceILi8ELi8ELb1EddPKdPdEv13rocblas_fill_18rocblas_operation_17rocblas_diagonal_iiT3_T4_lilT5_lili.has_dyn_sized_stack, 0
	.set _ZL30rocblas_trsm_small_left_deviceILi8ELi8ELb1EddPKdPdEv13rocblas_fill_18rocblas_operation_17rocblas_diagonal_iiT3_T4_lilT5_lili.has_recursion, 0
	.set _ZL30rocblas_trsm_small_left_deviceILi8ELi8ELb1EddPKdPdEv13rocblas_fill_18rocblas_operation_17rocblas_diagonal_iiT3_T4_lilT5_lili.has_indirect_call, 0
	.section	.AMDGPU.csdata,"",@progbits
; Kernel info:
; codeLenInByte = 2112
; TotalNumSgprs: 48
; NumVgprs: 48
; ScratchSize: 0
; MemoryBound: 0
; FloatMode: 240
; IeeeMode: 1
; LDSByteSize: 512 bytes/workgroup (compile time only)
; SGPRBlocks: 0
; VGPRBlocks: 2
; NumSGPRsForWavesPerEU: 48
; NumVGPRsForWavesPerEU: 48
; NamedBarCnt: 0
; Occupancy: 16
; WaveLimiterHint : 0
; COMPUTE_PGM_RSRC2:SCRATCH_EN: 0
; COMPUTE_PGM_RSRC2:USER_SGPR: 2
; COMPUTE_PGM_RSRC2:TRAP_HANDLER: 0
; COMPUTE_PGM_RSRC2:TGID_X_EN: 1
; COMPUTE_PGM_RSRC2:TGID_Y_EN: 0
; COMPUTE_PGM_RSRC2:TGID_Z_EN: 1
; COMPUTE_PGM_RSRC2:TIDIG_COMP_CNT: 0
	.section	.text._ZL31rocblas_trsm_small_right_deviceIddPKdPdLi8EEv13rocblas_fill_18rocblas_operation_17rocblas_diagonal_iiT0_T1_lilT2_lili,"axG",@progbits,_ZL31rocblas_trsm_small_right_deviceIddPKdPdLi8EEv13rocblas_fill_18rocblas_operation_17rocblas_diagonal_iiT0_T1_lilT2_lili,comdat
	.globl	_ZL31rocblas_trsm_small_right_deviceIddPKdPdLi8EEv13rocblas_fill_18rocblas_operation_17rocblas_diagonal_iiT0_T1_lilT2_lili ; -- Begin function _ZL31rocblas_trsm_small_right_deviceIddPKdPdLi8EEv13rocblas_fill_18rocblas_operation_17rocblas_diagonal_iiT0_T1_lilT2_lili
	.p2align	8
	.type	_ZL31rocblas_trsm_small_right_deviceIddPKdPdLi8EEv13rocblas_fill_18rocblas_operation_17rocblas_diagonal_iiT0_T1_lilT2_lili,@function
_ZL31rocblas_trsm_small_right_deviceIddPKdPdLi8EEv13rocblas_fill_18rocblas_operation_17rocblas_diagonal_iiT0_T1_lilT2_lili: ; @_ZL31rocblas_trsm_small_right_deviceIddPKdPdLi8EEv13rocblas_fill_18rocblas_operation_17rocblas_diagonal_iiT0_T1_lilT2_lili
; %bb.0:
	s_load_b32 s23, s[0:1], 0x60
	s_bfe_u32 s2, ttmp6, 0x40014
	s_lshr_b32 s3, ttmp7, 16
	s_add_co_i32 s2, s2, 1
	s_bfe_u32 s5, ttmp6, 0x40008
	s_mul_i32 s4, s3, s2
	s_getreg_b32 s2, hwreg(HW_REG_IB_STS2, 6, 4)
	s_add_co_i32 s5, s5, s4
	s_cmp_eq_u32 s2, 0
	s_cselect_b32 s24, s3, s5
	s_wait_kmcnt 0x0
	s_cmp_ge_u32 s24, s23
	s_cbranch_scc1 .LBB76_83
; %bb.1:
	s_clause 0x6
	s_load_b96 s[16:18], s[0:1], 0x28
	s_load_b96 s[20:22], s[0:1], 0x48
	s_load_b128 s[12:15], s[0:1], 0x0
	s_load_b32 s25, s[0:1], 0x10
	s_load_b32 s3, s[0:1], 0x68
	s_load_b128 s[4:7], s[0:1], 0x18
	s_load_b64 s[34:35], s[0:1], 0x58
	v_dual_lshlrev_b32 v4, 3, v0 :: v_dual_lshlrev_b32 v1, 6, v0
	v_mov_b64_e32 v[10:11], 1.0
	s_delay_alu instid0(VALU_DEP_2) | instskip(NEXT) | instid1(VALU_DEP_3)
	v_or_b32_e32 v18, 0x200, v4
	v_add_nc_u32_e32 v20, v4, v1
	s_wait_kmcnt 0x0
	s_ashr_i32 s31, s18, 31
	s_ashr_i32 s19, s22, 31
	s_cmp_lg_u32 s12, 0x7a
	s_mov_b32 s30, s18
	s_cselect_b32 s28, -1, 0
	s_bfe_u32 s8, ttmp6, 0x4000c
	s_min_i32 s26, s25, 8
	s_add_co_i32 s8, s8, 1
	s_and_b32 s9, ttmp6, 15
	s_mul_i32 s8, ttmp9, s8
	s_add_co_i32 s3, s3, -1
	s_add_co_i32 s27, s26, -1
	s_add_co_i32 s29, s9, s8
	s_cmp_eq_u32 s2, 0
	s_load_b128 s[8:11], s[0:1], 0x38
	s_cselect_b32 s2, ttmp9, s29
	s_mov_b32 s18, s22
	s_wait_xcnt 0x0
	s_lshl_b32 s0, s2, 3
	s_delay_alu instid0(SALU_CYCLE_1)
	s_sub_co_i32 s0, s15, s0
	s_cmp_ge_u32 s2, s3
	s_cselect_b32 s0, s0, 8
	s_ashr_i32 s3, s2, 31
	v_cmp_gt_i32_e32 vcc_lo, s0, v0
	s_lshl_b64 s[36:37], s[2:3], 6
	s_cmp_eq_u32 s14, 0x84
	s_cselect_b32 s1, -1, 0
	s_cmp_gt_i32 s25, 0
	s_cselect_b32 s2, -1, 0
	s_cmp_lg_u32 s13, 0x6f
	s_cselect_b32 s3, -1, 0
	s_cmp_lg_u32 s12, 0x79
	s_cselect_b32 s0, -1, 0
	s_or_b32 s14, s28, s3
	s_or_b32 s15, s0, s3
	s_cmp_gt_i32 s25, 3
	v_cndmask_b32_e64 v19, 0, 1, s0
	s_cselect_b32 s22, -1, 0
	s_lshl_b64 s[16:17], s[16:17], 3
	s_lshl_b64 s[20:21], s[20:21], 3
	s_lshl_b32 s29, s26, 6
	v_mov_b32_e32 v5, 0
	s_add_nc_u64 s[6:7], s[6:7], s[16:17]
	s_add_nc_u64 s[16:17], s[36:37], s[20:21]
	v_cmp_gt_i32_e64 s0, s26, v0
	v_or_b32_e32 v0, s29, v4
	s_wait_kmcnt 0x0
	s_add_nc_u64 s[10:11], s[10:11], s[16:17]
	v_add_nc_u64_e32 v[6:7], s[6:7], v[4:5]
	v_add_nc_u64_e32 v[8:9], s[10:11], v[4:5]
	s_mul_i32 s17, s26, 0x48
	v_add_nc_u32_e32 v5, 0x1c0, v0
	s_lshl_b64 s[6:7], s[18:19], 3
	s_lshl_b32 s19, s26, 3
	s_and_b32 s28, vcc_lo, s2
	s_lshl_b64 s[2:3], s[8:9], 3
	s_lshl_b64 s[8:9], s[30:31], 3
	s_lshl_b64 s[12:13], s[34:35], 3
	s_add_co_i32 s10, s17, 0xffffffa0
	s_sub_co_i32 s11, s29, 64
	s_add_co_i32 s16, s29, 0xffffffb8
	s_addk_co_i32 s17, 0xfef8
	s_add_co_i32 s18, s19, -8
	s_addk_co_i32 s19, 0xffb8
	s_branch .LBB76_3
.LBB76_2:                               ;   in Loop: Header=BB76_3 Depth=1
	s_or_b32 exec_lo, exec_lo, s20
	s_add_co_i32 s24, s24, 0x10000
	s_delay_alu instid0(SALU_CYCLE_1)
	s_cmp_lt_u32 s24, s23
	s_cbranch_scc0 .LBB76_83
.LBB76_3:                               ; =>This Loop Header: Depth=1
                                        ;     Child Loop BB76_5 Depth 2
                                        ;     Child Loop BB76_10 Depth 2
	;; [unrolled: 1-line block ×3, first 2 shown]
                                        ;       Child Loop BB76_17 Depth 3
                                        ;     Child Loop BB76_23 Depth 2
                                        ;       Child Loop BB76_24 Depth 3
                                        ;     Child Loop BB76_28 Depth 2
	;; [unrolled: 2-line block ×3, first 2 shown]
                                        ;     Child Loop BB76_42 Depth 2
                                        ;       Child Loop BB76_43 Depth 3
                                        ;       Child Loop BB76_45 Depth 3
                                        ;     Child Loop BB76_49 Depth 2
                                        ;       Child Loop BB76_50 Depth 3
                                        ;     Child Loop BB76_58 Depth 2
                                        ;     Child Loop BB76_63 Depth 2
                                        ;       Child Loop BB76_64 Depth 3
                                        ;       Child Loop BB76_66 Depth 3
                                        ;     Child Loop BB76_71 Depth 2
                                        ;       Child Loop BB76_72 Depth 3
                                        ;     Child Loop BB76_78 Depth 2
	;; [unrolled: 2-line block ×3, first 2 shown]
	s_and_saveexec_b32 s20, s0
	s_cbranch_execz .LBB76_8
; %bb.4:                                ;   in Loop: Header=BB76_3 Depth=1
	v_mad_nc_u64_u32 v[0:1], s2, s24, v[6:7]
	v_mov_b32_e32 v2, v4
	s_mov_b32 s21, s26
	s_delay_alu instid0(VALU_DEP_2)
	v_mad_u32 v1, s3, s24, v1
.LBB76_5:                               ;   Parent Loop BB76_3 Depth=1
                                        ; =>  This Inner Loop Header: Depth=2
	global_load_b64 v[12:13], v[0:1], off
	s_wait_xcnt 0x0
	v_add_nc_u64_e32 v[0:1], s[8:9], v[0:1]
	s_add_co_i32 s21, s21, -1
	s_delay_alu instid0(SALU_CYCLE_1)
	s_cmp_eq_u32 s21, 0
	s_wait_loadcnt 0x0
	ds_store_b64 v2, v[12:13]
	v_add_nc_u32_e32 v2, 64, v2
	s_cbranch_scc0 .LBB76_5
; %bb.6:                                ;   in Loop: Header=BB76_3 Depth=1
	s_and_b32 vcc_lo, exec_lo, s1
	s_cbranch_vccz .LBB76_8
; %bb.7:                                ;   in Loop: Header=BB76_3 Depth=1
	ds_store_b64 v20, v[10:11]
.LBB76_8:                               ;   in Loop: Header=BB76_3 Depth=1
	s_or_b32 exec_lo, exec_lo, s20
	v_mad_nc_u64_u32 v[12:13], s12, s24, v[8:9]
	s_delay_alu instid0(VALU_DEP_1)
	v_mad_u32 v13, s13, s24, v13
	s_and_saveexec_b32 s20, s28
	s_cbranch_execz .LBB76_11
; %bb.9:                                ;   in Loop: Header=BB76_3 Depth=1
	s_delay_alu instid0(VALU_DEP_1)
	v_mov_b64_e32 v[0:1], v[12:13]
	v_mov_b32_e32 v2, v18
	s_mov_b32 s21, s25
.LBB76_10:                              ;   Parent Loop BB76_3 Depth=1
                                        ; =>  This Inner Loop Header: Depth=2
	global_load_b64 v[14:15], v[0:1], off
	s_wait_xcnt 0x0
	v_add_nc_u64_e32 v[0:1], s[6:7], v[0:1]
	s_add_co_i32 s21, s21, -1
	s_delay_alu instid0(SALU_CYCLE_1)
	s_cmp_lg_u32 s21, 0
	s_wait_loadcnt 0x0
	v_mul_f64_e32 v[14:15], s[4:5], v[14:15]
	ds_store_b64 v2, v[14:15]
	v_add_nc_u32_e32 v2, 64, v2
	s_cbranch_scc1 .LBB76_10
.LBB76_11:                              ;   in Loop: Header=BB76_3 Depth=1
	s_or_b32 exec_lo, exec_lo, s20
	s_delay_alu instid0(SALU_CYCLE_1)
	s_and_b32 vcc_lo, exec_lo, s15
	s_mov_b32 s20, -1
	s_wait_dscnt 0x0
	; wave barrier
	s_cbranch_vccz .LBB76_68
; %bb.12:                               ;   in Loop: Header=BB76_3 Depth=1
	s_and_b32 vcc_lo, exec_lo, s14
	s_cbranch_vccz .LBB76_47
; %bb.13:                               ;   in Loop: Header=BB76_3 Depth=1
	v_cmp_ne_u32_e32 vcc_lo, 1, v19
	s_cbranch_vccnz .LBB76_26
; %bb.14:                               ;   in Loop: Header=BB76_3 Depth=1
	s_and_not1_b32 vcc_lo, exec_lo, s22
	s_mov_b32 s29, 0
	s_cbranch_vccnz .LBB76_20
; %bb.15:                               ;   in Loop: Header=BB76_3 Depth=1
	s_mov_b32 s20, 0
	s_mov_b32 s21, 0
.LBB76_16:                              ;   Parent Loop BB76_3 Depth=1
                                        ; =>  This Loop Header: Depth=2
                                        ;       Child Loop BB76_17 Depth 3
	s_delay_alu instid0(SALU_CYCLE_1) | instskip(SKIP_2) | instid1(SALU_CYCLE_1)
	s_lshl_b32 s31, s21, 6
	s_or_b32 s30, s21, 1
	s_or_b32 s29, s31, 0xc0
	v_dual_add_nc_u32 v21, s31, v18 :: v_dual_add_nc_u32 v22, s29, v18
	v_lshl_add_u32 v23, s30, 6, v18
	v_mov_b32_e32 v24, v18
	ds_load_2addr_b64 v[0:3], v21 offset1:16
	ds_load_b64 v[16:17], v23
	ds_load_b64 v[14:15], v22
	s_cmp_eq_u32 s21, 0
	s_mov_b32 s29, s20
	s_mov_b32 s33, s21
	s_cbranch_scc1 .LBB76_18
.LBB76_17:                              ;   Parent Loop BB76_3 Depth=1
                                        ;     Parent Loop BB76_16 Depth=2
                                        ; =>    This Inner Loop Header: Depth=3
	v_mov_b32_e32 v25, s29
	s_add_co_i32 s33, s33, -1
	s_add_co_i32 s29, s29, 64
	s_cmp_eq_u32 s33, 0
	ds_load_b64 v[34:35], v24
	ds_load_b128 v[26:29], v25
	ds_load_b128 v[30:33], v25 offset:16
	s_wait_dscnt 0x1
	v_dual_fma_f64 v[0:1], -v[34:35], v[26:27], v[0:1] :: v_dual_add_nc_u32 v24, 64, v24
	v_fma_f64 v[16:17], -v[34:35], v[28:29], v[16:17]
	s_wait_dscnt 0x0
	v_fma_f64 v[2:3], -v[34:35], v[30:31], v[2:3]
	v_fma_f64 v[14:15], -v[34:35], v[32:33], v[14:15]
	s_cbranch_scc0 .LBB76_17
.LBB76_18:                              ;   in Loop: Header=BB76_16 Depth=2
	s_lshl_b32 s29, s21, 3
	s_lshl_b32 s30, s30, 3
	s_add_co_i32 s31, s29, s31
	s_delay_alu instid0(SALU_CYCLE_1)
	v_dual_mov_b32 v25, s31 :: v_dual_add_nc_u32 v24, 0x80, v21
	s_sub_co_i32 s31, s31, s29
	s_add_co_i32 s20, s20, 32
	s_add_co_i32 s31, s31, s29
	ds_load_b128 v[26:29], v25
	s_wait_dscnt 0x0
	v_div_scale_f64 v[34:35], null, v[26:27], v[26:27], v[0:1]
	v_div_scale_f64 v[40:41], vcc_lo, v[0:1], v[26:27], v[0:1]
	s_delay_alu instid0(VALU_DEP_2) | instskip(SKIP_1) | instid1(TRANS32_DEP_1)
	v_rcp_f64_e32 v[36:37], v[34:35]
	v_nop
	v_fma_f64 v[38:39], -v[34:35], v[36:37], 1.0
	s_delay_alu instid0(VALU_DEP_1) | instskip(NEXT) | instid1(VALU_DEP_1)
	v_fmac_f64_e32 v[36:37], v[36:37], v[38:39]
	v_fma_f64 v[38:39], -v[34:35], v[36:37], 1.0
	s_delay_alu instid0(VALU_DEP_1) | instskip(SKIP_2) | instid1(SALU_CYCLE_1)
	v_fmac_f64_e32 v[36:37], v[36:37], v[38:39]
	v_mov_b32_e32 v25, s31
	s_addk_co_i32 s31, 0x48
	s_sub_co_i32 s30, s31, s30
	s_delay_alu instid0(SALU_CYCLE_1) | instskip(NEXT) | instid1(VALU_DEP_2)
	s_add_co_i32 s29, s30, s29
	v_mul_f64_e32 v[38:39], v[40:41], v[36:37]
	ds_load_b128 v[30:33], v25 offset:16
	v_fma_f64 v[34:35], -v[34:35], v[38:39], v[40:41]
	s_delay_alu instid0(VALU_DEP_1) | instskip(NEXT) | instid1(VALU_DEP_1)
	v_div_fmas_f64 v[34:35], v[34:35], v[36:37], v[38:39]
	v_div_fixup_f64 v[0:1], v[34:35], v[26:27], v[0:1]
	s_delay_alu instid0(VALU_DEP_1)
	v_fma_f64 v[16:17], -v[0:1], v[28:29], v[16:17]
	ds_load_2addr_b64 v[26:29], v25 offset0:9 offset1:10
	ds_load_b128 v[34:37], v25 offset:144
	s_wait_dscnt 0x2
	v_fma_f64 v[2:3], -v[0:1], v[30:31], v[2:3]
	v_fma_f64 v[14:15], -v[0:1], v[32:33], v[14:15]
	s_wait_dscnt 0x1
	v_div_scale_f64 v[38:39], null, v[26:27], v[26:27], v[16:17]
	v_div_scale_f64 v[44:45], vcc_lo, v[16:17], v[26:27], v[16:17]
	s_delay_alu instid0(VALU_DEP_2) | instskip(SKIP_1) | instid1(TRANS32_DEP_1)
	v_rcp_f64_e32 v[40:41], v[38:39]
	v_nop
	v_fma_f64 v[42:43], -v[38:39], v[40:41], 1.0
	s_delay_alu instid0(VALU_DEP_1) | instskip(NEXT) | instid1(VALU_DEP_1)
	v_fmac_f64_e32 v[40:41], v[40:41], v[42:43]
	v_fma_f64 v[42:43], -v[38:39], v[40:41], 1.0
	s_delay_alu instid0(VALU_DEP_1) | instskip(NEXT) | instid1(VALU_DEP_1)
	v_fmac_f64_e32 v[40:41], v[40:41], v[42:43]
	v_mul_f64_e32 v[42:43], v[44:45], v[40:41]
	s_delay_alu instid0(VALU_DEP_1) | instskip(NEXT) | instid1(VALU_DEP_1)
	v_fma_f64 v[38:39], -v[38:39], v[42:43], v[44:45]
	v_div_fmas_f64 v[38:39], v[38:39], v[40:41], v[42:43]
	s_delay_alu instid0(VALU_DEP_1) | instskip(NEXT) | instid1(VALU_DEP_1)
	v_div_fixup_f64 v[16:17], v[38:39], v[26:27], v[16:17]
	v_fma_f64 v[2:3], -v[16:17], v[28:29], v[2:3]
	s_wait_dscnt 0x0
	s_delay_alu instid0(VALU_DEP_1) | instskip(SKIP_1) | instid1(VALU_DEP_2)
	v_div_scale_f64 v[26:27], null, v[34:35], v[34:35], v[2:3]
	v_div_scale_f64 v[38:39], vcc_lo, v[2:3], v[34:35], v[2:3]
	v_rcp_f64_e32 v[28:29], v[26:27]
	v_nop
	s_delay_alu instid0(TRANS32_DEP_1) | instskip(NEXT) | instid1(VALU_DEP_1)
	v_fma_f64 v[30:31], -v[26:27], v[28:29], 1.0
	v_fmac_f64_e32 v[28:29], v[28:29], v[30:31]
	s_delay_alu instid0(VALU_DEP_1) | instskip(NEXT) | instid1(VALU_DEP_1)
	v_fma_f64 v[30:31], -v[26:27], v[28:29], 1.0
	v_fmac_f64_e32 v[28:29], v[28:29], v[30:31]
	s_delay_alu instid0(VALU_DEP_1) | instskip(NEXT) | instid1(VALU_DEP_1)
	v_mul_f64_e32 v[30:31], v[38:39], v[28:29]
	v_fma_f64 v[26:27], -v[26:27], v[30:31], v[38:39]
	s_delay_alu instid0(VALU_DEP_1)
	v_div_fmas_f64 v[26:27], v[26:27], v[28:29], v[30:31]
	v_mov_b32_e32 v28, s29
	s_add_co_i32 s29, s21, 4
	s_add_co_i32 s21, s21, 7
	ds_load_b64 v[28:29], v28 offset:24
	ds_load_b64 v[30:31], v25 offset:216
	s_cmp_ge_i32 s21, s26
	s_wait_dscnt 0x1
	v_fma_f64 v[14:15], -v[16:17], v[28:29], v[14:15]
	v_div_fixup_f64 v[2:3], v[26:27], v[34:35], v[2:3]
	s_delay_alu instid0(VALU_DEP_1) | instskip(SKIP_1) | instid1(VALU_DEP_1)
	v_fma_f64 v[14:15], -v[2:3], v[36:37], v[14:15]
	s_wait_dscnt 0x0
	v_div_scale_f64 v[26:27], null, v[30:31], v[30:31], v[14:15]
	s_delay_alu instid0(VALU_DEP_1) | instskip(SKIP_1) | instid1(TRANS32_DEP_1)
	v_rcp_f64_e32 v[28:29], v[26:27]
	v_nop
	v_fma_f64 v[32:33], -v[26:27], v[28:29], 1.0
	s_delay_alu instid0(VALU_DEP_1) | instskip(NEXT) | instid1(VALU_DEP_1)
	v_fmac_f64_e32 v[28:29], v[28:29], v[32:33]
	v_fma_f64 v[32:33], -v[26:27], v[28:29], 1.0
	s_delay_alu instid0(VALU_DEP_1) | instskip(SKIP_1) | instid1(VALU_DEP_1)
	v_fmac_f64_e32 v[28:29], v[28:29], v[32:33]
	v_div_scale_f64 v[32:33], vcc_lo, v[14:15], v[30:31], v[14:15]
	v_mul_f64_e32 v[34:35], v[32:33], v[28:29]
	s_delay_alu instid0(VALU_DEP_1) | instskip(NEXT) | instid1(VALU_DEP_1)
	v_fma_f64 v[26:27], -v[26:27], v[34:35], v[32:33]
	v_div_fmas_f64 v[26:27], v[26:27], v[28:29], v[34:35]
	s_delay_alu instid0(VALU_DEP_1)
	v_div_fixup_f64 v[14:15], v[26:27], v[30:31], v[14:15]
	ds_store_b64 v21, v[0:1]
	ds_store_b64 v23, v[16:17]
	;; [unrolled: 1-line block ×4, first 2 shown]
	s_cbranch_scc1 .LBB76_20
; %bb.19:                               ;   in Loop: Header=BB76_16 Depth=2
	s_mov_b32 s21, s29
	s_branch .LBB76_16
.LBB76_20:                              ;   in Loop: Header=BB76_3 Depth=1
	s_cmp_ge_i32 s29, s26
	s_cbranch_scc1 .LBB76_25
; %bb.21:                               ;   in Loop: Header=BB76_3 Depth=1
	s_lshl_b32 s20, s29, 3
	s_branch .LBB76_23
.LBB76_22:                              ;   in Loop: Header=BB76_23 Depth=2
	s_lshl_b32 s30, s29, 3
	s_add_co_i32 s29, s29, 1
	s_add_co_i32 s21, s30, s21
	;; [unrolled: 1-line block ×3, first 2 shown]
	v_mov_b32_e32 v3, s21
	s_cmp_ge_i32 s29, s26
	ds_load_b64 v[14:15], v3
	s_wait_dscnt 0x0
	v_div_scale_f64 v[16:17], null, v[14:15], v[14:15], v[0:1]
	s_delay_alu instid0(VALU_DEP_1) | instskip(SKIP_1) | instid1(TRANS32_DEP_1)
	v_rcp_f64_e32 v[22:23], v[16:17]
	v_nop
	v_fma_f64 v[24:25], -v[16:17], v[22:23], 1.0
	s_delay_alu instid0(VALU_DEP_1) | instskip(NEXT) | instid1(VALU_DEP_1)
	v_fmac_f64_e32 v[22:23], v[22:23], v[24:25]
	v_fma_f64 v[24:25], -v[16:17], v[22:23], 1.0
	s_delay_alu instid0(VALU_DEP_1) | instskip(SKIP_1) | instid1(VALU_DEP_1)
	v_fmac_f64_e32 v[22:23], v[22:23], v[24:25]
	v_div_scale_f64 v[24:25], vcc_lo, v[0:1], v[14:15], v[0:1]
	v_mul_f64_e32 v[26:27], v[24:25], v[22:23]
	s_delay_alu instid0(VALU_DEP_1) | instskip(NEXT) | instid1(VALU_DEP_1)
	v_fma_f64 v[16:17], -v[16:17], v[26:27], v[24:25]
	v_div_fmas_f64 v[16:17], v[16:17], v[22:23], v[26:27]
	s_delay_alu instid0(VALU_DEP_1)
	v_div_fixup_f64 v[0:1], v[16:17], v[14:15], v[0:1]
	ds_store_b64 v2, v[0:1]
	s_cbranch_scc1 .LBB76_25
.LBB76_23:                              ;   Parent Loop BB76_3 Depth=1
                                        ; =>  This Loop Header: Depth=2
                                        ;       Child Loop BB76_24 Depth 3
	s_lshl_b32 s21, s29, 6
	s_cmp_eq_u32 s29, 0
	v_dual_mov_b32 v3, v18 :: v_dual_add_nc_u32 v2, s21, v18
	s_mov_b32 s30, s20
	s_mov_b32 s31, s29
	ds_load_b64 v[0:1], v2
	s_cbranch_scc1 .LBB76_22
.LBB76_24:                              ;   Parent Loop BB76_3 Depth=1
                                        ;     Parent Loop BB76_23 Depth=2
                                        ; =>    This Inner Loop Header: Depth=3
	v_mov_b32_e32 v16, s30
	s_add_co_i32 s31, s31, -1
	s_add_co_i32 s30, s30, 64
	s_cmp_eq_u32 s31, 0
	ds_load_b64 v[14:15], v3
	ds_load_b64 v[16:17], v16
	s_wait_dscnt 0x0
	v_dual_fma_f64 v[0:1], -v[14:15], v[16:17], v[0:1] :: v_dual_add_nc_u32 v3, 64, v3
	s_cbranch_scc0 .LBB76_24
	s_branch .LBB76_22
.LBB76_25:                              ;   in Loop: Header=BB76_3 Depth=1
	s_mov_b32 s20, 0
.LBB76_26:                              ;   in Loop: Header=BB76_3 Depth=1
	s_delay_alu instid0(SALU_CYCLE_1)
	s_and_b32 vcc_lo, exec_lo, s20
	s_cbranch_vccz .LBB76_46
; %bb.27:                               ;   in Loop: Header=BB76_3 Depth=1
	s_mov_b32 s29, s27
	s_and_not1_b32 vcc_lo, exec_lo, s22
	s_mov_b32 s20, s10
	s_mov_b32 s21, s27
	s_cbranch_vccnz .LBB76_33
.LBB76_28:                              ;   Parent Loop BB76_3 Depth=1
                                        ; =>  This Loop Header: Depth=2
                                        ;       Child Loop BB76_29 Depth 3
	s_add_co_i32 s33, s21, -1
	s_add_co_i32 s31, s21, -3
	v_lshl_add_u32 v21, s21, 6, v18
	s_add_co_i32 s30, s21, -2
	v_lshl_add_u32 v22, s33, 6, v18
	s_lshl_b32 s29, s31, 6
	v_lshl_add_u32 v23, s30, 6, v18
	v_dual_mov_b32 v25, v5 :: v_dual_add_nc_u32 v24, s29, v18
	ds_load_b64 v[16:17], v21
	ds_load_b64 v[14:15], v22
	;; [unrolled: 1-line block ×4, first 2 shown]
	s_cmp_le_i32 s27, s21
	s_mov_b32 s34, s20
	s_mov_b32 s35, s27
	s_cbranch_scc1 .LBB76_30
.LBB76_29:                              ;   Parent Loop BB76_3 Depth=1
                                        ;     Parent Loop BB76_28 Depth=2
                                        ; =>    This Inner Loop Header: Depth=3
	v_mov_b32_e32 v30, s34
	s_add_co_i32 s35, s35, -1
	s_sub_co_i32 s34, s34, 64
	s_cmp_le_i32 s35, s21
	ds_load_b64 v[34:35], v25
	ds_load_2addr_b64 v[26:29], v30 offset0:2 offset1:3
	ds_load_2addr_b64 v[30:33], v30 offset1:1
	v_subrev_nc_u32_e32 v25, 64, v25
	s_wait_dscnt 0x1
	v_fma_f64 v[16:17], -v[34:35], v[28:29], v[16:17]
	v_fma_f64 v[14:15], -v[34:35], v[26:27], v[14:15]
	s_wait_dscnt 0x0
	v_fma_f64 v[2:3], -v[34:35], v[32:33], v[2:3]
	v_fma_f64 v[0:1], -v[34:35], v[30:31], v[0:1]
	s_cbranch_scc0 .LBB76_29
.LBB76_30:                              ;   in Loop: Header=BB76_28 Depth=2
	s_lshl_b32 s35, s33, 3
	s_lshl_b32 s34, s30, 3
; %bb.31:                               ;   in Loop: Header=BB76_28 Depth=2
	s_lshl_b32 s36, s21, 3
	s_lshl_b32 s37, s21, 6
	;; [unrolled: 1-line block ×3, first 2 shown]
	s_add_co_i32 s37, s36, s37
	s_add_co_i32 s33, s36, s33
	s_add_co_i32 s38, s37, -8
	s_add_co_i32 s33, s33, -8
	v_mov_b32_e32 v25, s38
	s_sub_co_i32 s37, s37, 24
	s_lshl_b32 s31, s31, 3
	s_lshl_b32 s30, s30, 6
	s_sub_co_i32 s20, s20, 32
	ds_load_2addr_b64 v[26:29], v25 offset1:1
	s_add_co_i32 s30, s36, s30
	s_add_co_i32 s36, s36, s29
	s_sub_co_i32 s30, s30, s34
	s_sub_co_i32 s29, s36, 24
	s_add_co_i32 s30, s30, s31
	s_delay_alu instid0(SALU_CYCLE_1) | instskip(SKIP_3) | instid1(VALU_DEP_2)
	s_add_co_i32 s30, s30, -16
	s_wait_dscnt 0x0
	v_div_scale_f64 v[32:33], null, v[28:29], v[28:29], v[16:17]
	v_div_scale_f64 v[38:39], vcc_lo, v[16:17], v[28:29], v[16:17]
	v_rcp_f64_e32 v[34:35], v[32:33]
	v_nop
	s_delay_alu instid0(TRANS32_DEP_1) | instskip(NEXT) | instid1(VALU_DEP_1)
	v_fma_f64 v[36:37], -v[32:33], v[34:35], 1.0
	v_fmac_f64_e32 v[34:35], v[34:35], v[36:37]
	s_delay_alu instid0(VALU_DEP_1) | instskip(NEXT) | instid1(VALU_DEP_1)
	v_fma_f64 v[36:37], -v[32:33], v[34:35], 1.0
	v_fmac_f64_e32 v[34:35], v[34:35], v[36:37]
	s_delay_alu instid0(VALU_DEP_1) | instskip(SKIP_1) | instid1(SALU_CYCLE_1)
	v_dual_mul_f64 v[36:37], v[38:39], v[34:35] :: v_dual_mov_b32 v25, s33
	s_sub_co_i32 s33, s33, s35
	s_add_co_i32 s33, s33, s31
	s_delay_alu instid0(VALU_DEP_1) | instskip(SKIP_3) | instid1(VALU_DEP_1)
	v_fma_f64 v[32:33], -v[32:33], v[36:37], v[38:39]
	ds_load_b64 v[30:31], v25
	v_mov_b32_e32 v25, s33
	v_div_fmas_f64 v[32:33], v[32:33], v[34:35], v[36:37]
	v_div_fixup_f64 v[32:33], v[32:33], v[28:29], v[16:17]
	s_delay_alu instid0(VALU_DEP_1) | instskip(SKIP_1) | instid1(VALU_DEP_1)
	v_fma_f64 v[34:35], -v[32:33], v[26:27], v[14:15]
	s_wait_dscnt 0x0
	v_div_scale_f64 v[14:15], null, v[30:31], v[30:31], v[34:35]
	v_div_scale_f64 v[28:29], vcc_lo, v[34:35], v[30:31], v[34:35]
	s_delay_alu instid0(VALU_DEP_2) | instskip(SKIP_1) | instid1(TRANS32_DEP_1)
	v_rcp_f64_e32 v[16:17], v[14:15]
	v_nop
	v_fma_f64 v[26:27], -v[14:15], v[16:17], 1.0
	s_delay_alu instid0(VALU_DEP_1) | instskip(NEXT) | instid1(VALU_DEP_1)
	v_fmac_f64_e32 v[16:17], v[16:17], v[26:27]
	v_fma_f64 v[26:27], -v[14:15], v[16:17], 1.0
	s_delay_alu instid0(VALU_DEP_1) | instskip(NEXT) | instid1(VALU_DEP_1)
	v_fmac_f64_e32 v[16:17], v[16:17], v[26:27]
	v_mul_f64_e32 v[26:27], v[28:29], v[16:17]
	s_delay_alu instid0(VALU_DEP_1) | instskip(NEXT) | instid1(VALU_DEP_1)
	v_fma_f64 v[14:15], -v[14:15], v[26:27], v[28:29]
	v_div_fmas_f64 v[36:37], v[14:15], v[16:17], v[26:27]
	v_mov_b32_e32 v14, s37
	ds_load_2addr_b64 v[26:29], v25 offset1:1
	v_mov_b32_e32 v25, s30
	ds_load_2addr_b64 v[14:17], v14 offset1:1
	s_wait_dscnt 0x0
	v_fma_f64 v[2:3], -v[32:33], v[16:17], v[2:3]
	v_fma_f64 v[0:1], -v[32:33], v[14:15], v[0:1]
	v_div_fixup_f64 v[16:17], v[36:37], v[30:31], v[34:35]
	s_delay_alu instid0(VALU_DEP_1)
	v_fma_f64 v[2:3], -v[16:17], v[28:29], v[2:3]
	ds_load_2addr_b64 v[28:31], v25 offset1:1
	v_dual_fma_f64 v[0:1], -v[16:17], v[26:27], v[0:1] :: v_dual_mov_b32 v25, s29
	s_add_co_i32 s29, s21, -4
	s_cmp_lt_i32 s21, 7
	ds_load_b64 v[34:35], v25
	s_wait_dscnt 0x1
	v_div_scale_f64 v[36:37], null, v[30:31], v[30:31], v[2:3]
	v_div_scale_f64 v[42:43], vcc_lo, v[2:3], v[30:31], v[2:3]
	s_delay_alu instid0(VALU_DEP_2) | instskip(SKIP_1) | instid1(TRANS32_DEP_1)
	v_rcp_f64_e32 v[38:39], v[36:37]
	v_nop
	v_fma_f64 v[40:41], -v[36:37], v[38:39], 1.0
	s_delay_alu instid0(VALU_DEP_1) | instskip(NEXT) | instid1(VALU_DEP_1)
	v_fmac_f64_e32 v[38:39], v[38:39], v[40:41]
	v_fma_f64 v[40:41], -v[36:37], v[38:39], 1.0
	s_delay_alu instid0(VALU_DEP_1) | instskip(NEXT) | instid1(VALU_DEP_1)
	v_fmac_f64_e32 v[38:39], v[38:39], v[40:41]
	v_mul_f64_e32 v[40:41], v[42:43], v[38:39]
	s_delay_alu instid0(VALU_DEP_1) | instskip(NEXT) | instid1(VALU_DEP_1)
	v_fma_f64 v[36:37], -v[36:37], v[40:41], v[42:43]
	v_div_fmas_f64 v[14:15], v[36:37], v[38:39], v[40:41]
	s_delay_alu instid0(VALU_DEP_1) | instskip(NEXT) | instid1(VALU_DEP_1)
	v_div_fixup_f64 v[2:3], v[14:15], v[30:31], v[2:3]
	v_fma_f64 v[0:1], -v[2:3], v[28:29], v[0:1]
	s_wait_dscnt 0x0
	s_delay_alu instid0(VALU_DEP_1) | instskip(NEXT) | instid1(VALU_DEP_1)
	v_div_scale_f64 v[14:15], null, v[34:35], v[34:35], v[0:1]
	v_rcp_f64_e32 v[26:27], v[14:15]
	v_nop
	s_delay_alu instid0(TRANS32_DEP_1) | instskip(NEXT) | instid1(VALU_DEP_1)
	v_fma_f64 v[28:29], -v[14:15], v[26:27], 1.0
	v_fmac_f64_e32 v[26:27], v[26:27], v[28:29]
	s_delay_alu instid0(VALU_DEP_1) | instskip(NEXT) | instid1(VALU_DEP_1)
	v_fma_f64 v[28:29], -v[14:15], v[26:27], 1.0
	v_fmac_f64_e32 v[26:27], v[26:27], v[28:29]
	v_div_scale_f64 v[28:29], vcc_lo, v[0:1], v[34:35], v[0:1]
	s_delay_alu instid0(VALU_DEP_1) | instskip(NEXT) | instid1(VALU_DEP_1)
	v_mul_f64_e32 v[30:31], v[28:29], v[26:27]
	v_fma_f64 v[14:15], -v[14:15], v[30:31], v[28:29]
	s_delay_alu instid0(VALU_DEP_1) | instskip(NEXT) | instid1(VALU_DEP_1)
	v_div_fmas_f64 v[14:15], v[14:15], v[26:27], v[30:31]
	v_div_fixup_f64 v[0:1], v[14:15], v[34:35], v[0:1]
	ds_store_b64 v21, v[32:33]
	ds_store_b64 v22, v[16:17]
	;; [unrolled: 1-line block ×4, first 2 shown]
	s_cbranch_scc1 .LBB76_33
; %bb.32:                               ;   in Loop: Header=BB76_28 Depth=2
	s_mov_b32 s21, s29
	s_branch .LBB76_28
.LBB76_33:                              ;   in Loop: Header=BB76_3 Depth=1
	s_cmp_lt_i32 s29, 0
	s_cbranch_scc1 .LBB76_46
; %bb.34:                               ;   in Loop: Header=BB76_3 Depth=1
	s_bitcmp1_b32 s29, 0
	s_cselect_b32 s20, -1, 0
	s_delay_alu instid0(SALU_CYCLE_1)
	s_and_b32 vcc_lo, exec_lo, s20
	s_mov_b32 s20, s29
	s_cbranch_vccnz .LBB76_39
; %bb.35:                               ;   in Loop: Header=BB76_3 Depth=1
	s_lshl_b32 s20, s29, 6
	s_cmp_le_i32 s27, s29
	v_add_nc_u32_e32 v2, s20, v18
	ds_load_b64 v[0:1], v2
	s_cbranch_scc1 .LBB76_38
; %bb.36:                               ;   in Loop: Header=BB76_3 Depth=1
	v_mov_b32_e32 v3, v5
	s_lshl_b32 s21, s29, 3
	s_mov_b32 s30, s27
	s_add_co_i32 s21, s11, s21
.LBB76_37:                              ;   Parent Loop BB76_3 Depth=1
                                        ; =>  This Inner Loop Header: Depth=2
	s_delay_alu instid0(SALU_CYCLE_1)
	v_mov_b32_e32 v16, s21
	s_add_co_i32 s30, s30, -1
	s_sub_co_i32 s21, s21, 64
	s_cmp_gt_i32 s30, s29
	ds_load_b64 v[14:15], v3
	ds_load_b64 v[16:17], v16
	v_subrev_nc_u32_e32 v3, 64, v3
	s_wait_dscnt 0x0
	v_fma_f64 v[0:1], -v[14:15], v[16:17], v[0:1]
	s_cbranch_scc1 .LBB76_37
.LBB76_38:                              ;   in Loop: Header=BB76_3 Depth=1
	s_lshl_b32 s21, s29, 3
	s_delay_alu instid0(SALU_CYCLE_1) | instskip(NEXT) | instid1(SALU_CYCLE_1)
	s_add_co_i32 s20, s21, s20
	v_mov_b32_e32 v3, s20
	s_add_co_i32 s20, s29, -1
	ds_load_b64 v[14:15], v3
	s_wait_dscnt 0x0
	v_div_scale_f64 v[16:17], null, v[14:15], v[14:15], v[0:1]
	s_delay_alu instid0(VALU_DEP_1) | instskip(SKIP_1) | instid1(TRANS32_DEP_1)
	v_rcp_f64_e32 v[22:23], v[16:17]
	v_nop
	v_fma_f64 v[24:25], -v[16:17], v[22:23], 1.0
	s_delay_alu instid0(VALU_DEP_1) | instskip(NEXT) | instid1(VALU_DEP_1)
	v_fmac_f64_e32 v[22:23], v[22:23], v[24:25]
	v_fma_f64 v[24:25], -v[16:17], v[22:23], 1.0
	s_delay_alu instid0(VALU_DEP_1) | instskip(SKIP_1) | instid1(VALU_DEP_1)
	v_fmac_f64_e32 v[22:23], v[22:23], v[24:25]
	v_div_scale_f64 v[24:25], vcc_lo, v[0:1], v[14:15], v[0:1]
	v_mul_f64_e32 v[26:27], v[24:25], v[22:23]
	s_delay_alu instid0(VALU_DEP_1) | instskip(NEXT) | instid1(VALU_DEP_1)
	v_fma_f64 v[16:17], -v[16:17], v[26:27], v[24:25]
	v_div_fmas_f64 v[16:17], v[16:17], v[22:23], v[26:27]
	s_delay_alu instid0(VALU_DEP_1)
	v_div_fixup_f64 v[0:1], v[16:17], v[14:15], v[0:1]
	ds_store_b64 v2, v[0:1]
.LBB76_39:                              ;   in Loop: Header=BB76_3 Depth=1
	s_cmp_eq_u32 s29, 0
	s_cbranch_scc1 .LBB76_46
; %bb.40:                               ;   in Loop: Header=BB76_3 Depth=1
	s_lshl_b32 s29, s20, 3
	s_delay_alu instid0(SALU_CYCLE_1)
	s_add_co_i32 s21, s11, s29
	s_add_co_i32 s29, s16, s29
	s_branch .LBB76_42
.LBB76_41:                              ;   in Loop: Header=BB76_42 Depth=2
	s_add_co_i32 s30, s30, s31
	s_add_co_i32 s21, s21, -16
	s_add_co_i32 s30, s30, -8
	;; [unrolled: 1-line block ×3, first 2 shown]
	v_mov_b32_e32 v0, s30
	s_add_co_i32 s30, s20, -2
	s_cmp_lt_i32 s20, 2
	s_mov_b32 s20, s30
	ds_load_b64 v[0:1], v0
	s_wait_dscnt 0x0
	v_div_scale_f64 v[16:17], null, v[0:1], v[0:1], v[2:3]
	s_delay_alu instid0(VALU_DEP_1) | instskip(SKIP_1) | instid1(TRANS32_DEP_1)
	v_rcp_f64_e32 v[22:23], v[16:17]
	v_nop
	v_fma_f64 v[24:25], -v[16:17], v[22:23], 1.0
	s_delay_alu instid0(VALU_DEP_1) | instskip(NEXT) | instid1(VALU_DEP_1)
	v_fmac_f64_e32 v[22:23], v[22:23], v[24:25]
	v_fma_f64 v[24:25], -v[16:17], v[22:23], 1.0
	s_delay_alu instid0(VALU_DEP_1) | instskip(SKIP_1) | instid1(VALU_DEP_1)
	v_fmac_f64_e32 v[22:23], v[22:23], v[24:25]
	v_div_scale_f64 v[24:25], vcc_lo, v[2:3], v[0:1], v[2:3]
	v_mul_f64_e32 v[26:27], v[24:25], v[22:23]
	s_delay_alu instid0(VALU_DEP_1) | instskip(NEXT) | instid1(VALU_DEP_1)
	v_fma_f64 v[16:17], -v[16:17], v[26:27], v[24:25]
	v_div_fmas_f64 v[16:17], v[16:17], v[22:23], v[26:27]
	s_delay_alu instid0(VALU_DEP_1)
	v_div_fixup_f64 v[0:1], v[16:17], v[0:1], v[2:3]
	ds_store_b64 v15, v[0:1]
	s_cbranch_scc1 .LBB76_46
.LBB76_42:                              ;   Parent Loop BB76_3 Depth=1
                                        ; =>  This Loop Header: Depth=2
                                        ;       Child Loop BB76_43 Depth 3
                                        ;       Child Loop BB76_45 Depth 3
	s_lshl_b32 s31, s20, 6
	s_cmp_le_i32 s27, s20
	v_dual_add_nc_u32 v14, s31, v18 :: v_dual_mov_b32 v2, v5
	s_mov_b32 s30, s21
	s_mov_b32 s33, s27
	ds_load_b64 v[0:1], v14
	s_cbranch_scc1 .LBB76_44
.LBB76_43:                              ;   Parent Loop BB76_3 Depth=1
                                        ;     Parent Loop BB76_42 Depth=2
                                        ; =>    This Inner Loop Header: Depth=3
	v_mov_b32_e32 v3, s30
	s_add_co_i32 s33, s33, -1
	s_sub_co_i32 s30, s30, 64
	s_cmp_le_i32 s33, s20
	ds_load_b64 v[16:17], v2
	ds_load_b64 v[22:23], v3
	v_subrev_nc_u32_e32 v2, 64, v2
	s_wait_dscnt 0x0
	v_fma_f64 v[0:1], -v[16:17], v[22:23], v[0:1]
	s_cbranch_scc0 .LBB76_43
.LBB76_44:                              ;   in Loop: Header=BB76_42 Depth=2
	s_lshl_b32 s30, s20, 3
	s_mov_b32 s34, s26
	s_add_co_i32 s33, s30, s31
	s_sub_co_i32 s31, s31, 64
	s_delay_alu instid0(SALU_CYCLE_1)
	v_dual_mov_b32 v2, s33 :: v_dual_add_nc_u32 v15, s31, v18
	s_cmp_le_i32 s26, s20
	s_mov_b32 s33, s29
	ds_load_b64 v[16:17], v2
	ds_load_b64 v[2:3], v15
	s_wait_dscnt 0x1
	v_div_scale_f64 v[22:23], null, v[16:17], v[16:17], v[0:1]
	s_delay_alu instid0(VALU_DEP_1) | instskip(SKIP_1) | instid1(TRANS32_DEP_1)
	v_rcp_f64_e32 v[24:25], v[22:23]
	v_nop
	v_fma_f64 v[26:27], -v[22:23], v[24:25], 1.0
	s_delay_alu instid0(VALU_DEP_1) | instskip(NEXT) | instid1(VALU_DEP_1)
	v_fmac_f64_e32 v[24:25], v[24:25], v[26:27]
	v_fma_f64 v[26:27], -v[22:23], v[24:25], 1.0
	s_delay_alu instid0(VALU_DEP_1) | instskip(SKIP_1) | instid1(VALU_DEP_1)
	v_fmac_f64_e32 v[24:25], v[24:25], v[26:27]
	v_div_scale_f64 v[26:27], vcc_lo, v[0:1], v[16:17], v[0:1]
	v_mul_f64_e32 v[28:29], v[26:27], v[24:25]
	s_delay_alu instid0(VALU_DEP_1) | instskip(NEXT) | instid1(VALU_DEP_1)
	v_fma_f64 v[22:23], -v[22:23], v[28:29], v[26:27]
	v_div_fmas_f64 v[22:23], v[22:23], v[24:25], v[28:29]
	s_delay_alu instid0(VALU_DEP_1)
	v_div_fixup_f64 v[16:17], v[22:23], v[16:17], v[0:1]
	v_mov_b32_e32 v0, v5
	ds_store_b64 v14, v[16:17]
	s_cbranch_scc1 .LBB76_41
.LBB76_45:                              ;   Parent Loop BB76_3 Depth=1
                                        ;     Parent Loop BB76_42 Depth=2
                                        ; =>    This Inner Loop Header: Depth=3
	v_mov_b32_e32 v1, s33
	s_add_co_i32 s34, s34, -1
	s_sub_co_i32 s33, s33, 64
	s_cmp_gt_i32 s34, s20
	ds_load_b64 v[16:17], v0
	ds_load_b64 v[22:23], v1
	v_subrev_nc_u32_e32 v0, 64, v0
	s_wait_dscnt 0x0
	v_fma_f64 v[2:3], -v[16:17], v[22:23], v[2:3]
	s_cbranch_scc1 .LBB76_45
	s_branch .LBB76_41
.LBB76_46:                              ;   in Loop: Header=BB76_3 Depth=1
	s_mov_b32 s20, 0
.LBB76_47:                              ;   in Loop: Header=BB76_3 Depth=1
	s_delay_alu instid0(SALU_CYCLE_1)
	s_and_not1_b32 vcc_lo, exec_lo, s20
	s_cbranch_vccnz .LBB76_67
; %bb.48:                               ;   in Loop: Header=BB76_3 Depth=1
	s_mov_b32 s29, s27
	s_and_not1_b32 vcc_lo, exec_lo, s22
	s_mov_b32 s20, s17
	s_mov_b32 s21, s27
	s_cbranch_vccnz .LBB76_54
.LBB76_49:                              ;   Parent Loop BB76_3 Depth=1
                                        ; =>  This Loop Header: Depth=2
                                        ;       Child Loop BB76_50 Depth 3
	s_add_co_i32 s29, s21, -1
	v_lshl_add_u32 v21, s21, 6, v18
	s_add_co_i32 s30, s21, -2
	v_lshl_add_u32 v22, s29, 6, v18
	;; [unrolled: 2-line block ×3, first 2 shown]
	v_lshl_add_u32 v24, s31, 6, v18
	ds_load_b64 v[16:17], v21
	ds_load_b64 v[14:15], v22
	;; [unrolled: 1-line block ×4, first 2 shown]
	v_mov_b32_e32 v25, v5
	s_cmp_le_i32 s27, s21
	s_mov_b32 s33, s20
	s_mov_b32 s34, s27
	s_cbranch_scc1 .LBB76_51
.LBB76_50:                              ;   Parent Loop BB76_3 Depth=1
                                        ;     Parent Loop BB76_49 Depth=2
                                        ; =>    This Inner Loop Header: Depth=3
	v_mov_b32_e32 v30, s33
	s_add_co_i32 s34, s34, -1
	s_add_co_i32 s33, s33, -8
	s_cmp_le_i32 s34, s21
	ds_load_b64 v[34:35], v25
	ds_load_2addr_b64 v[26:29], v30 offset0:16 offset1:24
	ds_load_2addr_b64 v[30:33], v30 offset1:8
	v_subrev_nc_u32_e32 v25, 64, v25
	s_wait_dscnt 0x1
	v_fma_f64 v[16:17], -v[34:35], v[28:29], v[16:17]
	v_fma_f64 v[14:15], -v[34:35], v[26:27], v[14:15]
	s_wait_dscnt 0x0
	v_fma_f64 v[2:3], -v[34:35], v[32:33], v[2:3]
	v_fma_f64 v[0:1], -v[34:35], v[30:31], v[0:1]
	s_cbranch_scc0 .LBB76_50
.LBB76_51:                              ;   in Loop: Header=BB76_49 Depth=2
	s_lshl_b32 s33, s29, 3
	s_lshl_b32 s30, s30, 3
	;; [unrolled: 1-line block ×3, first 2 shown]
; %bb.52:                               ;   in Loop: Header=BB76_49 Depth=2
	s_mul_i32 s31, s21, 0x48
	s_addk_co_i32 s20, 0xff00
	v_mov_b32_e32 v25, s31
	s_lshl_b32 s31, s33, 3
	s_delay_alu instid0(SALU_CYCLE_1)
	s_add_co_i32 s31, s31, s33
	s_lshl_b32 s33, s21, 3
	ds_load_b64 v[30:31], v25
	s_wait_dscnt 0x0
	v_div_scale_f64 v[32:33], null, v[30:31], v[30:31], v[16:17]
	v_div_scale_f64 v[38:39], vcc_lo, v[16:17], v[30:31], v[16:17]
	s_delay_alu instid0(VALU_DEP_2) | instskip(SKIP_1) | instid1(TRANS32_DEP_1)
	v_rcp_f64_e32 v[34:35], v[32:33]
	v_nop
	v_fma_f64 v[36:37], -v[32:33], v[34:35], 1.0
	s_delay_alu instid0(VALU_DEP_1) | instskip(NEXT) | instid1(VALU_DEP_1)
	v_fmac_f64_e32 v[34:35], v[34:35], v[36:37]
	v_fma_f64 v[36:37], -v[32:33], v[34:35], 1.0
	s_delay_alu instid0(VALU_DEP_1) | instskip(NEXT) | instid1(VALU_DEP_1)
	v_fmac_f64_e32 v[34:35], v[34:35], v[36:37]
	v_dual_mul_f64 v[36:37], v[38:39], v[34:35] :: v_dual_mov_b32 v25, s31
	s_lshl_b32 s31, s30, 3
	s_delay_alu instid0(SALU_CYCLE_1) | instskip(SKIP_1) | instid1(VALU_DEP_1)
	s_add_co_i32 s34, s31, s33
	s_add_co_i32 s30, s31, s30
	v_fma_f64 v[32:33], -v[32:33], v[36:37], v[38:39]
	ds_load_2addr_b64 v[26:29], v25 offset1:1
	v_div_fmas_f64 v[32:33], v[32:33], v[34:35], v[36:37]
	s_delay_alu instid0(VALU_DEP_1) | instskip(SKIP_1) | instid1(VALU_DEP_1)
	v_div_fixup_f64 v[34:35], v[32:33], v[30:31], v[16:17]
	s_wait_dscnt 0x0
	v_fma_f64 v[28:29], -v[34:35], v[28:29], v[14:15]
	s_delay_alu instid0(VALU_DEP_1) | instskip(SKIP_1) | instid1(VALU_DEP_2)
	v_div_scale_f64 v[14:15], null, v[26:27], v[26:27], v[28:29]
	v_div_scale_f64 v[32:33], vcc_lo, v[28:29], v[26:27], v[28:29]
	v_rcp_f64_e32 v[16:17], v[14:15]
	v_nop
	s_delay_alu instid0(TRANS32_DEP_1) | instskip(NEXT) | instid1(VALU_DEP_1)
	v_fma_f64 v[30:31], -v[14:15], v[16:17], 1.0
	v_fmac_f64_e32 v[16:17], v[16:17], v[30:31]
	s_delay_alu instid0(VALU_DEP_1) | instskip(NEXT) | instid1(VALU_DEP_1)
	v_fma_f64 v[30:31], -v[14:15], v[16:17], 1.0
	v_fmac_f64_e32 v[16:17], v[16:17], v[30:31]
	s_delay_alu instid0(VALU_DEP_1) | instskip(NEXT) | instid1(VALU_DEP_1)
	v_mul_f64_e32 v[30:31], v[32:33], v[16:17]
	v_fma_f64 v[14:15], -v[14:15], v[30:31], v[32:33]
	s_delay_alu instid0(VALU_DEP_1) | instskip(SKIP_4) | instid1(SALU_CYCLE_1)
	v_div_fmas_f64 v[30:31], v[14:15], v[16:17], v[30:31]
	v_mov_b32_e32 v14, s34
	ds_load_b64 v[32:33], v14
	v_mov_b32_e32 v14, s30
	s_lshl_b32 s30, s29, 3
	s_add_co_i32 s29, s30, s29
	s_add_co_i32 s31, s30, s33
	ds_load_2addr_b64 v[14:17], v14 offset1:1
	s_add_co_i32 s31, s31, -8
	s_wait_dscnt 0x1
	v_dual_fma_f64 v[2:3], -v[34:35], v[32:33], v[2:3] :: v_dual_mov_b32 v25, s31
	v_div_fixup_f64 v[36:37], v[30:31], v[26:27], v[28:29]
	s_wait_dscnt 0x0
	s_delay_alu instid0(VALU_DEP_1) | instskip(NEXT) | instid1(VALU_DEP_1)
	v_fma_f64 v[2:3], -v[36:37], v[16:17], v[2:3]
	v_div_scale_f64 v[16:17], null, v[14:15], v[14:15], v[2:3]
	v_div_scale_f64 v[28:29], vcc_lo, v[2:3], v[14:15], v[2:3]
	s_delay_alu instid0(VALU_DEP_2) | instskip(SKIP_1) | instid1(TRANS32_DEP_1)
	v_rcp_f64_e32 v[38:39], v[16:17]
	v_nop
	v_fma_f64 v[26:27], -v[16:17], v[38:39], 1.0
	s_delay_alu instid0(VALU_DEP_1) | instskip(NEXT) | instid1(VALU_DEP_1)
	v_fmac_f64_e32 v[38:39], v[38:39], v[26:27]
	v_fma_f64 v[26:27], -v[16:17], v[38:39], 1.0
	s_delay_alu instid0(VALU_DEP_1) | instskip(NEXT) | instid1(VALU_DEP_1)
	v_fmac_f64_e32 v[38:39], v[38:39], v[26:27]
	v_mul_f64_e32 v[40:41], v[28:29], v[38:39]
	s_delay_alu instid0(VALU_DEP_1)
	v_fma_f64 v[16:17], -v[16:17], v[40:41], v[28:29]
	ds_load_2addr_b64 v[26:29], v25 offset1:1
	v_mov_b32_e32 v25, s29
	s_add_co_i32 s29, s21, -4
	s_cmp_lt_i32 s21, 7
	ds_load_2addr_b64 v[30:33], v25 offset1:1
	s_wait_dscnt 0x1
	v_fma_f64 v[0:1], -v[34:35], v[28:29], v[0:1]
	v_div_fmas_f64 v[16:17], v[16:17], v[38:39], v[40:41]
	s_delay_alu instid0(VALU_DEP_2) | instskip(NEXT) | instid1(VALU_DEP_2)
	v_fma_f64 v[0:1], -v[36:37], v[26:27], v[0:1]
	v_div_fixup_f64 v[2:3], v[16:17], v[14:15], v[2:3]
	s_wait_dscnt 0x0
	s_delay_alu instid0(VALU_DEP_1) | instskip(NEXT) | instid1(VALU_DEP_1)
	v_fma_f64 v[0:1], -v[2:3], v[32:33], v[0:1]
	v_div_scale_f64 v[14:15], null, v[30:31], v[30:31], v[0:1]
	s_delay_alu instid0(VALU_DEP_1) | instskip(SKIP_1) | instid1(TRANS32_DEP_1)
	v_rcp_f64_e32 v[16:17], v[14:15]
	v_nop
	v_fma_f64 v[26:27], -v[14:15], v[16:17], 1.0
	s_delay_alu instid0(VALU_DEP_1) | instskip(NEXT) | instid1(VALU_DEP_1)
	v_fmac_f64_e32 v[16:17], v[16:17], v[26:27]
	v_fma_f64 v[26:27], -v[14:15], v[16:17], 1.0
	s_delay_alu instid0(VALU_DEP_1) | instskip(SKIP_1) | instid1(VALU_DEP_1)
	v_fmac_f64_e32 v[16:17], v[16:17], v[26:27]
	v_div_scale_f64 v[26:27], vcc_lo, v[0:1], v[30:31], v[0:1]
	v_mul_f64_e32 v[28:29], v[26:27], v[16:17]
	s_delay_alu instid0(VALU_DEP_1) | instskip(NEXT) | instid1(VALU_DEP_1)
	v_fma_f64 v[14:15], -v[14:15], v[28:29], v[26:27]
	v_div_fmas_f64 v[14:15], v[14:15], v[16:17], v[28:29]
	s_delay_alu instid0(VALU_DEP_1)
	v_div_fixup_f64 v[0:1], v[14:15], v[30:31], v[0:1]
	ds_store_b64 v21, v[34:35]
	ds_store_b64 v22, v[36:37]
	;; [unrolled: 1-line block ×4, first 2 shown]
	s_cbranch_scc1 .LBB76_54
; %bb.53:                               ;   in Loop: Header=BB76_49 Depth=2
	s_mov_b32 s21, s29
	s_branch .LBB76_49
.LBB76_54:                              ;   in Loop: Header=BB76_3 Depth=1
	s_cmp_lt_i32 s29, 0
	s_cbranch_scc1 .LBB76_67
; %bb.55:                               ;   in Loop: Header=BB76_3 Depth=1
	s_bitcmp1_b32 s29, 0
	s_cselect_b32 s20, -1, 0
	s_delay_alu instid0(SALU_CYCLE_1)
	s_and_b32 vcc_lo, exec_lo, s20
	s_mov_b32 s20, s29
	s_cbranch_vccnz .LBB76_60
; %bb.56:                               ;   in Loop: Header=BB76_3 Depth=1
	v_lshl_add_u32 v2, s29, 6, v18
	s_cmp_le_i32 s27, s29
	ds_load_b64 v[0:1], v2
	s_cbranch_scc1 .LBB76_59
; %bb.57:                               ;   in Loop: Header=BB76_3 Depth=1
	v_mov_b32_e32 v3, v5
	s_lshl_b32 s20, s29, 6
	s_mov_b32 s21, s27
	s_add_co_i32 s20, s18, s20
.LBB76_58:                              ;   Parent Loop BB76_3 Depth=1
                                        ; =>  This Inner Loop Header: Depth=2
	s_delay_alu instid0(SALU_CYCLE_1)
	v_mov_b32_e32 v16, s20
	s_add_co_i32 s21, s21, -1
	s_add_co_i32 s20, s20, -8
	s_cmp_gt_u32 s21, s29
	ds_load_b64 v[14:15], v3
	ds_load_b64 v[16:17], v16
	v_subrev_nc_u32_e32 v3, 64, v3
	s_wait_dscnt 0x0
	v_fma_f64 v[0:1], -v[14:15], v[16:17], v[0:1]
	s_cbranch_scc1 .LBB76_58
.LBB76_59:                              ;   in Loop: Header=BB76_3 Depth=1
	s_mul_i32 s20, s29, 0x48
	s_delay_alu instid0(SALU_CYCLE_1) | instskip(SKIP_4) | instid1(VALU_DEP_1)
	v_mov_b32_e32 v3, s20
	s_add_co_i32 s20, s29, -1
	ds_load_b64 v[14:15], v3
	s_wait_dscnt 0x0
	v_div_scale_f64 v[16:17], null, v[14:15], v[14:15], v[0:1]
	v_rcp_f64_e32 v[22:23], v[16:17]
	v_nop
	s_delay_alu instid0(TRANS32_DEP_1) | instskip(NEXT) | instid1(VALU_DEP_1)
	v_fma_f64 v[24:25], -v[16:17], v[22:23], 1.0
	v_fmac_f64_e32 v[22:23], v[22:23], v[24:25]
	s_delay_alu instid0(VALU_DEP_1) | instskip(NEXT) | instid1(VALU_DEP_1)
	v_fma_f64 v[24:25], -v[16:17], v[22:23], 1.0
	v_fmac_f64_e32 v[22:23], v[22:23], v[24:25]
	v_div_scale_f64 v[24:25], vcc_lo, v[0:1], v[14:15], v[0:1]
	s_delay_alu instid0(VALU_DEP_1) | instskip(NEXT) | instid1(VALU_DEP_1)
	v_mul_f64_e32 v[26:27], v[24:25], v[22:23]
	v_fma_f64 v[16:17], -v[16:17], v[26:27], v[24:25]
	s_delay_alu instid0(VALU_DEP_1) | instskip(NEXT) | instid1(VALU_DEP_1)
	v_div_fmas_f64 v[16:17], v[16:17], v[22:23], v[26:27]
	v_div_fixup_f64 v[0:1], v[16:17], v[14:15], v[0:1]
	ds_store_b64 v2, v[0:1]
.LBB76_60:                              ;   in Loop: Header=BB76_3 Depth=1
	s_cmp_eq_u32 s29, 0
	s_cbranch_scc1 .LBB76_67
; %bb.61:                               ;   in Loop: Header=BB76_3 Depth=1
	s_lshl_b32 s29, s20, 6
	s_delay_alu instid0(SALU_CYCLE_1)
	s_add_co_i32 s21, s18, s29
	s_add_co_i32 s29, s19, s29
	s_branch .LBB76_63
.LBB76_62:                              ;   in Loop: Header=BB76_63 Depth=2
	s_addk_co_i32 s31, 0xffb8
	s_add_co_i32 s20, s20, -2
	v_mov_b32_e32 v0, s31
	s_addk_co_i32 s21, 0xff80
	s_addk_co_i32 s29, 0xff80
	s_cmp_eq_u32 s30, 0
	ds_load_b64 v[0:1], v0
	s_wait_dscnt 0x0
	v_div_scale_f64 v[16:17], null, v[0:1], v[0:1], v[2:3]
	s_delay_alu instid0(VALU_DEP_1) | instskip(SKIP_1) | instid1(TRANS32_DEP_1)
	v_rcp_f64_e32 v[22:23], v[16:17]
	v_nop
	v_fma_f64 v[24:25], -v[16:17], v[22:23], 1.0
	s_delay_alu instid0(VALU_DEP_1) | instskip(NEXT) | instid1(VALU_DEP_1)
	v_fmac_f64_e32 v[22:23], v[22:23], v[24:25]
	v_fma_f64 v[24:25], -v[16:17], v[22:23], 1.0
	s_delay_alu instid0(VALU_DEP_1) | instskip(SKIP_1) | instid1(VALU_DEP_1)
	v_fmac_f64_e32 v[22:23], v[22:23], v[24:25]
	v_div_scale_f64 v[24:25], vcc_lo, v[2:3], v[0:1], v[2:3]
	v_mul_f64_e32 v[26:27], v[24:25], v[22:23]
	s_delay_alu instid0(VALU_DEP_1) | instskip(NEXT) | instid1(VALU_DEP_1)
	v_fma_f64 v[16:17], -v[16:17], v[26:27], v[24:25]
	v_div_fmas_f64 v[16:17], v[16:17], v[22:23], v[26:27]
	s_delay_alu instid0(VALU_DEP_1)
	v_div_fixup_f64 v[0:1], v[16:17], v[0:1], v[2:3]
	ds_store_b64 v15, v[0:1]
	s_cbranch_scc1 .LBB76_67
.LBB76_63:                              ;   Parent Loop BB76_3 Depth=1
                                        ; =>  This Loop Header: Depth=2
                                        ;       Child Loop BB76_64 Depth 3
                                        ;       Child Loop BB76_66 Depth 3
	v_lshl_add_u32 v14, s20, 6, v18
	v_mov_b32_e32 v2, v5
	s_cmp_le_i32 s27, s20
	s_mov_b32 s30, s21
	s_mov_b32 s31, s27
	ds_load_b64 v[0:1], v14
	s_cbranch_scc1 .LBB76_65
.LBB76_64:                              ;   Parent Loop BB76_3 Depth=1
                                        ;     Parent Loop BB76_63 Depth=2
                                        ; =>    This Inner Loop Header: Depth=3
	v_mov_b32_e32 v3, s30
	s_add_co_i32 s31, s31, -1
	s_add_co_i32 s30, s30, -8
	s_cmp_le_u32 s31, s20
	ds_load_b64 v[16:17], v2
	ds_load_b64 v[22:23], v3
	v_subrev_nc_u32_e32 v2, 64, v2
	s_wait_dscnt 0x0
	v_fma_f64 v[0:1], -v[16:17], v[22:23], v[0:1]
	s_cbranch_scc0 .LBB76_64
.LBB76_65:                              ;   in Loop: Header=BB76_63 Depth=2
	s_mul_i32 s31, s20, 0x48
	s_add_co_i32 s30, s20, -1
	v_mov_b32_e32 v2, s31
	v_lshl_add_u32 v15, s30, 6, v18
	s_cmp_le_i32 s26, s20
	s_mov_b32 s33, s29
	s_mov_b32 s34, s27
	ds_load_b64 v[16:17], v2
	ds_load_b64 v[2:3], v15
	s_wait_dscnt 0x1
	v_div_scale_f64 v[22:23], null, v[16:17], v[16:17], v[0:1]
	s_delay_alu instid0(VALU_DEP_1) | instskip(SKIP_1) | instid1(TRANS32_DEP_1)
	v_rcp_f64_e32 v[24:25], v[22:23]
	v_nop
	v_fma_f64 v[26:27], -v[22:23], v[24:25], 1.0
	s_delay_alu instid0(VALU_DEP_1) | instskip(NEXT) | instid1(VALU_DEP_1)
	v_fmac_f64_e32 v[24:25], v[24:25], v[26:27]
	v_fma_f64 v[26:27], -v[22:23], v[24:25], 1.0
	s_delay_alu instid0(VALU_DEP_1) | instskip(SKIP_1) | instid1(VALU_DEP_1)
	v_fmac_f64_e32 v[24:25], v[24:25], v[26:27]
	v_div_scale_f64 v[26:27], vcc_lo, v[0:1], v[16:17], v[0:1]
	v_mul_f64_e32 v[28:29], v[26:27], v[24:25]
	s_delay_alu instid0(VALU_DEP_1) | instskip(NEXT) | instid1(VALU_DEP_1)
	v_fma_f64 v[22:23], -v[22:23], v[28:29], v[26:27]
	v_div_fmas_f64 v[22:23], v[22:23], v[24:25], v[28:29]
	s_delay_alu instid0(VALU_DEP_1)
	v_div_fixup_f64 v[16:17], v[22:23], v[16:17], v[0:1]
	v_mov_b32_e32 v0, v5
	ds_store_b64 v14, v[16:17]
	s_cbranch_scc1 .LBB76_62
.LBB76_66:                              ;   Parent Loop BB76_3 Depth=1
                                        ;     Parent Loop BB76_63 Depth=2
                                        ; =>    This Inner Loop Header: Depth=3
	v_mov_b32_e32 v1, s33
	s_add_co_i32 s34, s34, -1
	s_add_co_i32 s33, s33, -8
	s_cmp_gt_u32 s34, s30
	ds_load_b64 v[16:17], v0
	ds_load_b64 v[22:23], v1
	v_subrev_nc_u32_e32 v0, 64, v0
	s_wait_dscnt 0x0
	v_fma_f64 v[2:3], -v[16:17], v[22:23], v[2:3]
	s_cbranch_scc1 .LBB76_66
	s_branch .LBB76_62
.LBB76_67:                              ;   in Loop: Header=BB76_3 Depth=1
	s_mov_b32 s20, 0
.LBB76_68:                              ;   in Loop: Header=BB76_3 Depth=1
	s_delay_alu instid0(SALU_CYCLE_1)
	s_and_not1_b32 vcc_lo, exec_lo, s20
	s_cbranch_vccnz .LBB76_80
; %bb.69:                               ;   in Loop: Header=BB76_3 Depth=1
	s_and_not1_b32 vcc_lo, exec_lo, s22
	s_mov_b32 s29, 0
	s_cbranch_vccnz .LBB76_75
; %bb.70:                               ;   in Loop: Header=BB76_3 Depth=1
	s_mov_b32 s20, 0
	s_mov_b32 s21, 0
.LBB76_71:                              ;   Parent Loop BB76_3 Depth=1
                                        ; =>  This Loop Header: Depth=2
                                        ;       Child Loop BB76_72 Depth 3
	s_delay_alu instid0(SALU_CYCLE_1)
	s_or_b32 s30, s21, 1
	v_lshl_add_u32 v21, s21, 6, v18
	s_or_b32 s31, s21, 2
	s_or_b32 s29, s21, 3
	v_lshl_add_u32 v22, s30, 6, v18
	v_lshl_add_u32 v23, s31, 6, v18
	v_lshl_add_u32 v24, s29, 6, v18
	ds_load_b64 v[16:17], v21
	ds_load_b64 v[14:15], v22
	;; [unrolled: 1-line block ×4, first 2 shown]
	v_mov_b32_e32 v25, v18
	s_cmp_eq_u32 s21, 0
	s_mov_b32 s33, s20
	s_mov_b32 s34, s21
	s_cbranch_scc1 .LBB76_73
.LBB76_72:                              ;   Parent Loop BB76_3 Depth=1
                                        ;     Parent Loop BB76_71 Depth=2
                                        ; =>    This Inner Loop Header: Depth=3
	v_mov_b32_e32 v30, s33
	s_add_co_i32 s34, s34, -1
	s_add_co_i32 s33, s33, 8
	s_cmp_eq_u32 s34, 0
	ds_load_b64 v[34:35], v25
	ds_load_2addr_b64 v[26:29], v30 offset1:8
	ds_load_2addr_b64 v[30:33], v30 offset0:16 offset1:24
	s_wait_dscnt 0x1
	v_dual_fma_f64 v[16:17], -v[34:35], v[26:27], v[16:17] :: v_dual_add_nc_u32 v25, 64, v25
	v_fma_f64 v[14:15], -v[34:35], v[28:29], v[14:15]
	s_wait_dscnt 0x0
	v_fma_f64 v[2:3], -v[34:35], v[30:31], v[2:3]
	v_fma_f64 v[0:1], -v[34:35], v[32:33], v[0:1]
	s_cbranch_scc0 .LBB76_72
.LBB76_73:                              ;   in Loop: Header=BB76_71 Depth=2
	s_lshl_b32 s33, s30, 3
	s_lshl_b32 s30, s31, 3
	s_mul_i32 s31, s21, 0x48
	s_lshl_b32 s29, s29, 3
	v_mov_b32_e32 v25, s31
	s_lshl_b32 s31, s33, 3
	s_lshl_b32 s33, s21, 3
	;; [unrolled: 1-line block ×3, first 2 shown]
	s_add_co_i32 s31, s31, s33
	ds_load_b64 v[30:31], v25
	s_add_co_i32 s29, s29, s33
	s_addk_co_i32 s20, 0x100
	s_wait_dscnt 0x0
	v_div_scale_f64 v[32:33], null, v[30:31], v[30:31], v[16:17]
	v_div_scale_f64 v[38:39], vcc_lo, v[16:17], v[30:31], v[16:17]
	s_delay_alu instid0(VALU_DEP_2) | instskip(SKIP_1) | instid1(TRANS32_DEP_1)
	v_rcp_f64_e32 v[34:35], v[32:33]
	v_nop
	v_fma_f64 v[36:37], -v[32:33], v[34:35], 1.0
	s_delay_alu instid0(VALU_DEP_1) | instskip(NEXT) | instid1(VALU_DEP_1)
	v_fmac_f64_e32 v[34:35], v[34:35], v[36:37]
	v_fma_f64 v[36:37], -v[32:33], v[34:35], 1.0
	s_delay_alu instid0(VALU_DEP_1) | instskip(NEXT) | instid1(VALU_DEP_1)
	v_fmac_f64_e32 v[34:35], v[34:35], v[36:37]
	v_dual_mul_f64 v[36:37], v[38:39], v[34:35] :: v_dual_mov_b32 v25, s31
	s_lshl_b32 s31, s30, 3
	s_delay_alu instid0(SALU_CYCLE_1) | instskip(SKIP_1) | instid1(VALU_DEP_1)
	s_add_co_i32 s34, s31, s33
	s_add_co_i32 s30, s31, s30
	v_fma_f64 v[32:33], -v[32:33], v[36:37], v[38:39]
	ds_load_b128 v[26:29], v25
	v_mov_b32_e32 v25, s30
	v_div_fmas_f64 v[32:33], v[32:33], v[34:35], v[36:37]
	s_delay_alu instid0(VALU_DEP_1) | instskip(SKIP_1) | instid1(VALU_DEP_1)
	v_div_fixup_f64 v[30:31], v[32:33], v[30:31], v[16:17]
	s_wait_dscnt 0x0
	v_fma_f64 v[26:27], -v[30:31], v[26:27], v[14:15]
	s_delay_alu instid0(VALU_DEP_1) | instskip(SKIP_1) | instid1(VALU_DEP_2)
	v_div_scale_f64 v[14:15], null, v[28:29], v[28:29], v[26:27]
	v_div_scale_f64 v[34:35], vcc_lo, v[26:27], v[28:29], v[26:27]
	v_rcp_f64_e32 v[16:17], v[14:15]
	v_nop
	s_delay_alu instid0(TRANS32_DEP_1) | instskip(NEXT) | instid1(VALU_DEP_1)
	v_fma_f64 v[32:33], -v[14:15], v[16:17], 1.0
	v_fmac_f64_e32 v[16:17], v[16:17], v[32:33]
	s_delay_alu instid0(VALU_DEP_1) | instskip(NEXT) | instid1(VALU_DEP_1)
	v_fma_f64 v[32:33], -v[14:15], v[16:17], 1.0
	v_fmac_f64_e32 v[16:17], v[16:17], v[32:33]
	s_delay_alu instid0(VALU_DEP_1) | instskip(NEXT) | instid1(VALU_DEP_1)
	v_mul_f64_e32 v[32:33], v[34:35], v[16:17]
	v_fma_f64 v[14:15], -v[14:15], v[32:33], v[34:35]
	ds_load_b64 v[34:35], v25
	v_mov_b32_e32 v25, s29
	s_add_co_i32 s29, s21, 4
	s_add_co_i32 s21, s21, 7
	s_delay_alu instid0(SALU_CYCLE_1)
	s_cmp_ge_i32 s21, s26
	v_div_fmas_f64 v[32:33], v[14:15], v[16:17], v[32:33]
	v_mov_b32_e32 v14, s34
	ds_load_b128 v[14:17], v14
	s_wait_dscnt 0x0
	v_fma_f64 v[2:3], -v[30:31], v[14:15], v[2:3]
	v_div_fixup_f64 v[32:33], v[32:33], v[28:29], v[26:27]
	s_delay_alu instid0(VALU_DEP_1) | instskip(NEXT) | instid1(VALU_DEP_1)
	v_fma_f64 v[2:3], -v[32:33], v[16:17], v[2:3]
	v_div_scale_f64 v[14:15], null, v[34:35], v[34:35], v[2:3]
	v_div_scale_f64 v[26:27], vcc_lo, v[2:3], v[34:35], v[2:3]
	s_delay_alu instid0(VALU_DEP_2) | instskip(SKIP_1) | instid1(TRANS32_DEP_1)
	v_rcp_f64_e32 v[36:37], v[14:15]
	v_nop
	v_fma_f64 v[16:17], -v[14:15], v[36:37], 1.0
	s_delay_alu instid0(VALU_DEP_1) | instskip(NEXT) | instid1(VALU_DEP_1)
	v_fmac_f64_e32 v[36:37], v[36:37], v[16:17]
	v_fma_f64 v[16:17], -v[14:15], v[36:37], 1.0
	s_delay_alu instid0(VALU_DEP_1) | instskip(NEXT) | instid1(VALU_DEP_1)
	v_fmac_f64_e32 v[36:37], v[36:37], v[16:17]
	v_mul_f64_e32 v[38:39], v[26:27], v[36:37]
	s_delay_alu instid0(VALU_DEP_1)
	v_fma_f64 v[40:41], -v[14:15], v[38:39], v[26:27]
	ds_load_b128 v[14:17], v25
	ds_load_b128 v[26:29], v25 offset:16
	s_wait_dscnt 0x1
	v_fma_f64 v[0:1], -v[30:31], v[14:15], v[0:1]
	v_div_fmas_f64 v[14:15], v[40:41], v[36:37], v[38:39]
	s_delay_alu instid0(VALU_DEP_2) | instskip(NEXT) | instid1(VALU_DEP_2)
	v_fma_f64 v[0:1], -v[32:33], v[16:17], v[0:1]
	v_div_fixup_f64 v[2:3], v[14:15], v[34:35], v[2:3]
	s_wait_dscnt 0x0
	s_delay_alu instid0(VALU_DEP_1) | instskip(NEXT) | instid1(VALU_DEP_1)
	v_fma_f64 v[0:1], -v[2:3], v[26:27], v[0:1]
	v_div_scale_f64 v[14:15], null, v[28:29], v[28:29], v[0:1]
	s_delay_alu instid0(VALU_DEP_1) | instskip(SKIP_1) | instid1(TRANS32_DEP_1)
	v_rcp_f64_e32 v[16:17], v[14:15]
	v_nop
	v_fma_f64 v[26:27], -v[14:15], v[16:17], 1.0
	s_delay_alu instid0(VALU_DEP_1) | instskip(NEXT) | instid1(VALU_DEP_1)
	v_fmac_f64_e32 v[16:17], v[16:17], v[26:27]
	v_fma_f64 v[26:27], -v[14:15], v[16:17], 1.0
	s_delay_alu instid0(VALU_DEP_1) | instskip(SKIP_1) | instid1(VALU_DEP_1)
	v_fmac_f64_e32 v[16:17], v[16:17], v[26:27]
	v_div_scale_f64 v[26:27], vcc_lo, v[0:1], v[28:29], v[0:1]
	v_mul_f64_e32 v[34:35], v[26:27], v[16:17]
	s_delay_alu instid0(VALU_DEP_1) | instskip(NEXT) | instid1(VALU_DEP_1)
	v_fma_f64 v[14:15], -v[14:15], v[34:35], v[26:27]
	v_div_fmas_f64 v[14:15], v[14:15], v[16:17], v[34:35]
	s_delay_alu instid0(VALU_DEP_1)
	v_div_fixup_f64 v[0:1], v[14:15], v[28:29], v[0:1]
	ds_store_b64 v21, v[30:31]
	ds_store_b64 v22, v[32:33]
	;; [unrolled: 1-line block ×4, first 2 shown]
	s_cbranch_scc1 .LBB76_75
; %bb.74:                               ;   in Loop: Header=BB76_71 Depth=2
	s_mov_b32 s21, s29
	s_branch .LBB76_71
.LBB76_75:                              ;   in Loop: Header=BB76_3 Depth=1
	s_cmp_ge_i32 s29, s26
	s_cbranch_scc1 .LBB76_80
; %bb.76:                               ;   in Loop: Header=BB76_3 Depth=1
	s_lshl_b32 s20, s29, 6
	s_branch .LBB76_78
.LBB76_77:                              ;   in Loop: Header=BB76_78 Depth=2
	s_mul_i32 s21, s29, 0x48
	s_add_co_i32 s29, s29, 1
	v_mov_b32_e32 v3, s21
	s_add_co_i32 s20, s20, 64
	s_cmp_ge_i32 s29, s26
	ds_load_b64 v[14:15], v3
	s_wait_dscnt 0x0
	v_div_scale_f64 v[16:17], null, v[14:15], v[14:15], v[0:1]
	s_delay_alu instid0(VALU_DEP_1) | instskip(SKIP_1) | instid1(TRANS32_DEP_1)
	v_rcp_f64_e32 v[22:23], v[16:17]
	v_nop
	v_fma_f64 v[24:25], -v[16:17], v[22:23], 1.0
	s_delay_alu instid0(VALU_DEP_1) | instskip(NEXT) | instid1(VALU_DEP_1)
	v_fmac_f64_e32 v[22:23], v[22:23], v[24:25]
	v_fma_f64 v[24:25], -v[16:17], v[22:23], 1.0
	s_delay_alu instid0(VALU_DEP_1) | instskip(SKIP_1) | instid1(VALU_DEP_1)
	v_fmac_f64_e32 v[22:23], v[22:23], v[24:25]
	v_div_scale_f64 v[24:25], vcc_lo, v[0:1], v[14:15], v[0:1]
	v_mul_f64_e32 v[26:27], v[24:25], v[22:23]
	s_delay_alu instid0(VALU_DEP_1) | instskip(NEXT) | instid1(VALU_DEP_1)
	v_fma_f64 v[16:17], -v[16:17], v[26:27], v[24:25]
	v_div_fmas_f64 v[16:17], v[16:17], v[22:23], v[26:27]
	s_delay_alu instid0(VALU_DEP_1)
	v_div_fixup_f64 v[0:1], v[16:17], v[14:15], v[0:1]
	ds_store_b64 v2, v[0:1]
	s_cbranch_scc1 .LBB76_80
.LBB76_78:                              ;   Parent Loop BB76_3 Depth=1
                                        ; =>  This Loop Header: Depth=2
                                        ;       Child Loop BB76_79 Depth 3
	v_lshl_add_u32 v2, s29, 6, v18
	v_mov_b32_e32 v3, v18
	s_cmp_eq_u32 s29, 0
	s_mov_b32 s21, s20
	s_mov_b32 s30, s29
	ds_load_b64 v[0:1], v2
	s_cbranch_scc1 .LBB76_77
.LBB76_79:                              ;   Parent Loop BB76_3 Depth=1
                                        ;     Parent Loop BB76_78 Depth=2
                                        ; =>    This Inner Loop Header: Depth=3
	v_mov_b32_e32 v16, s21
	s_add_co_i32 s30, s30, -1
	s_add_co_i32 s21, s21, 8
	s_cmp_eq_u32 s30, 0
	ds_load_b64 v[14:15], v3
	ds_load_b64 v[16:17], v16
	s_wait_dscnt 0x0
	v_dual_fma_f64 v[0:1], -v[14:15], v[16:17], v[0:1] :: v_dual_add_nc_u32 v3, 64, v3
	s_cbranch_scc0 .LBB76_79
	s_branch .LBB76_77
.LBB76_80:                              ;   in Loop: Header=BB76_3 Depth=1
	s_and_saveexec_b32 s20, s28
	s_cbranch_execz .LBB76_2
; %bb.81:                               ;   in Loop: Header=BB76_3 Depth=1
	v_mov_b32_e32 v0, v18
	s_mov_b32 s21, s25
.LBB76_82:                              ;   Parent Loop BB76_3 Depth=1
                                        ; =>  This Inner Loop Header: Depth=2
	ds_load_b64 v[2:3], v0
	v_add_nc_u32_e32 v0, 64, v0
	s_add_co_i32 s21, s21, -1
	s_delay_alu instid0(SALU_CYCLE_1)
	s_cmp_lg_u32 s21, 0
	s_wait_dscnt 0x0
	global_store_b64 v[12:13], v[2:3], off
	s_wait_xcnt 0x0
	v_add_nc_u64_e32 v[12:13], s[6:7], v[12:13]
	s_cbranch_scc1 .LBB76_82
	s_branch .LBB76_2
.LBB76_83:
	s_endpgm
	.section	.rodata,"a",@progbits
	.p2align	6, 0x0
	.amdhsa_kernel _ZL31rocblas_trsm_small_right_deviceIddPKdPdLi8EEv13rocblas_fill_18rocblas_operation_17rocblas_diagonal_iiT0_T1_lilT2_lili
		.amdhsa_group_segment_fixed_size 1024
		.amdhsa_private_segment_fixed_size 0
		.amdhsa_kernarg_size 360
		.amdhsa_user_sgpr_count 2
		.amdhsa_user_sgpr_dispatch_ptr 0
		.amdhsa_user_sgpr_queue_ptr 0
		.amdhsa_user_sgpr_kernarg_segment_ptr 1
		.amdhsa_user_sgpr_dispatch_id 0
		.amdhsa_user_sgpr_kernarg_preload_length 0
		.amdhsa_user_sgpr_kernarg_preload_offset 0
		.amdhsa_user_sgpr_private_segment_size 0
		.amdhsa_wavefront_size32 1
		.amdhsa_uses_dynamic_stack 0
		.amdhsa_enable_private_segment 0
		.amdhsa_system_sgpr_workgroup_id_x 1
		.amdhsa_system_sgpr_workgroup_id_y 0
		.amdhsa_system_sgpr_workgroup_id_z 1
		.amdhsa_system_sgpr_workgroup_info 0
		.amdhsa_system_vgpr_workitem_id 0
		.amdhsa_next_free_vgpr 46
		.amdhsa_next_free_sgpr 39
		.amdhsa_named_barrier_count 0
		.amdhsa_reserve_vcc 1
		.amdhsa_float_round_mode_32 0
		.amdhsa_float_round_mode_16_64 0
		.amdhsa_float_denorm_mode_32 3
		.amdhsa_float_denorm_mode_16_64 3
		.amdhsa_fp16_overflow 0
		.amdhsa_memory_ordered 1
		.amdhsa_forward_progress 1
		.amdhsa_inst_pref_size 50
		.amdhsa_round_robin_scheduling 0
		.amdhsa_exception_fp_ieee_invalid_op 0
		.amdhsa_exception_fp_denorm_src 0
		.amdhsa_exception_fp_ieee_div_zero 0
		.amdhsa_exception_fp_ieee_overflow 0
		.amdhsa_exception_fp_ieee_underflow 0
		.amdhsa_exception_fp_ieee_inexact 0
		.amdhsa_exception_int_div_zero 0
	.end_amdhsa_kernel
	.section	.text._ZL31rocblas_trsm_small_right_deviceIddPKdPdLi8EEv13rocblas_fill_18rocblas_operation_17rocblas_diagonal_iiT0_T1_lilT2_lili,"axG",@progbits,_ZL31rocblas_trsm_small_right_deviceIddPKdPdLi8EEv13rocblas_fill_18rocblas_operation_17rocblas_diagonal_iiT0_T1_lilT2_lili,comdat
.Lfunc_end76:
	.size	_ZL31rocblas_trsm_small_right_deviceIddPKdPdLi8EEv13rocblas_fill_18rocblas_operation_17rocblas_diagonal_iiT0_T1_lilT2_lili, .Lfunc_end76-_ZL31rocblas_trsm_small_right_deviceIddPKdPdLi8EEv13rocblas_fill_18rocblas_operation_17rocblas_diagonal_iiT0_T1_lilT2_lili
                                        ; -- End function
	.set _ZL31rocblas_trsm_small_right_deviceIddPKdPdLi8EEv13rocblas_fill_18rocblas_operation_17rocblas_diagonal_iiT0_T1_lilT2_lili.num_vgpr, 46
	.set _ZL31rocblas_trsm_small_right_deviceIddPKdPdLi8EEv13rocblas_fill_18rocblas_operation_17rocblas_diagonal_iiT0_T1_lilT2_lili.num_agpr, 0
	.set _ZL31rocblas_trsm_small_right_deviceIddPKdPdLi8EEv13rocblas_fill_18rocblas_operation_17rocblas_diagonal_iiT0_T1_lilT2_lili.numbered_sgpr, 39
	.set _ZL31rocblas_trsm_small_right_deviceIddPKdPdLi8EEv13rocblas_fill_18rocblas_operation_17rocblas_diagonal_iiT0_T1_lilT2_lili.num_named_barrier, 0
	.set _ZL31rocblas_trsm_small_right_deviceIddPKdPdLi8EEv13rocblas_fill_18rocblas_operation_17rocblas_diagonal_iiT0_T1_lilT2_lili.private_seg_size, 0
	.set _ZL31rocblas_trsm_small_right_deviceIddPKdPdLi8EEv13rocblas_fill_18rocblas_operation_17rocblas_diagonal_iiT0_T1_lilT2_lili.uses_vcc, 1
	.set _ZL31rocblas_trsm_small_right_deviceIddPKdPdLi8EEv13rocblas_fill_18rocblas_operation_17rocblas_diagonal_iiT0_T1_lilT2_lili.uses_flat_scratch, 0
	.set _ZL31rocblas_trsm_small_right_deviceIddPKdPdLi8EEv13rocblas_fill_18rocblas_operation_17rocblas_diagonal_iiT0_T1_lilT2_lili.has_dyn_sized_stack, 0
	.set _ZL31rocblas_trsm_small_right_deviceIddPKdPdLi8EEv13rocblas_fill_18rocblas_operation_17rocblas_diagonal_iiT0_T1_lilT2_lili.has_recursion, 0
	.set _ZL31rocblas_trsm_small_right_deviceIddPKdPdLi8EEv13rocblas_fill_18rocblas_operation_17rocblas_diagonal_iiT0_T1_lilT2_lili.has_indirect_call, 0
	.section	.AMDGPU.csdata,"",@progbits
; Kernel info:
; codeLenInByte = 6284
; TotalNumSgprs: 41
; NumVgprs: 46
; ScratchSize: 0
; MemoryBound: 0
; FloatMode: 240
; IeeeMode: 1
; LDSByteSize: 1024 bytes/workgroup (compile time only)
; SGPRBlocks: 0
; VGPRBlocks: 2
; NumSGPRsForWavesPerEU: 41
; NumVGPRsForWavesPerEU: 46
; NamedBarCnt: 0
; Occupancy: 16
; WaveLimiterHint : 0
; COMPUTE_PGM_RSRC2:SCRATCH_EN: 0
; COMPUTE_PGM_RSRC2:USER_SGPR: 2
; COMPUTE_PGM_RSRC2:TRAP_HANDLER: 0
; COMPUTE_PGM_RSRC2:TGID_X_EN: 1
; COMPUTE_PGM_RSRC2:TGID_Y_EN: 0
; COMPUTE_PGM_RSRC2:TGID_Z_EN: 1
; COMPUTE_PGM_RSRC2:TIDIG_COMP_CNT: 0
	.section	.text._ZL38rocblas_trsm_small_left_device_sharedBILi12ELi12ELb0EddPKdPdEv13rocblas_fill_18rocblas_operation_17rocblas_diagonal_iiT3_T4_lilT5_lili,"axG",@progbits,_ZL38rocblas_trsm_small_left_device_sharedBILi12ELi12ELb0EddPKdPdEv13rocblas_fill_18rocblas_operation_17rocblas_diagonal_iiT3_T4_lilT5_lili,comdat
	.globl	_ZL38rocblas_trsm_small_left_device_sharedBILi12ELi12ELb0EddPKdPdEv13rocblas_fill_18rocblas_operation_17rocblas_diagonal_iiT3_T4_lilT5_lili ; -- Begin function _ZL38rocblas_trsm_small_left_device_sharedBILi12ELi12ELb0EddPKdPdEv13rocblas_fill_18rocblas_operation_17rocblas_diagonal_iiT3_T4_lilT5_lili
	.p2align	8
	.type	_ZL38rocblas_trsm_small_left_device_sharedBILi12ELi12ELb0EddPKdPdEv13rocblas_fill_18rocblas_operation_17rocblas_diagonal_iiT3_T4_lilT5_lili,@function
_ZL38rocblas_trsm_small_left_device_sharedBILi12ELi12ELb0EddPKdPdEv13rocblas_fill_18rocblas_operation_17rocblas_diagonal_iiT3_T4_lilT5_lili: ; @_ZL38rocblas_trsm_small_left_device_sharedBILi12ELi12ELb0EddPKdPdEv13rocblas_fill_18rocblas_operation_17rocblas_diagonal_iiT3_T4_lilT5_lili
; %bb.0:
	s_load_b32 s19, s[0:1], 0x60
	s_bfe_u32 s2, ttmp6, 0x40014
	s_lshr_b32 s3, ttmp7, 16
	s_add_co_i32 s2, s2, 1
	s_bfe_u32 s5, ttmp6, 0x40008
	s_mul_i32 s4, s3, s2
	s_getreg_b32 s2, hwreg(HW_REG_IB_STS2, 6, 4)
	s_add_co_i32 s5, s5, s4
	s_cmp_eq_u32 s2, 0
	s_cselect_b32 s23, s3, s5
	s_wait_kmcnt 0x0
	s_cmp_ge_u32 s23, s19
	s_cbranch_scc1 .LBB77_55
; %bb.1:
	s_clause 0x6
	s_load_b96 s[16:18], s[0:1], 0x28
	s_load_b96 s[20:22], s[0:1], 0x48
	s_load_b128 s[12:15], s[0:1], 0x4
	s_load_b32 s3, s[0:1], 0x68
	s_load_b64 s[24:25], s[0:1], 0x58
	s_load_b128 s[4:7], s[0:1], 0x18
	s_load_b128 s[8:11], s[0:1], 0x38
	s_wait_xcnt 0x0
	s_bfe_u32 s0, ttmp6, 0x4000c
	s_and_b32 s1, ttmp6, 15
	s_add_co_i32 s0, s0, 1
	v_dual_mov_b32 v67, 0 :: v_dual_lshlrev_b32 v66, 3, v0
	s_mul_i32 s0, ttmp9, s0
	v_mul_u32_u24_e32 v26, 0x60, v0
	s_add_co_i32 s0, s1, s0
	s_delay_alu instid0(VALU_DEP_2)
	v_or_b32_e32 v74, 0x480, v66
	v_dual_mov_b32 v2, v67 :: v_dual_mov_b32 v3, v67
	v_dual_mov_b32 v4, v67 :: v_dual_mov_b32 v5, v67
	s_wait_kmcnt 0x0
	s_ashr_i32 s31, s18, 31
	s_ashr_i32 s29, s22, 31
	s_min_i32 s1, s14, 12
	s_add_co_i32 s3, s3, -1
	s_add_co_i32 s26, s1, -1
	s_cmp_eq_u32 s2, 0
	v_dual_mov_b32 v6, v67 :: v_dual_mov_b32 v7, v67
	s_cselect_b32 s0, ttmp9, s0
	v_dual_mov_b32 v8, v67 :: v_dual_mov_b32 v9, v67
	s_mul_i32 s2, s0, -12
	v_dual_mov_b32 v10, v67 :: v_dual_mov_b32 v11, v67
	s_add_co_i32 s15, s15, s2
	s_cmp_ge_u32 s0, s3
	s_mul_i32 s2, s0, 12
	s_cselect_b32 s0, s15, 12
	s_ashr_i32 s3, s2, 31
	s_cmp_lg_u32 s13, 0x84
	v_lshl_add_u64 v[18:19], s[2:3], 3, v[66:67]
	s_cselect_b32 s27, -1, 0
	s_cmp_gt_i32 s14, 0
	v_cmp_gt_i32_e32 vcc_lo, s0, v0
	s_cselect_b32 s13, -1, 0
	s_cmp_lg_u32 s12, 0x6f
	v_cmp_gt_i32_e64 s0, s1, v0
	s_cselect_b32 s28, -1, 0
	s_lshl_b64 s[2:3], s[20:21], 3
	v_dual_mov_b32 v12, v67 :: v_dual_mov_b32 v13, v67
	s_add_nc_u64 s[2:3], s[10:11], s[2:3]
	s_lshl_b64 s[10:11], s[16:17], 3
	v_mad_nc_u64_u32 v[68:69], v18, s22, s[2:3]
	s_lshl_b64 s[2:3], s[8:9], 3
	s_add_nc_u64 s[8:9], s[6:7], s[10:11]
	v_dual_mov_b32 v14, v67 :: v_dual_mov_b32 v15, v67
	v_add_nc_u64_e32 v[0:1], s[8:9], v[66:67]
	v_dual_mov_b32 v16, v67 :: v_dual_mov_b32 v17, v67
	v_dual_mov_b32 v20, v67 :: v_dual_mov_b32 v21, v67
	v_dual_mov_b32 v22, v67 :: v_dual_mov_b32 v23, v67
	v_mad_u32 v19, v19, s22, v69
	v_dual_mov_b32 v24, v67 :: v_dual_mov_b32 v25, v67
	s_mov_b32 s30, s18
	s_mul_i32 s20, s1, 0x60
	s_and_b32 s18, vcc_lo, s13
	s_lshl_b64 s[6:7], s[30:31], 3
	s_lshl_b64 s[10:11], s[24:25], 3
	s_addk_co_i32 s20, 0xffa0
	s_get_pc_i64 s[8:9]
	s_add_nc_u64 s[8:9], s[8:9], __const._ZL38rocblas_trsm_small_left_device_sharedBILi12ELi12ELb0EddPKdPdEv13rocblas_fill_18rocblas_operation_17rocblas_diagonal_iiT3_T4_lilT5_lili.step_sizes@rel64+4
	s_delay_alu instid0(VALU_DEP_2)
	v_mad_u32 v69, v18, s29, v19
	v_dual_mov_b32 v18, v67 :: v_dual_mov_b32 v19, v67
	v_add_nc_u32_e32 v67, v66, v26
	s_branch .LBB77_3
.LBB77_2:                               ;   in Loop: Header=BB77_3 Depth=1
	s_or_b32 exec_lo, exec_lo, s12
	s_delay_alu instid0(VALU_DEP_1)
	v_mov_b64_e32 v[2:3], v[34:35]
	v_mov_b64_e32 v[4:5], v[36:37]
	;; [unrolled: 1-line block ×16, first 2 shown]
	s_add_co_i32 s23, s23, 0x10000
	s_delay_alu instid0(SALU_CYCLE_1)
	s_cmp_lt_u32 s23, s19
	s_cbranch_scc0 .LBB77_55
.LBB77_3:                               ; =>This Loop Header: Depth=1
                                        ;     Child Loop BB77_5 Depth 2
                                        ;     Child Loop BB77_11 Depth 2
	;; [unrolled: 1-line block ×3, first 2 shown]
                                        ;       Child Loop BB77_17 Depth 3
                                        ;         Child Loop BB77_18 Depth 4
                                        ;         Child Loop BB77_21 Depth 4
                                        ;           Child Loop BB77_22 Depth 5
                                        ;         Child Loop BB77_27 Depth 4
                                        ;           Child Loop BB77_29 Depth 5
                                        ;     Child Loop BB77_37 Depth 2
                                        ;       Child Loop BB77_38 Depth 3
                                        ;       Child Loop BB77_40 Depth 3
                                        ;         Child Loop BB77_41 Depth 4
                                        ;       Child Loop BB77_46 Depth 3
                                        ;         Child Loop BB77_48 Depth 4
                                        ;     Child Loop BB77_49 Depth 2
                                        ;     Child Loop BB77_54 Depth 2
	s_and_saveexec_b32 s12, s0
	s_cbranch_execz .LBB77_9
; %bb.4:                                ;   in Loop: Header=BB77_3 Depth=1
	v_mad_nc_u64_u32 v[34:35], s2, s23, v[0:1]
	v_mov_b32_e32 v36, v66
	s_mov_b32 s13, s1
	s_delay_alu instid0(VALU_DEP_2)
	v_mad_u32 v35, s3, s23, v35
.LBB77_5:                               ;   Parent Loop BB77_3 Depth=1
                                        ; =>  This Inner Loop Header: Depth=2
	global_load_b64 v[38:39], v[34:35], off
	s_wait_xcnt 0x0
	v_add_nc_u64_e32 v[34:35], s[6:7], v[34:35]
	s_add_co_i32 s13, s13, -1
	s_delay_alu instid0(SALU_CYCLE_1)
	s_cmp_eq_u32 s13, 0
	s_wait_loadcnt 0x0
	ds_store_b64 v36, v[38:39]
	v_add_nc_u32_e32 v36, 0x60, v36
	s_cbranch_scc0 .LBB77_5
; %bb.6:                                ;   in Loop: Header=BB77_3 Depth=1
	v_mov_b64_e32 v[34:35], 1.0
	s_and_b32 vcc_lo, exec_lo, s27
	s_cbranch_vccz .LBB77_8
; %bb.7:                                ;   in Loop: Header=BB77_3 Depth=1
	ds_load_b64 v[34:35], v67
	s_wait_dscnt 0x0
	v_div_scale_f64 v[36:37], null, v[34:35], v[34:35], 1.0
	s_delay_alu instid0(VALU_DEP_1) | instskip(SKIP_1) | instid1(TRANS32_DEP_1)
	v_rcp_f64_e32 v[38:39], v[36:37]
	v_nop
	v_fma_f64 v[40:41], -v[36:37], v[38:39], 1.0
	s_delay_alu instid0(VALU_DEP_1) | instskip(NEXT) | instid1(VALU_DEP_1)
	v_fmac_f64_e32 v[38:39], v[38:39], v[40:41]
	v_fma_f64 v[40:41], -v[36:37], v[38:39], 1.0
	s_delay_alu instid0(VALU_DEP_1) | instskip(SKIP_1) | instid1(VALU_DEP_1)
	v_fmac_f64_e32 v[38:39], v[38:39], v[40:41]
	v_div_scale_f64 v[40:41], vcc_lo, 1.0, v[34:35], 1.0
	v_mul_f64_e32 v[42:43], v[40:41], v[38:39]
	s_delay_alu instid0(VALU_DEP_1) | instskip(NEXT) | instid1(VALU_DEP_1)
	v_fma_f64 v[36:37], -v[36:37], v[42:43], v[40:41]
	v_div_fmas_f64 v[36:37], v[36:37], v[38:39], v[42:43]
	s_delay_alu instid0(VALU_DEP_1)
	v_div_fixup_f64 v[34:35], v[36:37], v[34:35], 1.0
.LBB77_8:                               ;   in Loop: Header=BB77_3 Depth=1
	ds_store_b64 v67, v[34:35]
.LBB77_9:                               ;   in Loop: Header=BB77_3 Depth=1
	s_or_b32 exec_lo, exec_lo, s12
	s_delay_alu instid0(VALU_DEP_3) | instskip(NEXT) | instid1(VALU_DEP_1)
	v_mad_nc_u64_u32 v[70:71], s10, s23, v[68:69]
	v_mad_u32 v71, s11, s23, v71
	s_and_saveexec_b32 s12, s18
	s_cbranch_execz .LBB77_12
; %bb.10:                               ;   in Loop: Header=BB77_3 Depth=1
	s_delay_alu instid0(VALU_DEP_1)
	v_mov_b64_e32 v[34:35], v[70:71]
	v_mov_b32_e32 v36, v74
	s_mov_b32 s13, s1
.LBB77_11:                              ;   Parent Loop BB77_3 Depth=1
                                        ; =>  This Inner Loop Header: Depth=2
	global_load_b64 v[38:39], v[34:35], off
	s_wait_xcnt 0x0
	v_add_nc_u64_e32 v[34:35], 8, v[34:35]
	s_add_co_i32 s13, s13, -1
	s_delay_alu instid0(SALU_CYCLE_1)
	s_cmp_lg_u32 s13, 0
	s_wait_loadcnt 0x0
	v_mul_f64_e32 v[38:39], s[4:5], v[38:39]
	ds_store_b64 v36, v[38:39]
	v_add_nc_u32_e32 v36, 0x60, v36
	s_cbranch_scc1 .LBB77_11
.LBB77_12:                              ;   in Loop: Header=BB77_3 Depth=1
	s_or_b32 exec_lo, exec_lo, s12
	s_delay_alu instid0(SALU_CYCLE_1)
	s_and_not1_b32 vcc_lo, exec_lo, s28
	s_mov_b32 s12, -1
	s_wait_dscnt 0x0
	; wave barrier
                                        ; implicit-def: $vgpr34_vgpr35_vgpr36_vgpr37_vgpr38_vgpr39_vgpr40_vgpr41_vgpr42_vgpr43_vgpr44_vgpr45_vgpr46_vgpr47_vgpr48_vgpr49_vgpr50_vgpr51_vgpr52_vgpr53_vgpr54_vgpr55_vgpr56_vgpr57_vgpr58_vgpr59_vgpr60_vgpr61_vgpr62_vgpr63_vgpr64_vgpr65
	s_cbranch_vccnz .LBB77_33
; %bb.13:                               ;   in Loop: Header=BB77_3 Depth=1
	v_mov_b64_e32 v[64:65], v[32:33]
	v_mov_b64_e32 v[62:63], v[30:31]
	;; [unrolled: 1-line block ×16, first 2 shown]
	s_wait_xcnt 0x0
	s_mov_b32 s22, 0
	s_mov_b32 s21, 0
.LBB77_14:                              ;   Parent Loop BB77_3 Depth=1
                                        ; =>  This Loop Header: Depth=2
                                        ;       Child Loop BB77_17 Depth 3
                                        ;         Child Loop BB77_18 Depth 4
                                        ;         Child Loop BB77_21 Depth 4
                                        ;           Child Loop BB77_22 Depth 5
                                        ;         Child Loop BB77_27 Depth 4
                                        ;           Child Loop BB77_29 Depth 5
	s_load_b32 s24, s[8:9], s22 offset:0x0 scale_offset
	s_wait_kmcnt 0x0
	s_add_co_i32 s25, s24, -1
	s_delay_alu instid0(SALU_CYCLE_1) | instskip(NEXT) | instid1(SALU_CYCLE_1)
	s_add_co_i32 s12, s25, s21
	s_cmp_ge_i32 s12, s1
	s_cbranch_scc1 .LBB77_30
; %bb.15:                               ;   in Loop: Header=BB77_14 Depth=2
	s_mul_i32 s29, s21, 0x60
	s_max_i32 s30, s24, 1
	v_add_nc_u32_e32 v75, s29, v74
	s_mul_i32 s31, s24, 0x60
	s_mul_i32 s33, s21, 0x68
	;; [unrolled: 1-line block ×3, first 2 shown]
	s_branch .LBB77_17
.LBB77_16:                              ;   in Loop: Header=BB77_17 Depth=3
	s_add_co_i32 s21, s21, s24
	v_add_nc_u32_e32 v75, s31, v75
	s_add_co_i32 s12, s25, s21
	s_add_co_i32 s29, s29, s31
	;; [unrolled: 1-line block ×3, first 2 shown]
	s_cmp_ge_i32 s12, s1
	s_cbranch_scc1 .LBB77_30
.LBB77_17:                              ;   Parent Loop BB77_3 Depth=1
                                        ;     Parent Loop BB77_14 Depth=2
                                        ; =>    This Loop Header: Depth=3
                                        ;         Child Loop BB77_18 Depth 4
                                        ;         Child Loop BB77_21 Depth 4
                                        ;           Child Loop BB77_22 Depth 5
                                        ;         Child Loop BB77_27 Depth 4
                                        ;           Child Loop BB77_29 Depth 5
	v_mov_b32_e32 v72, v75
	s_mov_b64 s[12:13], 0
.LBB77_18:                              ;   Parent Loop BB77_3 Depth=1
                                        ;     Parent Loop BB77_14 Depth=2
                                        ;       Parent Loop BB77_17 Depth=3
                                        ; =>      This Inner Loop Header: Depth=4
	ds_load_b64 v[76:77], v72
	v_add_nc_u32_e32 v72, 0x60, v72
	s_lshl_b32 m0, s12, 1
	s_add_nc_u64 s[12:13], s[12:13], 1
	s_delay_alu instid0(SALU_CYCLE_1)
	s_cmp_eq_u32 s30, s12
	s_wait_dscnt 0x0
	v_movreld_b32_e32 v34, v76
	v_movreld_b32_e32 v35, v77
	s_cbranch_scc0 .LBB77_18
; %bb.19:                               ;   in Loop: Header=BB77_17 Depth=3
	s_cmp_lt_i32 s21, 1
	s_cbranch_scc1 .LBB77_24
; %bb.20:                               ;   in Loop: Header=BB77_17 Depth=3
	s_mov_b32 s14, 0
	s_mov_b32 s15, s29
.LBB77_21:                              ;   Parent Loop BB77_3 Depth=1
                                        ;     Parent Loop BB77_14 Depth=2
                                        ;       Parent Loop BB77_17 Depth=3
                                        ; =>      This Loop Header: Depth=4
                                        ;           Child Loop BB77_22 Depth 5
	v_mad_u32 v72, 0x60, s14, v74
	s_mov_b64 s[12:13], 0
	s_mov_b32 s16, s15
	ds_load_b64 v[72:73], v72
.LBB77_22:                              ;   Parent Loop BB77_3 Depth=1
                                        ;     Parent Loop BB77_14 Depth=2
                                        ;       Parent Loop BB77_17 Depth=3
                                        ;         Parent Loop BB77_21 Depth=4
                                        ; =>        This Inner Loop Header: Depth=5
	v_mov_b32_e32 v76, s16
	s_lshl_b32 m0, s12, 1
	s_add_nc_u64 s[12:13], s[12:13], 1
	v_movrels_b32_e32 v79, v35
	v_movrels_b32_e32 v78, v34
	ds_load_b64 v[76:77], v76
	s_addk_co_i32 s16, 0x60
	s_cmp_eq_u32 s30, s12
	s_wait_dscnt 0x0
	v_fma_f64 v[76:77], -v[72:73], v[76:77], v[78:79]
	s_delay_alu instid0(VALU_DEP_1) | instskip(NEXT) | instid1(VALU_DEP_2)
	v_movreld_b32_e32 v34, v76
	v_movreld_b32_e32 v35, v77
	s_cbranch_scc0 .LBB77_22
; %bb.23:                               ;   in Loop: Header=BB77_21 Depth=4
	s_add_co_i32 s14, s14, 1
	s_add_co_i32 s15, s15, 8
	s_cmp_eq_u32 s14, s21
	s_cbranch_scc0 .LBB77_21
.LBB77_24:                              ;   in Loop: Header=BB77_17 Depth=3
	s_mul_i32 s35, s21, 0x60
	s_mov_b64 s[12:13], 0
	s_mov_b32 s36, s33
	s_branch .LBB77_27
.LBB77_25:                              ;   in Loop: Header=BB77_27 Depth=4
	s_mov_b32 s38, s21
	s_mov_b64 s[14:15], 0
	s_mov_b32 s37, s35
.LBB77_26:                              ;   in Loop: Header=BB77_27 Depth=4
	s_mul_i32 s15, s38, 0x68
	s_lshl_b32 m0, s14, 1
	v_mov_b32_e32 v72, s15
	v_movrels_b32_e32 v77, v35
	v_movrels_b32_e32 v76, v34
	s_add_nc_u64 s[12:13], s[12:13], 1
	s_addk_co_i32 s36, 0x60
	ds_load_b64 v[72:73], v72
	s_cmp_eq_u32 s12, s30
	s_wait_dscnt 0x0
	v_dual_mul_f64 v[72:73], v[76:77], v[72:73] :: v_dual_add_nc_u32 v76, s37, v74
	s_delay_alu instid0(VALU_DEP_1) | instskip(NEXT) | instid1(VALU_DEP_2)
	v_movreld_b32_e32 v34, v72
	v_movreld_b32_e32 v35, v73
	ds_store_b64 v76, v[72:73]
	s_cbranch_scc1 .LBB77_16
.LBB77_27:                              ;   Parent Loop BB77_3 Depth=1
                                        ;     Parent Loop BB77_14 Depth=2
                                        ;       Parent Loop BB77_17 Depth=3
                                        ; =>      This Loop Header: Depth=4
                                        ;           Child Loop BB77_29 Depth 5
	s_cmp_eq_u32 s12, 0
	s_cbranch_scc1 .LBB77_25
; %bb.28:                               ;   in Loop: Header=BB77_27 Depth=4
	s_add_co_i32 s38, s12, s21
	s_mov_b64 s[14:15], s[12:13]
	s_mov_b64 s[16:17], 0
	s_mul_i32 s37, s38, 0x60
	s_lshl_b32 s15, s12, 1
	s_mov_b32 s39, s36
.LBB77_29:                              ;   Parent Loop BB77_3 Depth=1
                                        ;     Parent Loop BB77_14 Depth=2
                                        ;       Parent Loop BB77_17 Depth=3
                                        ;         Parent Loop BB77_27 Depth=4
                                        ; =>        This Inner Loop Header: Depth=5
	s_delay_alu instid0(SALU_CYCLE_1)
	v_mov_b32_e32 v72, s39
	s_lshl_b32 m0, s16, 1
	s_add_nc_u64 s[16:17], s[16:17], 1
	v_movrels_b32_e32 v77, v35
	v_movrels_b32_e32 v76, v34
	ds_load_b64 v[72:73], v72
	s_mov_b32 m0, s15
	s_add_co_i32 s39, s39, 8
	v_movrels_b32_e32 v79, v35
	v_movrels_b32_e32 v78, v34
	s_cmp_eq_u32 s12, s16
	s_wait_dscnt 0x0
	s_delay_alu instid0(VALU_DEP_1) | instskip(NEXT) | instid1(VALU_DEP_1)
	v_fma_f64 v[72:73], -v[76:77], v[72:73], v[78:79]
	v_movreld_b32_e32 v34, v72
	s_delay_alu instid0(VALU_DEP_2)
	v_movreld_b32_e32 v35, v73
	s_cbranch_scc0 .LBB77_29
	s_branch .LBB77_26
.LBB77_30:                              ;   in Loop: Header=BB77_14 Depth=2
	s_cmp_lt_i32 s21, s1
	s_cselect_b32 s13, -1, 0
	s_add_co_i32 s12, s22, 1
	s_cmp_lt_u32 s22, 2
	s_cselect_b32 s14, -1, 0
	s_delay_alu instid0(SALU_CYCLE_1) | instskip(NEXT) | instid1(SALU_CYCLE_1)
	s_and_b32 s13, s13, s14
	s_and_b32 vcc_lo, exec_lo, s13
	s_cbranch_vccz .LBB77_32
; %bb.31:                               ;   in Loop: Header=BB77_14 Depth=2
	s_wait_xcnt 0x0
	s_mov_b32 s22, s12
	s_branch .LBB77_14
.LBB77_32:                              ;   in Loop: Header=BB77_3 Depth=1
	s_mov_b32 s12, 0
.LBB77_33:                              ;   in Loop: Header=BB77_3 Depth=1
	s_delay_alu instid0(SALU_CYCLE_1)
	s_and_b32 vcc_lo, exec_lo, s12
	s_cbranch_vccz .LBB77_52
; %bb.34:                               ;   in Loop: Header=BB77_3 Depth=1
	s_wait_xcnt 0x0
	s_mov_b32 s22, 0
	s_mov_b32 s21, s26
	s_load_b32 s24, s[8:9], s22 offset:0x0 scale_offset
	s_wait_kmcnt 0x0
	s_add_co_i32 s25, s24, -1
	s_delay_alu instid0(SALU_CYCLE_1)
	s_cmp_lt_i32 s21, s25
	s_cbranch_scc1 .LBB77_49
.LBB77_35:                              ;   in Loop: Header=BB77_3 Depth=1
	v_mad_u32 v36, 0x60, s21, v74
	s_lshl_b32 s12, s21, 3
	s_lshl_b32 s13, s24, 3
	s_max_i32 s29, s24, 1
	s_mul_i32 s30, s24, 0xffffffa0
	s_add_co_i32 s31, s20, s12
	s_sub_co_i32 s33, 0, s13
	s_mul_i32 s34, s21, 0x68
	s_mul_i32 s35, s24, 0xffffff98
	s_branch .LBB77_37
.LBB77_36:                              ;   in Loop: Header=BB77_37 Depth=2
	v_add_nc_u32_e32 v36, s30, v36
	s_sub_co_i32 s21, s21, s24
	s_add_co_i32 s31, s31, s33
	s_add_co_i32 s34, s34, s35
	s_cmp_lt_i32 s21, s25
	s_cbranch_scc1 .LBB77_49
.LBB77_37:                              ;   Parent Loop BB77_3 Depth=1
                                        ; =>  This Loop Header: Depth=2
                                        ;       Child Loop BB77_38 Depth 3
                                        ;       Child Loop BB77_40 Depth 3
                                        ;         Child Loop BB77_41 Depth 4
                                        ;       Child Loop BB77_46 Depth 3
                                        ;         Child Loop BB77_48 Depth 4
	s_delay_alu instid0(VALU_DEP_1)
	v_mov_b32_e32 v34, v36
	s_mov_b64 s[12:13], 0
.LBB77_38:                              ;   Parent Loop BB77_3 Depth=1
                                        ;     Parent Loop BB77_37 Depth=2
                                        ; =>    This Inner Loop Header: Depth=3
	ds_load_b64 v[38:39], v34
	v_add_nc_u32_e32 v34, 0xffffffa0, v34
	s_lshl_b32 m0, s12, 1
	s_add_nc_u64 s[12:13], s[12:13], 1
	s_delay_alu instid0(SALU_CYCLE_1)
	s_cmp_eq_u32 s29, s12
	s_wait_dscnt 0x0
	v_movreld_b32_e32 v2, v38
	v_movreld_b32_e32 v3, v39
	s_cbranch_scc0 .LBB77_38
; %bb.39:                               ;   in Loop: Header=BB77_37 Depth=2
	s_cmp_le_i32 s26, s21
	s_mov_b32 s14, s31
	s_mov_b32 s15, s26
	s_cbranch_scc1 .LBB77_43
.LBB77_40:                              ;   Parent Loop BB77_3 Depth=1
                                        ;     Parent Loop BB77_37 Depth=2
                                        ; =>    This Loop Header: Depth=3
                                        ;         Child Loop BB77_41 Depth 4
	v_mad_u32 v34, 0x60, s15, v74
	s_mov_b64 s[12:13], 0
	s_mov_b32 s16, s14
	ds_load_b64 v[34:35], v34
.LBB77_41:                              ;   Parent Loop BB77_3 Depth=1
                                        ;     Parent Loop BB77_37 Depth=2
                                        ;       Parent Loop BB77_40 Depth=3
                                        ; =>      This Inner Loop Header: Depth=4
	s_lshl_b32 m0, s12, 1
	s_add_nc_u64 s[12:13], s[12:13], 1
	v_movrels_b32_e32 v41, v3
	v_movrels_b32_e32 v40, v2
	v_mov_b32_e32 v37, s16
	s_add_co_i32 s16, s16, -8
	s_cmp_eq_u32 s29, s12
	ds_load_b64 v[38:39], v37
	s_wait_dscnt 0x0
	v_fma_f64 v[38:39], -v[34:35], v[38:39], v[40:41]
	s_delay_alu instid0(VALU_DEP_1) | instskip(NEXT) | instid1(VALU_DEP_2)
	v_movreld_b32_e32 v2, v38
	v_movreld_b32_e32 v3, v39
	s_cbranch_scc0 .LBB77_41
; %bb.42:                               ;   in Loop: Header=BB77_40 Depth=3
	s_add_co_i32 s15, s15, -1
	s_addk_co_i32 s14, 0xffa0
	s_cmp_le_i32 s15, s21
	s_cbranch_scc0 .LBB77_40
.LBB77_43:                              ;   in Loop: Header=BB77_37 Depth=2
	s_mov_b64 s[12:13], 0
	s_mov_b32 s36, s34
	s_branch .LBB77_46
.LBB77_44:                              ;   in Loop: Header=BB77_46 Depth=3
	s_mov_b32 s37, s21
	s_mov_b64 s[14:15], 0
.LBB77_45:                              ;   in Loop: Header=BB77_46 Depth=3
	s_mul_i32 s15, s37, 0x68
	s_lshl_b32 m0, s14, 1
	v_mov_b32_e32 v34, s15
	v_movrels_b32_e32 v39, v3
	v_movrels_b32_e32 v38, v2
	v_mad_u32 v37, 0x60, s37, v74
	s_add_nc_u64 s[12:13], s[12:13], 1
	ds_load_b64 v[34:35], v34
	s_add_co_i32 s36, s36, -8
	s_cmp_eq_u32 s12, s29
	s_wait_dscnt 0x0
	v_mul_f64_e32 v[34:35], v[38:39], v[34:35]
	s_delay_alu instid0(VALU_DEP_1) | instskip(NEXT) | instid1(VALU_DEP_2)
	v_movreld_b32_e32 v2, v34
	v_movreld_b32_e32 v3, v35
	ds_store_b64 v37, v[34:35]
	s_cbranch_scc1 .LBB77_36
.LBB77_46:                              ;   Parent Loop BB77_3 Depth=1
                                        ;     Parent Loop BB77_37 Depth=2
                                        ; =>    This Loop Header: Depth=3
                                        ;         Child Loop BB77_48 Depth 4
	s_cmp_eq_u32 s12, 0
	s_cbranch_scc1 .LBB77_44
; %bb.47:                               ;   in Loop: Header=BB77_46 Depth=3
	s_mov_b64 s[14:15], s[12:13]
	s_sub_co_i32 s37, s21, s12
	s_mov_b64 s[16:17], 0
	s_lshl_b32 s15, s12, 1
	s_mov_b32 s38, s36
.LBB77_48:                              ;   Parent Loop BB77_3 Depth=1
                                        ;     Parent Loop BB77_37 Depth=2
                                        ;       Parent Loop BB77_46 Depth=3
                                        ; =>      This Inner Loop Header: Depth=4
	s_delay_alu instid0(SALU_CYCLE_1)
	v_mov_b32_e32 v34, s38
	s_lshl_b32 m0, s16, 1
	s_add_nc_u64 s[16:17], s[16:17], 1
	v_movrels_b32_e32 v39, v3
	v_movrels_b32_e32 v38, v2
	ds_load_b64 v[34:35], v34
	s_mov_b32 m0, s15
	s_addk_co_i32 s38, 0xffa0
	v_movrels_b32_e32 v41, v3
	v_movrels_b32_e32 v40, v2
	s_cmp_eq_u32 s12, s16
	s_wait_dscnt 0x0
	s_delay_alu instid0(VALU_DEP_1) | instskip(NEXT) | instid1(VALU_DEP_1)
	v_fma_f64 v[34:35], -v[38:39], v[34:35], v[40:41]
	v_movreld_b32_e32 v2, v34
	s_delay_alu instid0(VALU_DEP_2)
	v_movreld_b32_e32 v3, v35
	s_cbranch_scc0 .LBB77_48
	s_branch .LBB77_45
.LBB77_49:                              ;   Parent Loop BB77_3 Depth=1
                                        ; =>  This Inner Loop Header: Depth=2
	s_cmp_gt_i32 s21, -1
	s_cselect_b32 s13, -1, 0
	s_add_co_i32 s12, s22, 1
	s_cmp_lt_u32 s22, 2
	s_cselect_b32 s14, -1, 0
	s_delay_alu instid0(SALU_CYCLE_1) | instskip(NEXT) | instid1(SALU_CYCLE_1)
	s_and_b32 s13, s13, s14
	s_and_not1_b32 vcc_lo, exec_lo, s13
	s_cbranch_vccnz .LBB77_51
; %bb.50:                               ;   in Loop: Header=BB77_49 Depth=2
	s_wait_xcnt 0x0
	s_mov_b32 s22, s12
	s_load_b32 s24, s[8:9], s22 offset:0x0 scale_offset
	s_wait_kmcnt 0x0
	s_add_co_i32 s25, s24, -1
	s_delay_alu instid0(SALU_CYCLE_1)
	s_cmp_lt_i32 s21, s25
	s_cbranch_scc0 .LBB77_35
	s_branch .LBB77_49
.LBB77_51:                              ;   in Loop: Header=BB77_3 Depth=1
	v_mov_b64_e32 v[64:65], v[32:33]
	v_mov_b64_e32 v[62:63], v[30:31]
	;; [unrolled: 1-line block ×16, first 2 shown]
.LBB77_52:                              ;   in Loop: Header=BB77_3 Depth=1
	s_wait_dscnt 0x0
	; wave barrier
	s_and_saveexec_b32 s12, s18
	s_cbranch_execz .LBB77_2
; %bb.53:                               ;   in Loop: Header=BB77_3 Depth=1
	v_mov_b32_e32 v2, v74
	s_mov_b32 s13, s1
.LBB77_54:                              ;   Parent Loop BB77_3 Depth=1
                                        ; =>  This Inner Loop Header: Depth=2
	ds_load_b64 v[4:5], v2
	v_add_nc_u32_e32 v2, 0x60, v2
	s_add_co_i32 s13, s13, -1
	s_delay_alu instid0(SALU_CYCLE_1)
	s_cmp_lg_u32 s13, 0
	s_wait_dscnt 0x0
	global_store_b64 v[70:71], v[4:5], off
	s_wait_xcnt 0x0
	v_add_nc_u64_e32 v[70:71], 8, v[70:71]
	s_cbranch_scc1 .LBB77_54
	s_branch .LBB77_2
.LBB77_55:
	s_sendmsg sendmsg(MSG_DEALLOC_VGPRS)
	s_endpgm
	.section	.rodata,"a",@progbits
	.p2align	6, 0x0
	.amdhsa_kernel _ZL38rocblas_trsm_small_left_device_sharedBILi12ELi12ELb0EddPKdPdEv13rocblas_fill_18rocblas_operation_17rocblas_diagonal_iiT3_T4_lilT5_lili
		.amdhsa_group_segment_fixed_size 2304
		.amdhsa_private_segment_fixed_size 0
		.amdhsa_kernarg_size 360
		.amdhsa_user_sgpr_count 2
		.amdhsa_user_sgpr_dispatch_ptr 0
		.amdhsa_user_sgpr_queue_ptr 0
		.amdhsa_user_sgpr_kernarg_segment_ptr 1
		.amdhsa_user_sgpr_dispatch_id 0
		.amdhsa_user_sgpr_kernarg_preload_length 0
		.amdhsa_user_sgpr_kernarg_preload_offset 0
		.amdhsa_user_sgpr_private_segment_size 0
		.amdhsa_wavefront_size32 1
		.amdhsa_uses_dynamic_stack 0
		.amdhsa_enable_private_segment 0
		.amdhsa_system_sgpr_workgroup_id_x 1
		.amdhsa_system_sgpr_workgroup_id_y 0
		.amdhsa_system_sgpr_workgroup_id_z 1
		.amdhsa_system_sgpr_workgroup_info 0
		.amdhsa_system_vgpr_workitem_id 0
		.amdhsa_next_free_vgpr 80
		.amdhsa_next_free_sgpr 40
		.amdhsa_named_barrier_count 0
		.amdhsa_reserve_vcc 1
		.amdhsa_float_round_mode_32 0
		.amdhsa_float_round_mode_16_64 0
		.amdhsa_float_denorm_mode_32 3
		.amdhsa_float_denorm_mode_16_64 3
		.amdhsa_fp16_overflow 0
		.amdhsa_memory_ordered 1
		.amdhsa_forward_progress 1
		.amdhsa_inst_pref_size 19
		.amdhsa_round_robin_scheduling 0
		.amdhsa_exception_fp_ieee_invalid_op 0
		.amdhsa_exception_fp_denorm_src 0
		.amdhsa_exception_fp_ieee_div_zero 0
		.amdhsa_exception_fp_ieee_overflow 0
		.amdhsa_exception_fp_ieee_underflow 0
		.amdhsa_exception_fp_ieee_inexact 0
		.amdhsa_exception_int_div_zero 0
	.end_amdhsa_kernel
	.section	.text._ZL38rocblas_trsm_small_left_device_sharedBILi12ELi12ELb0EddPKdPdEv13rocblas_fill_18rocblas_operation_17rocblas_diagonal_iiT3_T4_lilT5_lili,"axG",@progbits,_ZL38rocblas_trsm_small_left_device_sharedBILi12ELi12ELb0EddPKdPdEv13rocblas_fill_18rocblas_operation_17rocblas_diagonal_iiT3_T4_lilT5_lili,comdat
.Lfunc_end77:
	.size	_ZL38rocblas_trsm_small_left_device_sharedBILi12ELi12ELb0EddPKdPdEv13rocblas_fill_18rocblas_operation_17rocblas_diagonal_iiT3_T4_lilT5_lili, .Lfunc_end77-_ZL38rocblas_trsm_small_left_device_sharedBILi12ELi12ELb0EddPKdPdEv13rocblas_fill_18rocblas_operation_17rocblas_diagonal_iiT3_T4_lilT5_lili
                                        ; -- End function
	.set _ZL38rocblas_trsm_small_left_device_sharedBILi12ELi12ELb0EddPKdPdEv13rocblas_fill_18rocblas_operation_17rocblas_diagonal_iiT3_T4_lilT5_lili.num_vgpr, 80
	.set _ZL38rocblas_trsm_small_left_device_sharedBILi12ELi12ELb0EddPKdPdEv13rocblas_fill_18rocblas_operation_17rocblas_diagonal_iiT3_T4_lilT5_lili.num_agpr, 0
	.set _ZL38rocblas_trsm_small_left_device_sharedBILi12ELi12ELb0EddPKdPdEv13rocblas_fill_18rocblas_operation_17rocblas_diagonal_iiT3_T4_lilT5_lili.numbered_sgpr, 40
	.set _ZL38rocblas_trsm_small_left_device_sharedBILi12ELi12ELb0EddPKdPdEv13rocblas_fill_18rocblas_operation_17rocblas_diagonal_iiT3_T4_lilT5_lili.num_named_barrier, 0
	.set _ZL38rocblas_trsm_small_left_device_sharedBILi12ELi12ELb0EddPKdPdEv13rocblas_fill_18rocblas_operation_17rocblas_diagonal_iiT3_T4_lilT5_lili.private_seg_size, 0
	.set _ZL38rocblas_trsm_small_left_device_sharedBILi12ELi12ELb0EddPKdPdEv13rocblas_fill_18rocblas_operation_17rocblas_diagonal_iiT3_T4_lilT5_lili.uses_vcc, 1
	.set _ZL38rocblas_trsm_small_left_device_sharedBILi12ELi12ELb0EddPKdPdEv13rocblas_fill_18rocblas_operation_17rocblas_diagonal_iiT3_T4_lilT5_lili.uses_flat_scratch, 0
	.set _ZL38rocblas_trsm_small_left_device_sharedBILi12ELi12ELb0EddPKdPdEv13rocblas_fill_18rocblas_operation_17rocblas_diagonal_iiT3_T4_lilT5_lili.has_dyn_sized_stack, 0
	.set _ZL38rocblas_trsm_small_left_device_sharedBILi12ELi12ELb0EddPKdPdEv13rocblas_fill_18rocblas_operation_17rocblas_diagonal_iiT3_T4_lilT5_lili.has_recursion, 0
	.set _ZL38rocblas_trsm_small_left_device_sharedBILi12ELi12ELb0EddPKdPdEv13rocblas_fill_18rocblas_operation_17rocblas_diagonal_iiT3_T4_lilT5_lili.has_indirect_call, 0
	.section	.AMDGPU.csdata,"",@progbits
; Kernel info:
; codeLenInByte = 2356
; TotalNumSgprs: 42
; NumVgprs: 80
; ScratchSize: 0
; MemoryBound: 0
; FloatMode: 240
; IeeeMode: 1
; LDSByteSize: 2304 bytes/workgroup (compile time only)
; SGPRBlocks: 0
; VGPRBlocks: 4
; NumSGPRsForWavesPerEU: 42
; NumVGPRsForWavesPerEU: 80
; NamedBarCnt: 0
; Occupancy: 12
; WaveLimiterHint : 0
; COMPUTE_PGM_RSRC2:SCRATCH_EN: 0
; COMPUTE_PGM_RSRC2:USER_SGPR: 2
; COMPUTE_PGM_RSRC2:TRAP_HANDLER: 0
; COMPUTE_PGM_RSRC2:TGID_X_EN: 1
; COMPUTE_PGM_RSRC2:TGID_Y_EN: 0
; COMPUTE_PGM_RSRC2:TGID_Z_EN: 1
; COMPUTE_PGM_RSRC2:TIDIG_COMP_CNT: 0
	.section	.text._ZL30rocblas_trsm_small_left_deviceILi12ELi12ELb0EddPKdPdEv13rocblas_fill_18rocblas_operation_17rocblas_diagonal_iiT3_T4_lilT5_lili,"axG",@progbits,_ZL30rocblas_trsm_small_left_deviceILi12ELi12ELb0EddPKdPdEv13rocblas_fill_18rocblas_operation_17rocblas_diagonal_iiT3_T4_lilT5_lili,comdat
	.globl	_ZL30rocblas_trsm_small_left_deviceILi12ELi12ELb0EddPKdPdEv13rocblas_fill_18rocblas_operation_17rocblas_diagonal_iiT3_T4_lilT5_lili ; -- Begin function _ZL30rocblas_trsm_small_left_deviceILi12ELi12ELb0EddPKdPdEv13rocblas_fill_18rocblas_operation_17rocblas_diagonal_iiT3_T4_lilT5_lili
	.p2align	8
	.type	_ZL30rocblas_trsm_small_left_deviceILi12ELi12ELb0EddPKdPdEv13rocblas_fill_18rocblas_operation_17rocblas_diagonal_iiT3_T4_lilT5_lili,@function
_ZL30rocblas_trsm_small_left_deviceILi12ELi12ELb0EddPKdPdEv13rocblas_fill_18rocblas_operation_17rocblas_diagonal_iiT3_T4_lilT5_lili: ; @_ZL30rocblas_trsm_small_left_deviceILi12ELi12ELb0EddPKdPdEv13rocblas_fill_18rocblas_operation_17rocblas_diagonal_iiT3_T4_lilT5_lili
; %bb.0:
	s_load_b32 s33, s[0:1], 0x60
	s_bfe_u32 s2, ttmp6, 0x40014
	s_lshr_b32 s4, ttmp7, 16
	s_add_co_i32 s2, s2, 1
	s_bfe_u32 s5, ttmp6, 0x40008
	s_mul_i32 s2, s4, s2
	s_getreg_b32 s3, hwreg(HW_REG_IB_STS2, 6, 4)
	s_add_co_i32 s5, s5, s2
	s_cmp_eq_u32 s3, 0
	s_mov_b32 s19, 0
	s_cselect_b32 s2, s4, s5
	s_wait_kmcnt 0x0
	s_cmp_ge_u32 s2, s33
	s_cbranch_scc1 .LBB78_52
; %bb.1:
	s_clause 0x4
	s_load_b96 s[16:18], s[0:1], 0x28
	s_load_b96 s[20:22], s[0:1], 0x48
	s_load_b128 s[8:11], s[0:1], 0x4
	s_load_b32 s28, s[0:1], 0x68
	s_load_b64 s[24:25], s[0:1], 0x58
	s_bfe_u32 s12, ttmp6, 0x4000c
	s_and_b32 s23, ttmp6, 15
	s_add_co_i32 s12, s12, 1
	s_load_b128 s[4:7], s[0:1], 0x18
	s_mul_i32 s26, ttmp9, s12
	s_load_b128 s[12:15], s[0:1], 0x38
	s_wait_xcnt 0x0
	s_add_co_i32 s0, s23, s26
	v_dual_mov_b32 v67, 0 :: v_dual_lshlrev_b32 v66, 3, v0
	v_mul_u32_u24_e32 v28, 0x60, v0
	s_mov_b32 s41, 0
	s_delay_alu instid0(VALU_DEP_2)
	v_dual_mov_b32 v2, v67 :: v_dual_mov_b32 v3, v67
	v_dual_mov_b32 v4, v67 :: v_dual_mov_b32 v5, v67
	s_wait_kmcnt 0x0
	s_ashr_i32 s23, s18, 31
	s_min_i32 s36, s10, 12
	s_ashr_i32 s1, s22, 31
	s_lshl_b64 s[26:27], s[20:21], 3
	s_add_co_i32 s28, s28, -1
	s_add_co_i32 s37, s36, -1
	s_cmp_eq_u32 s3, 0
	v_dual_mov_b32 v6, v67 :: v_dual_mov_b32 v7, v67
	s_cselect_b32 s3, ttmp9, s0
	s_mov_b32 s0, s22
	v_mad_u32 v14, s3, 12, v0
	s_add_nc_u64 s[14:15], s[14:15], s[26:27]
	v_dual_mov_b32 v8, v67 :: v_dual_mov_b32 v9, v67
	v_dual_mov_b32 v11, v67 :: v_dual_mov_b32 v12, v67
	;; [unrolled: 1-line block ×5, first 2 shown]
	v_dual_mov_b32 v16, v67 :: v_dual_ashrrev_i32 v15, 31, v14
	v_dual_mov_b32 v21, v67 :: v_dual_mov_b32 v22, v67
	v_dual_mov_b32 v23, v67 :: v_dual_mov_b32 v24, v67
	s_delay_alu instid0(VALU_DEP_3)
	v_mul_u64_e32 v[26:27], s[0:1], v[14:15]
	s_mul_i32 s0, s3, -12
	v_mov_b32_e32 v14, v67
	s_add_co_i32 s1, s11, s0
	s_cmp_ge_u32 s3, s28
	v_cmp_gt_i32_e64 s0, s36, v0
	s_cselect_b32 s1, s1, 12
	s_cmp_lg_u32 s9, 0x84
	v_cmp_gt_i32_e64 s1, s1, v0
	s_cselect_b32 s38, -1, 0
	s_cmp_lg_u32 s8, 0x6f
	v_mov_b32_e32 v15, v67
	s_cselect_b32 s39, -1, 0
	s_lshl_b64 s[10:11], s[16:17], 3
	v_mov_b32_e32 v25, v67
	s_add_nc_u64 s[10:11], s[6:7], s[10:11]
	s_mov_b32 s22, s18
	v_add_nc_u64_e32 v[0:1], s[10:11], v[66:67]
	v_add_nc_u32_e32 v67, v66, v28
	s_mul_i32 s40, s36, 0x60
	s_lshl_b64 s[8:9], s[12:13], 3
	s_lshl_b64 s[6:7], s[22:23], 3
	;; [unrolled: 1-line block ×3, first 2 shown]
	s_addk_co_i32 s40, 0xffa0
	s_get_pc_i64 s[20:21]
	s_add_nc_u64 s[20:21], s[20:21], __const._ZL30rocblas_trsm_small_left_deviceILi12ELi12ELb0EddPKdPdEv13rocblas_fill_18rocblas_operation_17rocblas_diagonal_iiT3_T4_lilT5_lili.step_sizes@rel64+4
	v_lshl_add_u64 v[68:69], v[26:27], 3, s[14:15]
	s_branch .LBB78_5
.LBB78_2:                               ;   in Loop: Header=BB78_5 Depth=1
	s_wait_xcnt 0x0
	v_mov_b64_e32 v[64:65], v[32:33]
	v_mov_b64_e32 v[62:63], v[30:31]
	;; [unrolled: 1-line block ×16, first 2 shown]
.LBB78_3:                               ;   in Loop: Header=BB78_5 Depth=1
	s_add_co_i32 s2, s2, 0x10000
	s_delay_alu instid0(SALU_CYCLE_1) | instskip(SKIP_1) | instid1(SALU_CYCLE_1)
	s_cmp_ge_u32 s2, s33
	s_cselect_b32 s3, -1, 0
	s_or_not1_b32 s12, s3, exec_lo
.LBB78_4:                               ;   in Loop: Header=BB78_5 Depth=1
	s_wait_xcnt 0x0
	s_or_b32 exec_lo, exec_lo, s42
	v_mov_b64_e32 v[2:3], v[34:35]
	v_mov_b64_e32 v[4:5], v[36:37]
	;; [unrolled: 1-line block ×16, first 2 shown]
	s_and_b32 s3, exec_lo, s12
	s_delay_alu instid0(SALU_CYCLE_1) | instskip(NEXT) | instid1(SALU_CYCLE_1)
	s_or_b32 s41, s3, s41
	s_and_not1_b32 exec_lo, exec_lo, s41
	s_cbranch_execz .LBB78_52
.LBB78_5:                               ; =>This Loop Header: Depth=1
                                        ;     Child Loop BB78_7 Depth 2
                                        ;     Child Loop BB78_14 Depth 2
                                        ;       Child Loop BB78_17 Depth 3
                                        ;         Child Loop BB78_18 Depth 4
                                        ;         Child Loop BB78_21 Depth 4
                                        ;           Child Loop BB78_22 Depth 5
                                        ;         Child Loop BB78_27 Depth 4
                                        ;           Child Loop BB78_29 Depth 5
                                        ;     Child Loop BB78_37 Depth 2
                                        ;       Child Loop BB78_38 Depth 3
                                        ;       Child Loop BB78_40 Depth 3
                                        ;         Child Loop BB78_41 Depth 4
                                        ;       Child Loop BB78_46 Depth 3
                                        ;         Child Loop BB78_48 Depth 4
                                        ;     Child Loop BB78_50 Depth 2
	s_mov_b32 s3, s19
	s_and_saveexec_b32 s12, s0
	s_cbranch_execz .LBB78_11
; %bb.6:                                ;   in Loop: Header=BB78_5 Depth=1
	v_mad_nc_u64_u32 v[34:35], s8, s2, v[0:1]
	v_mov_b32_e32 v36, v66
	s_mov_b32 s13, s36
	s_delay_alu instid0(VALU_DEP_2)
	v_mad_u32 v35, s9, s2, v35
.LBB78_7:                               ;   Parent Loop BB78_5 Depth=1
                                        ; =>  This Inner Loop Header: Depth=2
	global_load_b64 v[38:39], v[34:35], off
	s_wait_xcnt 0x0
	v_add_nc_u64_e32 v[34:35], s[6:7], v[34:35]
	s_add_co_i32 s13, s13, -1
	s_delay_alu instid0(SALU_CYCLE_1)
	s_cmp_eq_u32 s13, 0
	s_wait_loadcnt 0x0
	ds_store_b64 v36, v[38:39]
	v_add_nc_u32_e32 v36, 0x60, v36
	s_cbranch_scc0 .LBB78_7
; %bb.8:                                ;   in Loop: Header=BB78_5 Depth=1
	v_mov_b64_e32 v[34:35], 1.0
	s_and_b32 vcc_lo, exec_lo, s38
	s_cbranch_vccz .LBB78_10
; %bb.9:                                ;   in Loop: Header=BB78_5 Depth=1
	ds_load_b64 v[34:35], v67
	s_wait_dscnt 0x0
	v_div_scale_f64 v[36:37], null, v[34:35], v[34:35], 1.0
	s_delay_alu instid0(VALU_DEP_1) | instskip(SKIP_1) | instid1(TRANS32_DEP_1)
	v_rcp_f64_e32 v[38:39], v[36:37]
	v_nop
	v_fma_f64 v[40:41], -v[36:37], v[38:39], 1.0
	s_delay_alu instid0(VALU_DEP_1) | instskip(NEXT) | instid1(VALU_DEP_1)
	v_fmac_f64_e32 v[38:39], v[38:39], v[40:41]
	v_fma_f64 v[40:41], -v[36:37], v[38:39], 1.0
	s_delay_alu instid0(VALU_DEP_1) | instskip(SKIP_1) | instid1(VALU_DEP_1)
	v_fmac_f64_e32 v[38:39], v[38:39], v[40:41]
	v_div_scale_f64 v[40:41], vcc_lo, 1.0, v[34:35], 1.0
	v_mul_f64_e32 v[42:43], v[40:41], v[38:39]
	s_delay_alu instid0(VALU_DEP_1) | instskip(NEXT) | instid1(VALU_DEP_1)
	v_fma_f64 v[36:37], -v[36:37], v[42:43], v[40:41]
	v_div_fmas_f64 v[36:37], v[36:37], v[38:39], v[42:43]
	s_delay_alu instid0(VALU_DEP_1)
	v_div_fixup_f64 v[34:35], v[36:37], v[34:35], 1.0
.LBB78_10:                              ;   in Loop: Header=BB78_5 Depth=1
	ds_store_b64 v67, v[34:35]
.LBB78_11:                              ;   in Loop: Header=BB78_5 Depth=1
	s_or_b32 exec_lo, exec_lo, s12
	s_mov_b32 s12, -1
	s_wait_dscnt 0x0
	; wave barrier
                                        ; implicit-def: $vgpr34_vgpr35_vgpr36_vgpr37_vgpr38_vgpr39_vgpr40_vgpr41_vgpr42_vgpr43_vgpr44_vgpr45_vgpr46_vgpr47_vgpr48_vgpr49_vgpr50_vgpr51_vgpr52_vgpr53_vgpr54_vgpr55_vgpr56_vgpr57_vgpr58_vgpr59_vgpr60_vgpr61_vgpr62_vgpr63_vgpr64_vgpr65
	s_and_saveexec_b32 s42, s1
	s_cbranch_execz .LBB78_4
; %bb.12:                               ;   in Loop: Header=BB78_5 Depth=1
	s_mul_u64 s[12:13], s[24:25], s[2:3]
	s_and_not1_b32 vcc_lo, exec_lo, s39
	v_lshl_add_u64 v[70:71], s[12:13], 3, v[68:69]
	s_mul_u64 s[12:13], s[10:11], s[2:3]
	s_mov_b32 s3, -1
                                        ; implicit-def: $vgpr34_vgpr35_vgpr36_vgpr37_vgpr38_vgpr39_vgpr40_vgpr41_vgpr42_vgpr43_vgpr44_vgpr45_vgpr46_vgpr47_vgpr48_vgpr49_vgpr50_vgpr51_vgpr52_vgpr53_vgpr54_vgpr55_vgpr56_vgpr57_vgpr58_vgpr59_vgpr60_vgpr61_vgpr62_vgpr63_vgpr64_vgpr65
	s_cbranch_vccnz .LBB78_33
; %bb.13:                               ;   in Loop: Header=BB78_5 Depth=1
	v_mov_b64_e32 v[64:65], v[32:33]
	v_add_nc_u64_e32 v[72:73], s[12:13], v[68:69]
	v_mov_b64_e32 v[62:63], v[30:31]
	v_mov_b64_e32 v[60:61], v[28:29]
	;; [unrolled: 1-line block ×15, first 2 shown]
	s_mov_b32 s3, 0
	s_mov_b32 s14, 0
.LBB78_14:                              ;   Parent Loop BB78_5 Depth=1
                                        ; =>  This Loop Header: Depth=2
                                        ;       Child Loop BB78_17 Depth 3
                                        ;         Child Loop BB78_18 Depth 4
                                        ;         Child Loop BB78_21 Depth 4
                                        ;           Child Loop BB78_22 Depth 5
                                        ;         Child Loop BB78_27 Depth 4
                                        ;           Child Loop BB78_29 Depth 5
	s_load_b32 s16, s[20:21], s3 offset:0x0 scale_offset
	s_wait_kmcnt 0x0
	s_add_co_i32 s43, s16, -1
	s_delay_alu instid0(SALU_CYCLE_1) | instskip(NEXT) | instid1(SALU_CYCLE_1)
	s_add_co_i32 s15, s43, s14
	s_cmp_ge_i32 s15, s36
	s_cbranch_scc1 .LBB78_30
; %bb.15:                               ;   in Loop: Header=BB78_14 Depth=2
	s_ashr_i32 s15, s14, 31
	s_ashr_i32 s17, s16, 31
	v_lshl_add_u64 v[74:75], s[14:15], 3, v[72:73]
	s_max_i32 s44, s16, 1
	s_lshl_b64 s[22:23], s[16:17], 3
	s_mul_i32 s15, s14, 0x60
	s_mul_i32 s17, s16, 0x60
	;; [unrolled: 1-line block ×4, first 2 shown]
	s_branch .LBB78_17
.LBB78_16:                              ;   in Loop: Header=BB78_17 Depth=3
	v_add_nc_u64_e32 v[74:75], s[22:23], v[74:75]
	s_add_co_i32 s14, s14, s16
	s_add_co_i32 s15, s15, s17
	;; [unrolled: 1-line block ×4, first 2 shown]
	s_cmp_ge_i32 s18, s36
	s_cbranch_scc1 .LBB78_30
.LBB78_17:                              ;   Parent Loop BB78_5 Depth=1
                                        ;     Parent Loop BB78_14 Depth=2
                                        ; =>    This Loop Header: Depth=3
                                        ;         Child Loop BB78_18 Depth 4
                                        ;         Child Loop BB78_21 Depth 4
                                        ;           Child Loop BB78_22 Depth 5
                                        ;         Child Loop BB78_27 Depth 4
                                        ;           Child Loop BB78_29 Depth 5
	s_wait_xcnt 0x0
	v_mov_b64_e32 v[76:77], v[74:75]
	s_mov_b64 s[26:27], 0
.LBB78_18:                              ;   Parent Loop BB78_5 Depth=1
                                        ;     Parent Loop BB78_14 Depth=2
                                        ;       Parent Loop BB78_17 Depth=3
                                        ; =>      This Inner Loop Header: Depth=4
	global_load_b64 v[78:79], v[76:77], off
	s_wait_xcnt 0x0
	v_add_nc_u64_e32 v[76:77], 8, v[76:77]
	s_lshl_b32 m0, s26, 1
	s_add_nc_u64 s[26:27], s[26:27], 1
	s_delay_alu instid0(SALU_CYCLE_1) | instskip(SKIP_2) | instid1(VALU_DEP_1)
	s_cmp_eq_u32 s44, s26
	s_wait_loadcnt 0x0
	v_mul_f64_e32 v[78:79], s[4:5], v[78:79]
	v_movreld_b32_e32 v34, v78
	s_delay_alu instid0(VALU_DEP_2)
	v_movreld_b32_e32 v35, v79
	s_cbranch_scc0 .LBB78_18
; %bb.19:                               ;   in Loop: Header=BB78_17 Depth=3
	s_cmp_lt_i32 s14, 1
	s_cbranch_scc1 .LBB78_24
; %bb.20:                               ;   in Loop: Header=BB78_17 Depth=3
	s_mov_b32 s18, 0
	s_mov_b32 s28, s15
.LBB78_21:                              ;   Parent Loop BB78_5 Depth=1
                                        ;     Parent Loop BB78_14 Depth=2
                                        ;       Parent Loop BB78_17 Depth=3
                                        ; =>      This Loop Header: Depth=4
                                        ;           Child Loop BB78_22 Depth 5
	s_wait_xcnt 0x0
	v_lshl_add_u64 v[76:77], s[18:19], 3, v[70:71]
	s_mov_b64 s[26:27], 0
	s_mov_b32 s29, s28
	global_load_b64 v[76:77], v[76:77], off
.LBB78_22:                              ;   Parent Loop BB78_5 Depth=1
                                        ;     Parent Loop BB78_14 Depth=2
                                        ;       Parent Loop BB78_17 Depth=3
                                        ;         Parent Loop BB78_21 Depth=4
                                        ; =>        This Inner Loop Header: Depth=5
	v_mov_b32_e32 v78, s29
	s_lshl_b32 m0, s26, 1
	s_add_nc_u64 s[26:27], s[26:27], 1
	v_movrels_b32_e32 v81, v35
	v_movrels_b32_e32 v80, v34
	ds_load_b64 v[78:79], v78
	s_addk_co_i32 s29, 0x60
	s_cmp_eq_u32 s44, s26
	s_wait_loadcnt_dscnt 0x0
	v_fma_f64 v[78:79], -v[76:77], v[78:79], v[80:81]
	s_delay_alu instid0(VALU_DEP_1) | instskip(NEXT) | instid1(VALU_DEP_2)
	v_movreld_b32_e32 v34, v78
	v_movreld_b32_e32 v35, v79
	s_cbranch_scc0 .LBB78_22
; %bb.23:                               ;   in Loop: Header=BB78_21 Depth=4
	s_add_co_i32 s18, s18, 1
	s_add_co_i32 s28, s28, 8
	s_cmp_eq_u32 s18, s14
	s_cbranch_scc0 .LBB78_21
.LBB78_24:                              ;   in Loop: Header=BB78_17 Depth=3
	s_mov_b64 s[26:27], 0
	s_mov_b32 s18, s45
	s_branch .LBB78_27
.LBB78_25:                              ;   in Loop: Header=BB78_27 Depth=4
	s_mov_b32 s28, s14
	s_mov_b64 s[30:31], 0
.LBB78_26:                              ;   in Loop: Header=BB78_27 Depth=4
	s_mul_i32 s29, s28, 0x68
	s_lshl_b32 m0, s30, 1
	s_wait_xcnt 0x0
	v_mov_b32_e32 v76, s29
	v_movrels_b32_e32 v79, v35
	v_movrels_b32_e32 v78, v34
	s_ashr_i32 s29, s28, 31
	s_add_nc_u64 s[26:27], s[26:27], 1
	ds_load_b64 v[76:77], v76
	s_addk_co_i32 s18, 0x60
	s_cmp_eq_u32 s26, s44
	s_wait_dscnt 0x0
	v_mul_f64_e32 v[76:77], v[78:79], v[76:77]
	v_lshl_add_u64 v[78:79], s[28:29], 3, v[70:71]
	s_delay_alu instid0(VALU_DEP_2) | instskip(NEXT) | instid1(VALU_DEP_3)
	v_movreld_b32_e32 v34, v76
	v_movreld_b32_e32 v35, v77
	global_store_b64 v[78:79], v[76:77], off
	s_cbranch_scc1 .LBB78_16
.LBB78_27:                              ;   Parent Loop BB78_5 Depth=1
                                        ;     Parent Loop BB78_14 Depth=2
                                        ;       Parent Loop BB78_17 Depth=3
                                        ; =>      This Loop Header: Depth=4
                                        ;           Child Loop BB78_29 Depth 5
	s_cmp_eq_u32 s26, 0
	s_cbranch_scc1 .LBB78_25
; %bb.28:                               ;   in Loop: Header=BB78_27 Depth=4
	s_mov_b64 s[30:31], s[26:27]
	s_add_co_i32 s28, s26, s14
	s_mov_b64 s[34:35], 0
	s_lshl_b32 s29, s26, 1
	s_mov_b32 s31, s18
.LBB78_29:                              ;   Parent Loop BB78_5 Depth=1
                                        ;     Parent Loop BB78_14 Depth=2
                                        ;       Parent Loop BB78_17 Depth=3
                                        ;         Parent Loop BB78_27 Depth=4
                                        ; =>        This Inner Loop Header: Depth=5
	s_wait_xcnt 0x0
	v_mov_b32_e32 v76, s31
	s_lshl_b32 m0, s34, 1
	s_add_nc_u64 s[34:35], s[34:35], 1
	v_movrels_b32_e32 v79, v35
	v_movrels_b32_e32 v78, v34
	ds_load_b64 v[76:77], v76
	s_mov_b32 m0, s29
	s_add_co_i32 s31, s31, 8
	v_movrels_b32_e32 v81, v35
	v_movrels_b32_e32 v80, v34
	s_cmp_eq_u32 s26, s34
	s_wait_dscnt 0x0
	s_delay_alu instid0(VALU_DEP_1) | instskip(NEXT) | instid1(VALU_DEP_1)
	v_fma_f64 v[76:77], -v[78:79], v[76:77], v[80:81]
	v_movreld_b32_e32 v34, v76
	s_delay_alu instid0(VALU_DEP_2)
	v_movreld_b32_e32 v35, v77
	s_cbranch_scc0 .LBB78_29
	s_branch .LBB78_26
.LBB78_30:                              ;   in Loop: Header=BB78_14 Depth=2
	s_cmp_lt_i32 s14, s36
	s_cselect_b32 s16, -1, 0
	s_add_co_i32 s15, s3, 1
	s_cmp_lt_u32 s3, 2
	s_wait_xcnt 0x0
	s_cselect_b32 s3, -1, 0
	s_delay_alu instid0(SALU_CYCLE_1) | instskip(NEXT) | instid1(SALU_CYCLE_1)
	s_and_b32 s3, s16, s3
	s_and_b32 vcc_lo, exec_lo, s3
	s_cbranch_vccz .LBB78_32
; %bb.31:                               ;   in Loop: Header=BB78_14 Depth=2
	s_mov_b32 s3, s15
	s_branch .LBB78_14
.LBB78_32:                              ;   in Loop: Header=BB78_5 Depth=1
	s_mov_b32 s3, 0
.LBB78_33:                              ;   in Loop: Header=BB78_5 Depth=1
	s_delay_alu instid0(SALU_CYCLE_1)
	s_and_b32 vcc_lo, exec_lo, s3
	s_cbranch_vccz .LBB78_3
; %bb.34:                               ;   in Loop: Header=BB78_5 Depth=1
	v_add_nc_u64_e32 v[34:35], s[12:13], v[68:69]
	s_mov_b32 s3, 0
	s_mov_b32 s12, s37
	s_load_b32 s18, s[20:21], s3 offset:0x0 scale_offset
	s_wait_kmcnt 0x0
	s_add_co_i32 s28, s18, -1
	s_delay_alu instid0(SALU_CYCLE_1)
	s_cmp_lt_i32 s12, s28
	s_cbranch_scc1 .LBB78_50
.LBB78_35:                              ;   in Loop: Header=BB78_5 Depth=1
	s_lshl_b32 s13, s12, 3
	s_lshl_b32 s14, s18, 3
	s_max_i32 s29, s18, 1
	s_add_co_i32 s30, s40, s13
	s_sub_co_i32 s31, 0, s14
	s_mul_i32 s34, s12, 0x68
	s_mul_i32 s35, s18, 0xffffff98
	s_branch .LBB78_37
.LBB78_36:                              ;   in Loop: Header=BB78_37 Depth=2
	s_sub_co_i32 s12, s12, s18
	s_add_co_i32 s30, s30, s31
	s_add_co_i32 s34, s34, s35
	s_cmp_lt_i32 s12, s28
	s_cbranch_scc1 .LBB78_50
.LBB78_37:                              ;   Parent Loop BB78_5 Depth=1
                                        ; =>  This Loop Header: Depth=2
                                        ;       Child Loop BB78_38 Depth 3
                                        ;       Child Loop BB78_40 Depth 3
                                        ;         Child Loop BB78_41 Depth 4
                                        ;       Child Loop BB78_46 Depth 3
                                        ;         Child Loop BB78_48 Depth 4
	s_ashr_i32 s13, s12, 31
	s_mov_b64 s[14:15], 0
	s_wait_xcnt 0x0
	v_lshl_add_u64 v[36:37], s[12:13], 3, v[34:35]
.LBB78_38:                              ;   Parent Loop BB78_5 Depth=1
                                        ;     Parent Loop BB78_37 Depth=2
                                        ; =>    This Inner Loop Header: Depth=3
	global_load_b64 v[38:39], v[36:37], off
	s_wait_xcnt 0x0
	v_add_nc_u64_e32 v[36:37], -8, v[36:37]
	s_lshl_b32 m0, s14, 1
	s_add_nc_u64 s[14:15], s[14:15], 1
	s_delay_alu instid0(SALU_CYCLE_1) | instskip(SKIP_2) | instid1(VALU_DEP_1)
	s_cmp_eq_u32 s29, s14
	s_wait_loadcnt 0x0
	v_mul_f64_e32 v[38:39], s[4:5], v[38:39]
	v_movreld_b32_e32 v2, v38
	s_delay_alu instid0(VALU_DEP_2)
	v_movreld_b32_e32 v3, v39
	s_cbranch_scc0 .LBB78_38
; %bb.39:                               ;   in Loop: Header=BB78_37 Depth=2
	s_cmp_le_i32 s37, s12
	s_mov_b32 s22, s30
	s_mov_b32 s14, s37
	s_cbranch_scc1 .LBB78_43
.LBB78_40:                              ;   Parent Loop BB78_5 Depth=1
                                        ;     Parent Loop BB78_37 Depth=2
                                        ; =>    This Loop Header: Depth=3
                                        ;         Child Loop BB78_41 Depth 4
	s_ashr_i32 s15, s14, 31
	s_mov_b64 s[16:17], 0
	s_wait_xcnt 0x0
	v_lshl_add_u64 v[36:37], s[14:15], 3, v[70:71]
	s_mov_b32 s15, s22
	global_load_b64 v[36:37], v[36:37], off
.LBB78_41:                              ;   Parent Loop BB78_5 Depth=1
                                        ;     Parent Loop BB78_37 Depth=2
                                        ;       Parent Loop BB78_40 Depth=3
                                        ; =>      This Inner Loop Header: Depth=4
	v_mov_b32_e32 v38, s15
	s_lshl_b32 m0, s16, 1
	s_add_nc_u64 s[16:17], s[16:17], 1
	v_movrels_b32_e32 v41, v3
	v_movrels_b32_e32 v40, v2
	ds_load_b64 v[38:39], v38
	s_add_co_i32 s15, s15, -8
	s_cmp_eq_u32 s29, s16
	s_wait_loadcnt_dscnt 0x0
	v_fma_f64 v[38:39], -v[36:37], v[38:39], v[40:41]
	s_delay_alu instid0(VALU_DEP_1) | instskip(NEXT) | instid1(VALU_DEP_2)
	v_movreld_b32_e32 v2, v38
	v_movreld_b32_e32 v3, v39
	s_cbranch_scc0 .LBB78_41
; %bb.42:                               ;   in Loop: Header=BB78_40 Depth=3
	s_add_co_i32 s14, s14, -1
	s_addk_co_i32 s22, 0xffa0
	s_cmp_le_i32 s14, s12
	s_cbranch_scc0 .LBB78_40
.LBB78_43:                              ;   in Loop: Header=BB78_37 Depth=2
	s_mov_b64 s[14:15], 0
	s_mov_b32 s43, s34
	s_branch .LBB78_46
.LBB78_44:                              ;   in Loop: Header=BB78_46 Depth=3
	s_mov_b32 s26, s12
	s_mov_b64 s[16:17], 0
	s_mov_b64 s[22:23], s[12:13]
.LBB78_45:                              ;   in Loop: Header=BB78_46 Depth=3
	s_mul_i32 s17, s26, 0x68
	s_lshl_b32 m0, s16, 1
	s_wait_xcnt 0x0
	v_mov_b32_e32 v36, s17
	v_movrels_b32_e32 v39, v3
	v_movrels_b32_e32 v38, v2
	s_add_nc_u64 s[14:15], s[14:15], 1
	s_add_co_i32 s43, s43, -8
	ds_load_b64 v[36:37], v36
	s_cmp_eq_u32 s14, s29
	s_wait_dscnt 0x0
	v_mul_f64_e32 v[36:37], v[38:39], v[36:37]
	v_lshl_add_u64 v[38:39], s[22:23], 3, v[70:71]
	s_delay_alu instid0(VALU_DEP_2) | instskip(NEXT) | instid1(VALU_DEP_3)
	v_movreld_b32_e32 v2, v36
	v_movreld_b32_e32 v3, v37
	global_store_b64 v[38:39], v[36:37], off
	s_cbranch_scc1 .LBB78_36
.LBB78_46:                              ;   Parent Loop BB78_5 Depth=1
                                        ;     Parent Loop BB78_37 Depth=2
                                        ; =>    This Loop Header: Depth=3
                                        ;         Child Loop BB78_48 Depth 4
	s_cmp_eq_u32 s14, 0
	s_cbranch_scc1 .LBB78_44
; %bb.47:                               ;   in Loop: Header=BB78_46 Depth=3
	s_mov_b64 s[16:17], s[14:15]
	s_mov_b64 s[22:23], 0
	s_lshl_b32 s17, s14, 1
	s_mov_b32 s26, s43
.LBB78_48:                              ;   Parent Loop BB78_5 Depth=1
                                        ;     Parent Loop BB78_37 Depth=2
                                        ;       Parent Loop BB78_46 Depth=3
                                        ; =>      This Inner Loop Header: Depth=4
	s_wait_xcnt 0x0
	v_mov_b32_e32 v36, s26
	s_lshl_b32 m0, s22, 1
	s_add_nc_u64 s[22:23], s[22:23], 1
	v_movrels_b32_e32 v39, v3
	v_movrels_b32_e32 v38, v2
	ds_load_b64 v[36:37], v36
	s_mov_b32 m0, s17
	s_addk_co_i32 s26, 0xffa0
	v_movrels_b32_e32 v41, v3
	v_movrels_b32_e32 v40, v2
	s_cmp_eq_u32 s14, s22
	s_wait_dscnt 0x0
	s_delay_alu instid0(VALU_DEP_1) | instskip(NEXT) | instid1(VALU_DEP_1)
	v_fma_f64 v[36:37], -v[38:39], v[36:37], v[40:41]
	v_movreld_b32_e32 v2, v36
	s_delay_alu instid0(VALU_DEP_2)
	v_movreld_b32_e32 v3, v37
	s_cbranch_scc0 .LBB78_48
; %bb.49:                               ;   in Loop: Header=BB78_46 Depth=3
	s_sub_co_i32 s26, s12, s14
	s_delay_alu instid0(SALU_CYCLE_1) | instskip(NEXT) | instid1(SALU_CYCLE_1)
	s_ashr_i32 s27, s26, 31
	s_mov_b64 s[22:23], s[26:27]
	s_branch .LBB78_45
.LBB78_50:                              ;   Parent Loop BB78_5 Depth=1
                                        ; =>  This Inner Loop Header: Depth=2
	s_cmp_gt_i32 s12, -1
	s_cselect_b32 s14, -1, 0
	s_add_co_i32 s13, s3, 1
	s_cmp_lt_u32 s3, 2
	s_cselect_b32 s3, -1, 0
	s_delay_alu instid0(SALU_CYCLE_1) | instskip(NEXT) | instid1(SALU_CYCLE_1)
	s_and_b32 s3, s14, s3
	s_and_not1_b32 vcc_lo, exec_lo, s3
	s_cbranch_vccnz .LBB78_2
; %bb.51:                               ;   in Loop: Header=BB78_50 Depth=2
	s_mov_b32 s3, s13
	s_load_b32 s18, s[20:21], s3 offset:0x0 scale_offset
	s_wait_kmcnt 0x0
	s_add_co_i32 s28, s18, -1
	s_delay_alu instid0(SALU_CYCLE_1)
	s_cmp_lt_i32 s12, s28
	s_cbranch_scc0 .LBB78_35
	s_branch .LBB78_50
.LBB78_52:
	s_sendmsg sendmsg(MSG_DEALLOC_VGPRS)
	s_endpgm
	.section	.rodata,"a",@progbits
	.p2align	6, 0x0
	.amdhsa_kernel _ZL30rocblas_trsm_small_left_deviceILi12ELi12ELb0EddPKdPdEv13rocblas_fill_18rocblas_operation_17rocblas_diagonal_iiT3_T4_lilT5_lili
		.amdhsa_group_segment_fixed_size 1152
		.amdhsa_private_segment_fixed_size 0
		.amdhsa_kernarg_size 360
		.amdhsa_user_sgpr_count 2
		.amdhsa_user_sgpr_dispatch_ptr 0
		.amdhsa_user_sgpr_queue_ptr 0
		.amdhsa_user_sgpr_kernarg_segment_ptr 1
		.amdhsa_user_sgpr_dispatch_id 0
		.amdhsa_user_sgpr_kernarg_preload_length 0
		.amdhsa_user_sgpr_kernarg_preload_offset 0
		.amdhsa_user_sgpr_private_segment_size 0
		.amdhsa_wavefront_size32 1
		.amdhsa_uses_dynamic_stack 0
		.amdhsa_enable_private_segment 0
		.amdhsa_system_sgpr_workgroup_id_x 1
		.amdhsa_system_sgpr_workgroup_id_y 0
		.amdhsa_system_sgpr_workgroup_id_z 1
		.amdhsa_system_sgpr_workgroup_info 0
		.amdhsa_system_vgpr_workitem_id 0
		.amdhsa_next_free_vgpr 82
		.amdhsa_next_free_sgpr 47
		.amdhsa_named_barrier_count 0
		.amdhsa_reserve_vcc 1
		.amdhsa_float_round_mode_32 0
		.amdhsa_float_round_mode_16_64 0
		.amdhsa_float_denorm_mode_32 3
		.amdhsa_float_denorm_mode_16_64 3
		.amdhsa_fp16_overflow 0
		.amdhsa_memory_ordered 1
		.amdhsa_forward_progress 1
		.amdhsa_inst_pref_size 18
		.amdhsa_round_robin_scheduling 0
		.amdhsa_exception_fp_ieee_invalid_op 0
		.amdhsa_exception_fp_denorm_src 0
		.amdhsa_exception_fp_ieee_div_zero 0
		.amdhsa_exception_fp_ieee_overflow 0
		.amdhsa_exception_fp_ieee_underflow 0
		.amdhsa_exception_fp_ieee_inexact 0
		.amdhsa_exception_int_div_zero 0
	.end_amdhsa_kernel
	.section	.text._ZL30rocblas_trsm_small_left_deviceILi12ELi12ELb0EddPKdPdEv13rocblas_fill_18rocblas_operation_17rocblas_diagonal_iiT3_T4_lilT5_lili,"axG",@progbits,_ZL30rocblas_trsm_small_left_deviceILi12ELi12ELb0EddPKdPdEv13rocblas_fill_18rocblas_operation_17rocblas_diagonal_iiT3_T4_lilT5_lili,comdat
.Lfunc_end78:
	.size	_ZL30rocblas_trsm_small_left_deviceILi12ELi12ELb0EddPKdPdEv13rocblas_fill_18rocblas_operation_17rocblas_diagonal_iiT3_T4_lilT5_lili, .Lfunc_end78-_ZL30rocblas_trsm_small_left_deviceILi12ELi12ELb0EddPKdPdEv13rocblas_fill_18rocblas_operation_17rocblas_diagonal_iiT3_T4_lilT5_lili
                                        ; -- End function
	.set _ZL30rocblas_trsm_small_left_deviceILi12ELi12ELb0EddPKdPdEv13rocblas_fill_18rocblas_operation_17rocblas_diagonal_iiT3_T4_lilT5_lili.num_vgpr, 82
	.set _ZL30rocblas_trsm_small_left_deviceILi12ELi12ELb0EddPKdPdEv13rocblas_fill_18rocblas_operation_17rocblas_diagonal_iiT3_T4_lilT5_lili.num_agpr, 0
	.set _ZL30rocblas_trsm_small_left_deviceILi12ELi12ELb0EddPKdPdEv13rocblas_fill_18rocblas_operation_17rocblas_diagonal_iiT3_T4_lilT5_lili.numbered_sgpr, 47
	.set _ZL30rocblas_trsm_small_left_deviceILi12ELi12ELb0EddPKdPdEv13rocblas_fill_18rocblas_operation_17rocblas_diagonal_iiT3_T4_lilT5_lili.num_named_barrier, 0
	.set _ZL30rocblas_trsm_small_left_deviceILi12ELi12ELb0EddPKdPdEv13rocblas_fill_18rocblas_operation_17rocblas_diagonal_iiT3_T4_lilT5_lili.private_seg_size, 0
	.set _ZL30rocblas_trsm_small_left_deviceILi12ELi12ELb0EddPKdPdEv13rocblas_fill_18rocblas_operation_17rocblas_diagonal_iiT3_T4_lilT5_lili.uses_vcc, 1
	.set _ZL30rocblas_trsm_small_left_deviceILi12ELi12ELb0EddPKdPdEv13rocblas_fill_18rocblas_operation_17rocblas_diagonal_iiT3_T4_lilT5_lili.uses_flat_scratch, 0
	.set _ZL30rocblas_trsm_small_left_deviceILi12ELi12ELb0EddPKdPdEv13rocblas_fill_18rocblas_operation_17rocblas_diagonal_iiT3_T4_lilT5_lili.has_dyn_sized_stack, 0
	.set _ZL30rocblas_trsm_small_left_deviceILi12ELi12ELb0EddPKdPdEv13rocblas_fill_18rocblas_operation_17rocblas_diagonal_iiT3_T4_lilT5_lili.has_recursion, 0
	.set _ZL30rocblas_trsm_small_left_deviceILi12ELi12ELb0EddPKdPdEv13rocblas_fill_18rocblas_operation_17rocblas_diagonal_iiT3_T4_lilT5_lili.has_indirect_call, 0
	.section	.AMDGPU.csdata,"",@progbits
; Kernel info:
; codeLenInByte = 2260
; TotalNumSgprs: 49
; NumVgprs: 82
; ScratchSize: 0
; MemoryBound: 0
; FloatMode: 240
; IeeeMode: 1
; LDSByteSize: 1152 bytes/workgroup (compile time only)
; SGPRBlocks: 0
; VGPRBlocks: 5
; NumSGPRsForWavesPerEU: 49
; NumVGPRsForWavesPerEU: 82
; NamedBarCnt: 0
; Occupancy: 10
; WaveLimiterHint : 0
; COMPUTE_PGM_RSRC2:SCRATCH_EN: 0
; COMPUTE_PGM_RSRC2:USER_SGPR: 2
; COMPUTE_PGM_RSRC2:TRAP_HANDLER: 0
; COMPUTE_PGM_RSRC2:TGID_X_EN: 1
; COMPUTE_PGM_RSRC2:TGID_Y_EN: 0
; COMPUTE_PGM_RSRC2:TGID_Z_EN: 1
; COMPUTE_PGM_RSRC2:TIDIG_COMP_CNT: 0
	.section	.text._ZL38rocblas_trsm_small_left_device_sharedBILi12ELi12ELb1EddPKdPdEv13rocblas_fill_18rocblas_operation_17rocblas_diagonal_iiT3_T4_lilT5_lili,"axG",@progbits,_ZL38rocblas_trsm_small_left_device_sharedBILi12ELi12ELb1EddPKdPdEv13rocblas_fill_18rocblas_operation_17rocblas_diagonal_iiT3_T4_lilT5_lili,comdat
	.globl	_ZL38rocblas_trsm_small_left_device_sharedBILi12ELi12ELb1EddPKdPdEv13rocblas_fill_18rocblas_operation_17rocblas_diagonal_iiT3_T4_lilT5_lili ; -- Begin function _ZL38rocblas_trsm_small_left_device_sharedBILi12ELi12ELb1EddPKdPdEv13rocblas_fill_18rocblas_operation_17rocblas_diagonal_iiT3_T4_lilT5_lili
	.p2align	8
	.type	_ZL38rocblas_trsm_small_left_device_sharedBILi12ELi12ELb1EddPKdPdEv13rocblas_fill_18rocblas_operation_17rocblas_diagonal_iiT3_T4_lilT5_lili,@function
_ZL38rocblas_trsm_small_left_device_sharedBILi12ELi12ELb1EddPKdPdEv13rocblas_fill_18rocblas_operation_17rocblas_diagonal_iiT3_T4_lilT5_lili: ; @_ZL38rocblas_trsm_small_left_device_sharedBILi12ELi12ELb1EddPKdPdEv13rocblas_fill_18rocblas_operation_17rocblas_diagonal_iiT3_T4_lilT5_lili
; %bb.0:
	s_load_b32 s19, s[0:1], 0x60
	s_bfe_u32 s2, ttmp6, 0x40014
	s_lshr_b32 s3, ttmp7, 16
	s_add_co_i32 s2, s2, 1
	s_bfe_u32 s5, ttmp6, 0x40008
	s_mul_i32 s4, s3, s2
	s_getreg_b32 s2, hwreg(HW_REG_IB_STS2, 6, 4)
	s_add_co_i32 s5, s5, s4
	s_cmp_eq_u32 s2, 0
	s_cselect_b32 s23, s3, s5
	s_wait_kmcnt 0x0
	s_cmp_ge_u32 s23, s19
	s_cbranch_scc1 .LBB79_55
; %bb.1:
	s_clause 0x6
	s_load_b96 s[16:18], s[0:1], 0x28
	s_load_b96 s[20:22], s[0:1], 0x48
	s_load_b128 s[12:15], s[0:1], 0x4
	s_load_b32 s3, s[0:1], 0x68
	s_load_b64 s[24:25], s[0:1], 0x58
	s_load_b128 s[4:7], s[0:1], 0x18
	s_load_b128 s[8:11], s[0:1], 0x38
	s_wait_xcnt 0x0
	s_bfe_u32 s0, ttmp6, 0x4000c
	s_and_b32 s1, ttmp6, 15
	s_add_co_i32 s0, s0, 1
	v_dual_mov_b32 v67, 0 :: v_dual_lshlrev_b32 v66, 3, v0
	s_mul_i32 s0, ttmp9, s0
	v_mul_u32_u24_e32 v26, 0x60, v0
	s_add_co_i32 s0, s1, s0
	s_delay_alu instid0(VALU_DEP_2)
	v_or_b32_e32 v74, 0x480, v66
	v_dual_mov_b32 v2, v67 :: v_dual_mov_b32 v3, v67
	v_dual_mov_b32 v4, v67 :: v_dual_mov_b32 v5, v67
	s_wait_kmcnt 0x0
	s_ashr_i32 s31, s18, 31
	s_ashr_i32 s29, s22, 31
	s_min_i32 s1, s14, 12
	s_add_co_i32 s3, s3, -1
	s_add_co_i32 s26, s1, -1
	s_cmp_eq_u32 s2, 0
	v_dual_mov_b32 v6, v67 :: v_dual_mov_b32 v7, v67
	s_cselect_b32 s0, ttmp9, s0
	v_dual_mov_b32 v8, v67 :: v_dual_mov_b32 v9, v67
	s_mul_i32 s2, s0, -12
	v_dual_mov_b32 v10, v67 :: v_dual_mov_b32 v11, v67
	s_add_co_i32 s15, s15, s2
	s_cmp_ge_u32 s0, s3
	s_mul_i32 s2, s0, 12
	s_cselect_b32 s0, s15, 12
	s_ashr_i32 s3, s2, 31
	s_cmp_lg_u32 s13, 0x84
	v_lshl_add_u64 v[18:19], s[2:3], 3, v[66:67]
	s_cselect_b32 s27, -1, 0
	s_cmp_gt_i32 s14, 0
	v_cmp_gt_i32_e32 vcc_lo, s0, v0
	s_cselect_b32 s13, -1, 0
	s_cmp_lg_u32 s12, 0x6f
	v_cmp_gt_i32_e64 s0, s1, v0
	s_cselect_b32 s28, -1, 0
	s_lshl_b64 s[2:3], s[20:21], 3
	v_dual_mov_b32 v12, v67 :: v_dual_mov_b32 v13, v67
	s_add_nc_u64 s[2:3], s[10:11], s[2:3]
	s_lshl_b64 s[10:11], s[16:17], 3
	v_mad_nc_u64_u32 v[68:69], v18, s22, s[2:3]
	s_lshl_b64 s[2:3], s[8:9], 3
	s_add_nc_u64 s[8:9], s[6:7], s[10:11]
	v_dual_mov_b32 v14, v67 :: v_dual_mov_b32 v15, v67
	v_add_nc_u64_e32 v[0:1], s[8:9], v[66:67]
	v_dual_mov_b32 v16, v67 :: v_dual_mov_b32 v17, v67
	v_dual_mov_b32 v20, v67 :: v_dual_mov_b32 v21, v67
	;; [unrolled: 1-line block ×3, first 2 shown]
	v_mad_u32 v19, v19, s22, v69
	v_dual_mov_b32 v24, v67 :: v_dual_mov_b32 v25, v67
	s_mov_b32 s30, s18
	s_lshl_b32 s20, s1, 3
	s_and_b32 s18, vcc_lo, s13
	s_lshl_b64 s[6:7], s[30:31], 3
	s_lshl_b64 s[10:11], s[24:25], 3
	s_add_co_i32 s20, s20, -8
	s_get_pc_i64 s[8:9]
	s_add_nc_u64 s[8:9], s[8:9], __const._ZL38rocblas_trsm_small_left_device_sharedBILi12ELi12ELb1EddPKdPdEv13rocblas_fill_18rocblas_operation_17rocblas_diagonal_iiT3_T4_lilT5_lili.step_sizes@rel64+4
	s_delay_alu instid0(VALU_DEP_2)
	v_mad_u32 v69, v18, s29, v19
	v_dual_mov_b32 v18, v67 :: v_dual_mov_b32 v19, v67
	v_add_nc_u32_e32 v67, v66, v26
	s_branch .LBB79_3
.LBB79_2:                               ;   in Loop: Header=BB79_3 Depth=1
	s_or_b32 exec_lo, exec_lo, s12
	s_delay_alu instid0(VALU_DEP_1)
	v_mov_b64_e32 v[2:3], v[34:35]
	v_mov_b64_e32 v[4:5], v[36:37]
	;; [unrolled: 1-line block ×16, first 2 shown]
	s_add_co_i32 s23, s23, 0x10000
	s_delay_alu instid0(SALU_CYCLE_1)
	s_cmp_lt_u32 s23, s19
	s_cbranch_scc0 .LBB79_55
.LBB79_3:                               ; =>This Loop Header: Depth=1
                                        ;     Child Loop BB79_5 Depth 2
                                        ;     Child Loop BB79_11 Depth 2
	;; [unrolled: 1-line block ×3, first 2 shown]
                                        ;       Child Loop BB79_17 Depth 3
                                        ;       Child Loop BB79_19 Depth 3
                                        ;         Child Loop BB79_20 Depth 4
                                        ;       Child Loop BB79_25 Depth 3
                                        ;         Child Loop BB79_27 Depth 4
                                        ;     Child Loop BB79_28 Depth 2
                                        ;     Child Loop BB79_33 Depth 2
                                        ;       Child Loop BB79_36 Depth 3
                                        ;         Child Loop BB79_37 Depth 4
                                        ;         Child Loop BB79_40 Depth 4
                                        ;           Child Loop BB79_41 Depth 5
                                        ;         Child Loop BB79_46 Depth 4
                                        ;           Child Loop BB79_48 Depth 5
                                        ;     Child Loop BB79_54 Depth 2
	s_and_saveexec_b32 s12, s0
	s_cbranch_execz .LBB79_9
; %bb.4:                                ;   in Loop: Header=BB79_3 Depth=1
	v_mad_nc_u64_u32 v[34:35], s2, s23, v[0:1]
	v_mov_b32_e32 v36, v66
	s_mov_b32 s13, s1
	s_delay_alu instid0(VALU_DEP_2)
	v_mad_u32 v35, s3, s23, v35
.LBB79_5:                               ;   Parent Loop BB79_3 Depth=1
                                        ; =>  This Inner Loop Header: Depth=2
	global_load_b64 v[38:39], v[34:35], off
	s_wait_xcnt 0x0
	v_add_nc_u64_e32 v[34:35], s[6:7], v[34:35]
	s_add_co_i32 s13, s13, -1
	s_delay_alu instid0(SALU_CYCLE_1)
	s_cmp_eq_u32 s13, 0
	s_wait_loadcnt 0x0
	ds_store_b64 v36, v[38:39]
	v_add_nc_u32_e32 v36, 0x60, v36
	s_cbranch_scc0 .LBB79_5
; %bb.6:                                ;   in Loop: Header=BB79_3 Depth=1
	v_mov_b64_e32 v[34:35], 1.0
	s_and_b32 vcc_lo, exec_lo, s27
	s_cbranch_vccz .LBB79_8
; %bb.7:                                ;   in Loop: Header=BB79_3 Depth=1
	ds_load_b64 v[34:35], v67
	s_wait_dscnt 0x0
	v_div_scale_f64 v[36:37], null, v[34:35], v[34:35], 1.0
	s_delay_alu instid0(VALU_DEP_1) | instskip(SKIP_1) | instid1(TRANS32_DEP_1)
	v_rcp_f64_e32 v[38:39], v[36:37]
	v_nop
	v_fma_f64 v[40:41], -v[36:37], v[38:39], 1.0
	s_delay_alu instid0(VALU_DEP_1) | instskip(NEXT) | instid1(VALU_DEP_1)
	v_fmac_f64_e32 v[38:39], v[38:39], v[40:41]
	v_fma_f64 v[40:41], -v[36:37], v[38:39], 1.0
	s_delay_alu instid0(VALU_DEP_1) | instskip(SKIP_1) | instid1(VALU_DEP_1)
	v_fmac_f64_e32 v[38:39], v[38:39], v[40:41]
	v_div_scale_f64 v[40:41], vcc_lo, 1.0, v[34:35], 1.0
	v_mul_f64_e32 v[42:43], v[40:41], v[38:39]
	s_delay_alu instid0(VALU_DEP_1) | instskip(NEXT) | instid1(VALU_DEP_1)
	v_fma_f64 v[36:37], -v[36:37], v[42:43], v[40:41]
	v_div_fmas_f64 v[36:37], v[36:37], v[38:39], v[42:43]
	s_delay_alu instid0(VALU_DEP_1)
	v_div_fixup_f64 v[34:35], v[36:37], v[34:35], 1.0
.LBB79_8:                               ;   in Loop: Header=BB79_3 Depth=1
	ds_store_b64 v67, v[34:35]
.LBB79_9:                               ;   in Loop: Header=BB79_3 Depth=1
	s_or_b32 exec_lo, exec_lo, s12
	s_delay_alu instid0(VALU_DEP_3) | instskip(NEXT) | instid1(VALU_DEP_1)
	v_mad_nc_u64_u32 v[70:71], s10, s23, v[68:69]
	v_mad_u32 v71, s11, s23, v71
	s_and_saveexec_b32 s12, s18
	s_cbranch_execz .LBB79_12
; %bb.10:                               ;   in Loop: Header=BB79_3 Depth=1
	s_delay_alu instid0(VALU_DEP_1)
	v_mov_b64_e32 v[34:35], v[70:71]
	v_mov_b32_e32 v36, v74
	s_mov_b32 s13, s1
.LBB79_11:                              ;   Parent Loop BB79_3 Depth=1
                                        ; =>  This Inner Loop Header: Depth=2
	global_load_b64 v[38:39], v[34:35], off
	s_wait_xcnt 0x0
	v_add_nc_u64_e32 v[34:35], 8, v[34:35]
	s_add_co_i32 s13, s13, -1
	s_delay_alu instid0(SALU_CYCLE_1)
	s_cmp_lg_u32 s13, 0
	s_wait_loadcnt 0x0
	v_mul_f64_e32 v[38:39], s[4:5], v[38:39]
	ds_store_b64 v36, v[38:39]
	v_add_nc_u32_e32 v36, 0x60, v36
	s_cbranch_scc1 .LBB79_11
.LBB79_12:                              ;   in Loop: Header=BB79_3 Depth=1
	s_or_b32 exec_lo, exec_lo, s12
	s_delay_alu instid0(SALU_CYCLE_1)
	s_and_not1_b32 vcc_lo, exec_lo, s28
	s_mov_b32 s12, -1
	s_wait_dscnt 0x0
	; wave barrier
                                        ; implicit-def: $vgpr34_vgpr35_vgpr36_vgpr37_vgpr38_vgpr39_vgpr40_vgpr41_vgpr42_vgpr43_vgpr44_vgpr45_vgpr46_vgpr47_vgpr48_vgpr49_vgpr50_vgpr51_vgpr52_vgpr53_vgpr54_vgpr55_vgpr56_vgpr57_vgpr58_vgpr59_vgpr60_vgpr61_vgpr62_vgpr63_vgpr64_vgpr65
	s_cbranch_vccnz .LBB79_31
; %bb.13:                               ;   in Loop: Header=BB79_3 Depth=1
	v_mov_b64_e32 v[64:65], v[32:33]
	v_mov_b64_e32 v[62:63], v[30:31]
	;; [unrolled: 1-line block ×16, first 2 shown]
	s_wait_xcnt 0x0
	s_mov_b32 s22, 0
	s_mov_b32 s21, s26
	s_load_b32 s24, s[8:9], s22 offset:0x0 scale_offset
	s_wait_kmcnt 0x0
	s_add_co_i32 s25, s24, -1
	s_delay_alu instid0(SALU_CYCLE_1)
	s_cmp_lt_i32 s21, s25
	s_cbranch_scc1 .LBB79_28
.LBB79_14:                              ;   in Loop: Header=BB79_3 Depth=1
	s_mul_i32 s12, s21, 0x60
	s_max_i32 s29, s24, 1
	v_add_nc_u32_e32 v75, s12, v74
	s_mul_i32 s30, s24, 0xffffffa0
	s_add_co_i32 s31, s20, s12
	s_mul_i32 s33, s21, 0x68
	s_mul_i32 s34, s24, 0xffffff98
	s_branch .LBB79_16
.LBB79_15:                              ;   in Loop: Header=BB79_16 Depth=2
	v_add_nc_u32_e32 v75, s30, v75
	s_sub_co_i32 s21, s21, s24
	s_add_co_i32 s31, s31, s30
	s_add_co_i32 s33, s33, s34
	s_cmp_lt_i32 s21, s25
	s_cbranch_scc1 .LBB79_28
.LBB79_16:                              ;   Parent Loop BB79_3 Depth=1
                                        ; =>  This Loop Header: Depth=2
                                        ;       Child Loop BB79_17 Depth 3
                                        ;       Child Loop BB79_19 Depth 3
                                        ;         Child Loop BB79_20 Depth 4
                                        ;       Child Loop BB79_25 Depth 3
                                        ;         Child Loop BB79_27 Depth 4
	v_mov_b32_e32 v72, v75
	s_mov_b64 s[12:13], 0
.LBB79_17:                              ;   Parent Loop BB79_3 Depth=1
                                        ;     Parent Loop BB79_16 Depth=2
                                        ; =>    This Inner Loop Header: Depth=3
	ds_load_b64 v[76:77], v72
	v_add_nc_u32_e32 v72, 0xffffffa0, v72
	s_lshl_b32 m0, s12, 1
	s_add_nc_u64 s[12:13], s[12:13], 1
	s_delay_alu instid0(SALU_CYCLE_1)
	s_cmp_eq_u32 s29, s12
	s_wait_dscnt 0x0
	v_movreld_b32_e32 v34, v76
	v_movreld_b32_e32 v35, v77
	s_cbranch_scc0 .LBB79_17
; %bb.18:                               ;   in Loop: Header=BB79_16 Depth=2
	s_cmp_le_i32 s26, s21
	s_mov_b32 s14, s31
	s_mov_b32 s15, s26
	s_cbranch_scc1 .LBB79_22
.LBB79_19:                              ;   Parent Loop BB79_3 Depth=1
                                        ;     Parent Loop BB79_16 Depth=2
                                        ; =>    This Loop Header: Depth=3
                                        ;         Child Loop BB79_20 Depth 4
	v_mad_u32 v72, 0x60, s15, v74
	s_mov_b64 s[12:13], 0
	s_mov_b32 s16, s14
	ds_load_b64 v[72:73], v72
.LBB79_20:                              ;   Parent Loop BB79_3 Depth=1
                                        ;     Parent Loop BB79_16 Depth=2
                                        ;       Parent Loop BB79_19 Depth=3
                                        ; =>      This Inner Loop Header: Depth=4
	v_mov_b32_e32 v76, s16
	s_lshl_b32 m0, s12, 1
	s_add_nc_u64 s[12:13], s[12:13], 1
	v_movrels_b32_e32 v79, v35
	v_movrels_b32_e32 v78, v34
	ds_load_b64 v[76:77], v76
	s_addk_co_i32 s16, 0xffa0
	s_cmp_eq_u32 s29, s12
	s_wait_dscnt 0x0
	v_fma_f64 v[76:77], -v[72:73], v[76:77], v[78:79]
	s_delay_alu instid0(VALU_DEP_1) | instskip(NEXT) | instid1(VALU_DEP_2)
	v_movreld_b32_e32 v34, v76
	v_movreld_b32_e32 v35, v77
	s_cbranch_scc0 .LBB79_20
; %bb.21:                               ;   in Loop: Header=BB79_19 Depth=3
	s_add_co_i32 s15, s15, -1
	s_add_co_i32 s14, s14, -8
	s_cmp_le_i32 s15, s21
	s_cbranch_scc0 .LBB79_19
.LBB79_22:                              ;   in Loop: Header=BB79_16 Depth=2
	s_mul_i32 s35, s21, 0x60
	s_mov_b64 s[12:13], 0
	s_mov_b32 s36, s33
	s_branch .LBB79_25
.LBB79_23:                              ;   in Loop: Header=BB79_25 Depth=3
	s_mov_b32 s38, s21
	s_mov_b64 s[14:15], 0
	s_mov_b32 s37, s35
.LBB79_24:                              ;   in Loop: Header=BB79_25 Depth=3
	s_mul_i32 s15, s38, 0x68
	s_lshl_b32 m0, s14, 1
	v_mov_b32_e32 v72, s15
	v_movrels_b32_e32 v77, v35
	v_movrels_b32_e32 v76, v34
	s_add_nc_u64 s[12:13], s[12:13], 1
	s_addk_co_i32 s36, 0xffa0
	ds_load_b64 v[72:73], v72
	s_cmp_eq_u32 s12, s29
	s_wait_dscnt 0x0
	v_dual_mul_f64 v[72:73], v[76:77], v[72:73] :: v_dual_add_nc_u32 v76, s37, v74
	s_delay_alu instid0(VALU_DEP_1) | instskip(NEXT) | instid1(VALU_DEP_2)
	v_movreld_b32_e32 v34, v72
	v_movreld_b32_e32 v35, v73
	ds_store_b64 v76, v[72:73]
	s_cbranch_scc1 .LBB79_15
.LBB79_25:                              ;   Parent Loop BB79_3 Depth=1
                                        ;     Parent Loop BB79_16 Depth=2
                                        ; =>    This Loop Header: Depth=3
                                        ;         Child Loop BB79_27 Depth 4
	s_cmp_eq_u32 s12, 0
	s_cbranch_scc1 .LBB79_23
; %bb.26:                               ;   in Loop: Header=BB79_25 Depth=3
	s_sub_co_i32 s38, s21, s12
	s_mov_b64 s[14:15], s[12:13]
	s_mov_b64 s[16:17], 0
	s_mul_i32 s37, s38, 0x60
	s_lshl_b32 s15, s12, 1
	s_mov_b32 s39, s36
.LBB79_27:                              ;   Parent Loop BB79_3 Depth=1
                                        ;     Parent Loop BB79_16 Depth=2
                                        ;       Parent Loop BB79_25 Depth=3
                                        ; =>      This Inner Loop Header: Depth=4
	s_delay_alu instid0(SALU_CYCLE_1)
	v_mov_b32_e32 v72, s39
	s_lshl_b32 m0, s16, 1
	s_add_nc_u64 s[16:17], s[16:17], 1
	v_movrels_b32_e32 v77, v35
	v_movrels_b32_e32 v76, v34
	ds_load_b64 v[72:73], v72
	s_mov_b32 m0, s15
	s_add_co_i32 s39, s39, -8
	v_movrels_b32_e32 v79, v35
	v_movrels_b32_e32 v78, v34
	s_cmp_eq_u32 s12, s16
	s_wait_dscnt 0x0
	s_delay_alu instid0(VALU_DEP_1) | instskip(NEXT) | instid1(VALU_DEP_1)
	v_fma_f64 v[72:73], -v[76:77], v[72:73], v[78:79]
	v_movreld_b32_e32 v34, v72
	s_delay_alu instid0(VALU_DEP_2)
	v_movreld_b32_e32 v35, v73
	s_cbranch_scc0 .LBB79_27
	s_branch .LBB79_24
.LBB79_28:                              ;   Parent Loop BB79_3 Depth=1
                                        ; =>  This Inner Loop Header: Depth=2
	s_cmp_gt_i32 s21, -1
	s_cselect_b32 s13, -1, 0
	s_add_co_i32 s12, s22, 1
	s_cmp_lt_u32 s22, 2
	s_cselect_b32 s14, -1, 0
	s_delay_alu instid0(SALU_CYCLE_1) | instskip(NEXT) | instid1(SALU_CYCLE_1)
	s_and_b32 s13, s13, s14
	s_and_b32 vcc_lo, exec_lo, s13
	s_cbranch_vccz .LBB79_30
; %bb.29:                               ;   in Loop: Header=BB79_28 Depth=2
	s_wait_xcnt 0x0
	s_mov_b32 s22, s12
	s_load_b32 s24, s[8:9], s22 offset:0x0 scale_offset
	s_wait_kmcnt 0x0
	s_add_co_i32 s25, s24, -1
	s_delay_alu instid0(SALU_CYCLE_1)
	s_cmp_lt_i32 s21, s25
	s_cbranch_scc0 .LBB79_14
	s_branch .LBB79_28
.LBB79_30:                              ;   in Loop: Header=BB79_3 Depth=1
	s_mov_b32 s12, 0
.LBB79_31:                              ;   in Loop: Header=BB79_3 Depth=1
	s_delay_alu instid0(SALU_CYCLE_1)
	s_and_b32 vcc_lo, exec_lo, s12
	s_cbranch_vccz .LBB79_52
; %bb.32:                               ;   in Loop: Header=BB79_3 Depth=1
	s_mov_b32 s21, 0
	s_wait_xcnt 0x0
	s_mov_b32 s22, 0
.LBB79_33:                              ;   Parent Loop BB79_3 Depth=1
                                        ; =>  This Loop Header: Depth=2
                                        ;       Child Loop BB79_36 Depth 3
                                        ;         Child Loop BB79_37 Depth 4
                                        ;         Child Loop BB79_40 Depth 4
                                        ;           Child Loop BB79_41 Depth 5
                                        ;         Child Loop BB79_46 Depth 4
                                        ;           Child Loop BB79_48 Depth 5
	s_load_b32 s24, s[8:9], s22 offset:0x0 scale_offset
	s_wait_kmcnt 0x0
	s_add_co_i32 s25, s24, -1
	s_delay_alu instid0(SALU_CYCLE_1) | instskip(NEXT) | instid1(SALU_CYCLE_1)
	s_add_co_i32 s12, s25, s21
	s_cmp_ge_i32 s12, s1
	s_cbranch_scc1 .LBB79_49
; %bb.34:                               ;   in Loop: Header=BB79_33 Depth=2
	v_mad_u32 v36, 0x60, s21, v74
	s_max_i32 s29, s24, 1
	s_mul_i32 s30, s24, 0x60
	s_lshl_b32 s31, s21, 3
	s_lshl_b32 s33, s24, 3
	s_mul_i32 s34, s21, 0x68
	s_mul_i32 s35, s24, 0x68
	s_branch .LBB79_36
.LBB79_35:                              ;   in Loop: Header=BB79_36 Depth=3
	s_add_co_i32 s21, s21, s24
	v_add_nc_u32_e32 v36, s30, v36
	s_add_co_i32 s12, s25, s21
	s_add_co_i32 s31, s31, s33
	;; [unrolled: 1-line block ×3, first 2 shown]
	s_cmp_ge_i32 s12, s1
	s_cbranch_scc1 .LBB79_49
.LBB79_36:                              ;   Parent Loop BB79_3 Depth=1
                                        ;     Parent Loop BB79_33 Depth=2
                                        ; =>    This Loop Header: Depth=3
                                        ;         Child Loop BB79_37 Depth 4
                                        ;         Child Loop BB79_40 Depth 4
                                        ;           Child Loop BB79_41 Depth 5
                                        ;         Child Loop BB79_46 Depth 4
                                        ;           Child Loop BB79_48 Depth 5
	s_delay_alu instid0(VALU_DEP_1)
	v_mov_b32_e32 v34, v36
	s_mov_b64 s[12:13], 0
.LBB79_37:                              ;   Parent Loop BB79_3 Depth=1
                                        ;     Parent Loop BB79_33 Depth=2
                                        ;       Parent Loop BB79_36 Depth=3
                                        ; =>      This Inner Loop Header: Depth=4
	ds_load_b64 v[38:39], v34
	v_add_nc_u32_e32 v34, 0x60, v34
	s_lshl_b32 m0, s12, 1
	s_add_nc_u64 s[12:13], s[12:13], 1
	s_delay_alu instid0(SALU_CYCLE_1)
	s_cmp_eq_u32 s29, s12
	s_wait_dscnt 0x0
	v_movreld_b32_e32 v2, v38
	v_movreld_b32_e32 v3, v39
	s_cbranch_scc0 .LBB79_37
; %bb.38:                               ;   in Loop: Header=BB79_36 Depth=3
	s_cmp_lt_i32 s21, 1
	s_cbranch_scc1 .LBB79_43
; %bb.39:                               ;   in Loop: Header=BB79_36 Depth=3
	s_mov_b32 s14, 0
	s_mov_b32 s15, s31
.LBB79_40:                              ;   Parent Loop BB79_3 Depth=1
                                        ;     Parent Loop BB79_33 Depth=2
                                        ;       Parent Loop BB79_36 Depth=3
                                        ; =>      This Loop Header: Depth=4
                                        ;           Child Loop BB79_41 Depth 5
	v_mad_u32 v34, 0x60, s14, v74
	s_mov_b64 s[12:13], 0
	s_mov_b32 s16, s15
	ds_load_b64 v[34:35], v34
.LBB79_41:                              ;   Parent Loop BB79_3 Depth=1
                                        ;     Parent Loop BB79_33 Depth=2
                                        ;       Parent Loop BB79_36 Depth=3
                                        ;         Parent Loop BB79_40 Depth=4
                                        ; =>        This Inner Loop Header: Depth=5
	s_lshl_b32 m0, s12, 1
	s_add_nc_u64 s[12:13], s[12:13], 1
	v_movrels_b32_e32 v41, v3
	v_movrels_b32_e32 v40, v2
	v_mov_b32_e32 v37, s16
	s_add_co_i32 s16, s16, 8
	s_cmp_eq_u32 s29, s12
	ds_load_b64 v[38:39], v37
	s_wait_dscnt 0x0
	v_fma_f64 v[38:39], -v[34:35], v[38:39], v[40:41]
	s_delay_alu instid0(VALU_DEP_1) | instskip(NEXT) | instid1(VALU_DEP_2)
	v_movreld_b32_e32 v2, v38
	v_movreld_b32_e32 v3, v39
	s_cbranch_scc0 .LBB79_41
; %bb.42:                               ;   in Loop: Header=BB79_40 Depth=4
	s_add_co_i32 s14, s14, 1
	s_addk_co_i32 s15, 0x60
	s_cmp_eq_u32 s14, s21
	s_cbranch_scc0 .LBB79_40
.LBB79_43:                              ;   in Loop: Header=BB79_36 Depth=3
	s_mov_b64 s[12:13], 0
	s_mov_b32 s36, s34
	s_branch .LBB79_46
.LBB79_44:                              ;   in Loop: Header=BB79_46 Depth=4
	s_mov_b64 s[14:15], 0
.LBB79_45:                              ;   in Loop: Header=BB79_46 Depth=4
	s_add_co_i32 s15, s12, s21
	s_lshl_b32 m0, s14, 1
	s_mul_i32 s16, s15, 0x68
	v_movrels_b32_e32 v39, v3
	v_mov_b32_e32 v34, s16
	v_movrels_b32_e32 v38, v2
	v_mad_u32 v37, 0x60, s15, v74
	s_add_nc_u64 s[12:13], s[12:13], 1
	s_add_co_i32 s36, s36, 8
	ds_load_b64 v[34:35], v34
	s_cmp_eq_u32 s12, s29
	s_wait_dscnt 0x0
	v_mul_f64_e32 v[34:35], v[38:39], v[34:35]
	s_delay_alu instid0(VALU_DEP_1) | instskip(NEXT) | instid1(VALU_DEP_2)
	v_movreld_b32_e32 v2, v34
	v_movreld_b32_e32 v3, v35
	ds_store_b64 v37, v[34:35]
	s_cbranch_scc1 .LBB79_35
.LBB79_46:                              ;   Parent Loop BB79_3 Depth=1
                                        ;     Parent Loop BB79_33 Depth=2
                                        ;       Parent Loop BB79_36 Depth=3
                                        ; =>      This Loop Header: Depth=4
                                        ;           Child Loop BB79_48 Depth 5
	s_cmp_eq_u32 s12, 0
	s_cbranch_scc1 .LBB79_44
; %bb.47:                               ;   in Loop: Header=BB79_46 Depth=4
	s_mov_b64 s[14:15], s[12:13]
	s_mov_b64 s[16:17], 0
	s_lshl_b32 s15, s12, 1
	s_mov_b32 s37, s36
.LBB79_48:                              ;   Parent Loop BB79_3 Depth=1
                                        ;     Parent Loop BB79_33 Depth=2
                                        ;       Parent Loop BB79_36 Depth=3
                                        ;         Parent Loop BB79_46 Depth=4
                                        ; =>        This Inner Loop Header: Depth=5
	s_delay_alu instid0(SALU_CYCLE_1)
	v_mov_b32_e32 v34, s37
	s_lshl_b32 m0, s16, 1
	s_add_nc_u64 s[16:17], s[16:17], 1
	v_movrels_b32_e32 v39, v3
	v_movrels_b32_e32 v38, v2
	ds_load_b64 v[34:35], v34
	s_mov_b32 m0, s15
	s_addk_co_i32 s37, 0x60
	v_movrels_b32_e32 v41, v3
	v_movrels_b32_e32 v40, v2
	s_cmp_eq_u32 s12, s16
	s_wait_dscnt 0x0
	s_delay_alu instid0(VALU_DEP_1) | instskip(NEXT) | instid1(VALU_DEP_1)
	v_fma_f64 v[34:35], -v[38:39], v[34:35], v[40:41]
	v_movreld_b32_e32 v2, v34
	s_delay_alu instid0(VALU_DEP_2)
	v_movreld_b32_e32 v3, v35
	s_cbranch_scc0 .LBB79_48
	s_branch .LBB79_45
.LBB79_49:                              ;   in Loop: Header=BB79_33 Depth=2
	s_cmp_lt_i32 s21, s1
	s_cselect_b32 s13, -1, 0
	s_add_co_i32 s12, s22, 1
	s_cmp_lt_u32 s22, 2
	s_cselect_b32 s14, -1, 0
	s_delay_alu instid0(SALU_CYCLE_1) | instskip(NEXT) | instid1(SALU_CYCLE_1)
	s_and_b32 s13, s13, s14
	s_and_not1_b32 vcc_lo, exec_lo, s13
	s_cbranch_vccnz .LBB79_51
; %bb.50:                               ;   in Loop: Header=BB79_33 Depth=2
	s_wait_xcnt 0x0
	s_mov_b32 s22, s12
	s_branch .LBB79_33
.LBB79_51:                              ;   in Loop: Header=BB79_3 Depth=1
	v_mov_b64_e32 v[64:65], v[32:33]
	v_mov_b64_e32 v[62:63], v[30:31]
	;; [unrolled: 1-line block ×16, first 2 shown]
.LBB79_52:                              ;   in Loop: Header=BB79_3 Depth=1
	s_wait_dscnt 0x0
	; wave barrier
	s_and_saveexec_b32 s12, s18
	s_cbranch_execz .LBB79_2
; %bb.53:                               ;   in Loop: Header=BB79_3 Depth=1
	v_mov_b32_e32 v2, v74
	s_mov_b32 s13, s1
.LBB79_54:                              ;   Parent Loop BB79_3 Depth=1
                                        ; =>  This Inner Loop Header: Depth=2
	ds_load_b64 v[4:5], v2
	v_add_nc_u32_e32 v2, 0x60, v2
	s_add_co_i32 s13, s13, -1
	s_delay_alu instid0(SALU_CYCLE_1)
	s_cmp_lg_u32 s13, 0
	s_wait_dscnt 0x0
	global_store_b64 v[70:71], v[4:5], off
	s_wait_xcnt 0x0
	v_add_nc_u64_e32 v[70:71], 8, v[70:71]
	s_cbranch_scc1 .LBB79_54
	s_branch .LBB79_2
.LBB79_55:
	s_sendmsg sendmsg(MSG_DEALLOC_VGPRS)
	s_endpgm
	.section	.rodata,"a",@progbits
	.p2align	6, 0x0
	.amdhsa_kernel _ZL38rocblas_trsm_small_left_device_sharedBILi12ELi12ELb1EddPKdPdEv13rocblas_fill_18rocblas_operation_17rocblas_diagonal_iiT3_T4_lilT5_lili
		.amdhsa_group_segment_fixed_size 2304
		.amdhsa_private_segment_fixed_size 0
		.amdhsa_kernarg_size 360
		.amdhsa_user_sgpr_count 2
		.amdhsa_user_sgpr_dispatch_ptr 0
		.amdhsa_user_sgpr_queue_ptr 0
		.amdhsa_user_sgpr_kernarg_segment_ptr 1
		.amdhsa_user_sgpr_dispatch_id 0
		.amdhsa_user_sgpr_kernarg_preload_length 0
		.amdhsa_user_sgpr_kernarg_preload_offset 0
		.amdhsa_user_sgpr_private_segment_size 0
		.amdhsa_wavefront_size32 1
		.amdhsa_uses_dynamic_stack 0
		.amdhsa_enable_private_segment 0
		.amdhsa_system_sgpr_workgroup_id_x 1
		.amdhsa_system_sgpr_workgroup_id_y 0
		.amdhsa_system_sgpr_workgroup_id_z 1
		.amdhsa_system_sgpr_workgroup_info 0
		.amdhsa_system_vgpr_workitem_id 0
		.amdhsa_next_free_vgpr 80
		.amdhsa_next_free_sgpr 40
		.amdhsa_named_barrier_count 0
		.amdhsa_reserve_vcc 1
		.amdhsa_float_round_mode_32 0
		.amdhsa_float_round_mode_16_64 0
		.amdhsa_float_denorm_mode_32 3
		.amdhsa_float_denorm_mode_16_64 3
		.amdhsa_fp16_overflow 0
		.amdhsa_memory_ordered 1
		.amdhsa_forward_progress 1
		.amdhsa_inst_pref_size 19
		.amdhsa_round_robin_scheduling 0
		.amdhsa_exception_fp_ieee_invalid_op 0
		.amdhsa_exception_fp_denorm_src 0
		.amdhsa_exception_fp_ieee_div_zero 0
		.amdhsa_exception_fp_ieee_overflow 0
		.amdhsa_exception_fp_ieee_underflow 0
		.amdhsa_exception_fp_ieee_inexact 0
		.amdhsa_exception_int_div_zero 0
	.end_amdhsa_kernel
	.section	.text._ZL38rocblas_trsm_small_left_device_sharedBILi12ELi12ELb1EddPKdPdEv13rocblas_fill_18rocblas_operation_17rocblas_diagonal_iiT3_T4_lilT5_lili,"axG",@progbits,_ZL38rocblas_trsm_small_left_device_sharedBILi12ELi12ELb1EddPKdPdEv13rocblas_fill_18rocblas_operation_17rocblas_diagonal_iiT3_T4_lilT5_lili,comdat
.Lfunc_end79:
	.size	_ZL38rocblas_trsm_small_left_device_sharedBILi12ELi12ELb1EddPKdPdEv13rocblas_fill_18rocblas_operation_17rocblas_diagonal_iiT3_T4_lilT5_lili, .Lfunc_end79-_ZL38rocblas_trsm_small_left_device_sharedBILi12ELi12ELb1EddPKdPdEv13rocblas_fill_18rocblas_operation_17rocblas_diagonal_iiT3_T4_lilT5_lili
                                        ; -- End function
	.set _ZL38rocblas_trsm_small_left_device_sharedBILi12ELi12ELb1EddPKdPdEv13rocblas_fill_18rocblas_operation_17rocblas_diagonal_iiT3_T4_lilT5_lili.num_vgpr, 80
	.set _ZL38rocblas_trsm_small_left_device_sharedBILi12ELi12ELb1EddPKdPdEv13rocblas_fill_18rocblas_operation_17rocblas_diagonal_iiT3_T4_lilT5_lili.num_agpr, 0
	.set _ZL38rocblas_trsm_small_left_device_sharedBILi12ELi12ELb1EddPKdPdEv13rocblas_fill_18rocblas_operation_17rocblas_diagonal_iiT3_T4_lilT5_lili.numbered_sgpr, 40
	.set _ZL38rocblas_trsm_small_left_device_sharedBILi12ELi12ELb1EddPKdPdEv13rocblas_fill_18rocblas_operation_17rocblas_diagonal_iiT3_T4_lilT5_lili.num_named_barrier, 0
	.set _ZL38rocblas_trsm_small_left_device_sharedBILi12ELi12ELb1EddPKdPdEv13rocblas_fill_18rocblas_operation_17rocblas_diagonal_iiT3_T4_lilT5_lili.private_seg_size, 0
	.set _ZL38rocblas_trsm_small_left_device_sharedBILi12ELi12ELb1EddPKdPdEv13rocblas_fill_18rocblas_operation_17rocblas_diagonal_iiT3_T4_lilT5_lili.uses_vcc, 1
	.set _ZL38rocblas_trsm_small_left_device_sharedBILi12ELi12ELb1EddPKdPdEv13rocblas_fill_18rocblas_operation_17rocblas_diagonal_iiT3_T4_lilT5_lili.uses_flat_scratch, 0
	.set _ZL38rocblas_trsm_small_left_device_sharedBILi12ELi12ELb1EddPKdPdEv13rocblas_fill_18rocblas_operation_17rocblas_diagonal_iiT3_T4_lilT5_lili.has_dyn_sized_stack, 0
	.set _ZL38rocblas_trsm_small_left_device_sharedBILi12ELi12ELb1EddPKdPdEv13rocblas_fill_18rocblas_operation_17rocblas_diagonal_iiT3_T4_lilT5_lili.has_recursion, 0
	.set _ZL38rocblas_trsm_small_left_device_sharedBILi12ELi12ELb1EddPKdPdEv13rocblas_fill_18rocblas_operation_17rocblas_diagonal_iiT3_T4_lilT5_lili.has_indirect_call, 0
	.section	.AMDGPU.csdata,"",@progbits
; Kernel info:
; codeLenInByte = 2344
; TotalNumSgprs: 42
; NumVgprs: 80
; ScratchSize: 0
; MemoryBound: 0
; FloatMode: 240
; IeeeMode: 1
; LDSByteSize: 2304 bytes/workgroup (compile time only)
; SGPRBlocks: 0
; VGPRBlocks: 4
; NumSGPRsForWavesPerEU: 42
; NumVGPRsForWavesPerEU: 80
; NamedBarCnt: 0
; Occupancy: 12
; WaveLimiterHint : 0
; COMPUTE_PGM_RSRC2:SCRATCH_EN: 0
; COMPUTE_PGM_RSRC2:USER_SGPR: 2
; COMPUTE_PGM_RSRC2:TRAP_HANDLER: 0
; COMPUTE_PGM_RSRC2:TGID_X_EN: 1
; COMPUTE_PGM_RSRC2:TGID_Y_EN: 0
; COMPUTE_PGM_RSRC2:TGID_Z_EN: 1
; COMPUTE_PGM_RSRC2:TIDIG_COMP_CNT: 0
	.section	.text._ZL30rocblas_trsm_small_left_deviceILi12ELi12ELb1EddPKdPdEv13rocblas_fill_18rocblas_operation_17rocblas_diagonal_iiT3_T4_lilT5_lili,"axG",@progbits,_ZL30rocblas_trsm_small_left_deviceILi12ELi12ELb1EddPKdPdEv13rocblas_fill_18rocblas_operation_17rocblas_diagonal_iiT3_T4_lilT5_lili,comdat
	.globl	_ZL30rocblas_trsm_small_left_deviceILi12ELi12ELb1EddPKdPdEv13rocblas_fill_18rocblas_operation_17rocblas_diagonal_iiT3_T4_lilT5_lili ; -- Begin function _ZL30rocblas_trsm_small_left_deviceILi12ELi12ELb1EddPKdPdEv13rocblas_fill_18rocblas_operation_17rocblas_diagonal_iiT3_T4_lilT5_lili
	.p2align	8
	.type	_ZL30rocblas_trsm_small_left_deviceILi12ELi12ELb1EddPKdPdEv13rocblas_fill_18rocblas_operation_17rocblas_diagonal_iiT3_T4_lilT5_lili,@function
_ZL30rocblas_trsm_small_left_deviceILi12ELi12ELb1EddPKdPdEv13rocblas_fill_18rocblas_operation_17rocblas_diagonal_iiT3_T4_lilT5_lili: ; @_ZL30rocblas_trsm_small_left_deviceILi12ELi12ELb1EddPKdPdEv13rocblas_fill_18rocblas_operation_17rocblas_diagonal_iiT3_T4_lilT5_lili
; %bb.0:
	s_load_b32 s30, s[0:1], 0x60
	s_bfe_u32 s2, ttmp6, 0x40014
	s_lshr_b32 s4, ttmp7, 16
	s_add_co_i32 s2, s2, 1
	s_bfe_u32 s5, ttmp6, 0x40008
	s_mul_i32 s2, s4, s2
	s_getreg_b32 s3, hwreg(HW_REG_IB_STS2, 6, 4)
	s_add_co_i32 s5, s5, s2
	s_cmp_eq_u32 s3, 0
	s_mov_b32 s19, 0
	s_cselect_b32 s2, s4, s5
	s_wait_kmcnt 0x0
	s_cmp_ge_u32 s2, s30
	s_cbranch_scc1 .LBB80_52
; %bb.1:
	s_clause 0x4
	s_load_b96 s[16:18], s[0:1], 0x28
	s_load_b96 s[20:22], s[0:1], 0x48
	s_load_b128 s[8:11], s[0:1], 0x4
	s_load_b32 s28, s[0:1], 0x68
	s_load_b64 s[24:25], s[0:1], 0x58
	s_bfe_u32 s12, ttmp6, 0x4000c
	s_and_b32 s23, ttmp6, 15
	s_add_co_i32 s12, s12, 1
	s_load_b128 s[4:7], s[0:1], 0x18
	s_mul_i32 s26, ttmp9, s12
	s_load_b128 s[12:15], s[0:1], 0x38
	s_wait_xcnt 0x0
	s_add_co_i32 s0, s23, s26
	v_dual_mov_b32 v67, 0 :: v_dual_lshlrev_b32 v66, 3, v0
	v_mul_u32_u24_e32 v28, 0x60, v0
	s_mov_b32 s37, 0
	s_delay_alu instid0(VALU_DEP_2)
	v_dual_mov_b32 v2, v67 :: v_dual_mov_b32 v3, v67
	v_dual_mov_b32 v4, v67 :: v_dual_mov_b32 v5, v67
	s_wait_kmcnt 0x0
	s_ashr_i32 s23, s18, 31
	s_min_i32 s31, s10, 12
	s_ashr_i32 s1, s22, 31
	s_lshl_b64 s[26:27], s[20:21], 3
	s_add_co_i32 s28, s28, -1
	s_add_co_i32 s33, s31, -1
	s_cmp_eq_u32 s3, 0
	v_dual_mov_b32 v6, v67 :: v_dual_mov_b32 v7, v67
	s_cselect_b32 s3, ttmp9, s0
	s_mov_b32 s0, s22
	v_mad_u32 v14, s3, 12, v0
	s_add_nc_u64 s[14:15], s[14:15], s[26:27]
	v_dual_mov_b32 v8, v67 :: v_dual_mov_b32 v9, v67
	v_dual_mov_b32 v11, v67 :: v_dual_mov_b32 v12, v67
	;; [unrolled: 1-line block ×5, first 2 shown]
	v_dual_mov_b32 v16, v67 :: v_dual_ashrrev_i32 v15, 31, v14
	v_dual_mov_b32 v21, v67 :: v_dual_mov_b32 v22, v67
	v_dual_mov_b32 v23, v67 :: v_dual_mov_b32 v24, v67
	s_delay_alu instid0(VALU_DEP_3)
	v_mul_u64_e32 v[26:27], s[0:1], v[14:15]
	s_mul_i32 s0, s3, -12
	v_mov_b32_e32 v14, v67
	s_add_co_i32 s0, s11, s0
	s_cmp_ge_u32 s3, s28
	v_mov_b32_e32 v15, v67
	s_cselect_b32 s1, s0, 12
	s_cmp_lg_u32 s9, 0x84
	v_cmp_gt_i32_e64 s0, s31, v0
	s_cselect_b32 s34, -1, 0
	s_cmp_lg_u32 s8, 0x6f
	v_cmp_gt_i32_e64 s1, s1, v0
	s_cselect_b32 s35, -1, 0
	s_lshl_b64 s[16:17], s[16:17], 3
	v_mov_b32_e32 v25, v67
	s_add_nc_u64 s[6:7], s[6:7], s[16:17]
	s_mov_b32 s22, s18
	v_add_nc_u64_e32 v[0:1], s[6:7], v[66:67]
	v_add_nc_u32_e32 v67, v66, v28
	s_lshl_b32 s36, s31, 3
	s_lshl_b64 s[8:9], s[12:13], 3
	s_lshl_b64 s[10:11], s[22:23], 3
	s_lshl_b64 s[6:7], s[24:25], 3
	s_add_co_i32 s36, s36, -8
	s_get_pc_i64 s[20:21]
	s_add_nc_u64 s[20:21], s[20:21], __const._ZL30rocblas_trsm_small_left_deviceILi12ELi12ELb1EddPKdPdEv13rocblas_fill_18rocblas_operation_17rocblas_diagonal_iiT3_T4_lilT5_lili.step_sizes@rel64+4
	v_lshl_add_u64 v[68:69], v[26:27], 3, s[14:15]
	s_branch .LBB80_5
.LBB80_2:                               ;   in Loop: Header=BB80_5 Depth=1
	s_wait_xcnt 0x0
	v_mov_b64_e32 v[64:65], v[32:33]
	v_mov_b64_e32 v[62:63], v[30:31]
	;; [unrolled: 1-line block ×16, first 2 shown]
.LBB80_3:                               ;   in Loop: Header=BB80_5 Depth=1
	s_add_co_i32 s2, s2, 0x10000
	s_delay_alu instid0(SALU_CYCLE_1) | instskip(SKIP_1) | instid1(SALU_CYCLE_1)
	s_cmp_ge_u32 s2, s30
	s_cselect_b32 s3, -1, 0
	s_or_not1_b32 s12, s3, exec_lo
.LBB80_4:                               ;   in Loop: Header=BB80_5 Depth=1
	s_wait_xcnt 0x0
	s_or_b32 exec_lo, exec_lo, s38
	v_mov_b64_e32 v[2:3], v[34:35]
	v_mov_b64_e32 v[4:5], v[36:37]
	;; [unrolled: 1-line block ×16, first 2 shown]
	s_and_b32 s3, exec_lo, s12
	s_delay_alu instid0(SALU_CYCLE_1) | instskip(NEXT) | instid1(SALU_CYCLE_1)
	s_or_b32 s37, s3, s37
	s_and_not1_b32 exec_lo, exec_lo, s37
	s_cbranch_execz .LBB80_52
.LBB80_5:                               ; =>This Loop Header: Depth=1
                                        ;     Child Loop BB80_7 Depth 2
                                        ;     Child Loop BB80_16 Depth 2
                                        ;       Child Loop BB80_17 Depth 3
                                        ;       Child Loop BB80_19 Depth 3
                                        ;         Child Loop BB80_20 Depth 4
                                        ;       Child Loop BB80_25 Depth 3
                                        ;         Child Loop BB80_27 Depth 4
                                        ;     Child Loop BB80_29 Depth 2
                                        ;     Child Loop BB80_34 Depth 2
                                        ;       Child Loop BB80_37 Depth 3
                                        ;         Child Loop BB80_38 Depth 4
                                        ;         Child Loop BB80_41 Depth 4
                                        ;           Child Loop BB80_42 Depth 5
                                        ;         Child Loop BB80_47 Depth 4
                                        ;           Child Loop BB80_49 Depth 5
	s_mov_b32 s3, s19
	s_and_saveexec_b32 s12, s0
	s_cbranch_execz .LBB80_11
; %bb.6:                                ;   in Loop: Header=BB80_5 Depth=1
	v_mad_nc_u64_u32 v[34:35], s8, s2, v[0:1]
	v_mov_b32_e32 v36, v66
	s_mov_b32 s13, s31
	s_delay_alu instid0(VALU_DEP_2)
	v_mad_u32 v35, s9, s2, v35
.LBB80_7:                               ;   Parent Loop BB80_5 Depth=1
                                        ; =>  This Inner Loop Header: Depth=2
	global_load_b64 v[38:39], v[34:35], off
	s_wait_xcnt 0x0
	v_add_nc_u64_e32 v[34:35], s[10:11], v[34:35]
	s_add_co_i32 s13, s13, -1
	s_delay_alu instid0(SALU_CYCLE_1)
	s_cmp_eq_u32 s13, 0
	s_wait_loadcnt 0x0
	ds_store_b64 v36, v[38:39]
	v_add_nc_u32_e32 v36, 0x60, v36
	s_cbranch_scc0 .LBB80_7
; %bb.8:                                ;   in Loop: Header=BB80_5 Depth=1
	v_mov_b64_e32 v[34:35], 1.0
	s_and_b32 vcc_lo, exec_lo, s34
	s_cbranch_vccz .LBB80_10
; %bb.9:                                ;   in Loop: Header=BB80_5 Depth=1
	ds_load_b64 v[34:35], v67
	s_wait_dscnt 0x0
	v_div_scale_f64 v[36:37], null, v[34:35], v[34:35], 1.0
	s_delay_alu instid0(VALU_DEP_1) | instskip(SKIP_1) | instid1(TRANS32_DEP_1)
	v_rcp_f64_e32 v[38:39], v[36:37]
	v_nop
	v_fma_f64 v[40:41], -v[36:37], v[38:39], 1.0
	s_delay_alu instid0(VALU_DEP_1) | instskip(NEXT) | instid1(VALU_DEP_1)
	v_fmac_f64_e32 v[38:39], v[38:39], v[40:41]
	v_fma_f64 v[40:41], -v[36:37], v[38:39], 1.0
	s_delay_alu instid0(VALU_DEP_1) | instskip(SKIP_1) | instid1(VALU_DEP_1)
	v_fmac_f64_e32 v[38:39], v[38:39], v[40:41]
	v_div_scale_f64 v[40:41], vcc_lo, 1.0, v[34:35], 1.0
	v_mul_f64_e32 v[42:43], v[40:41], v[38:39]
	s_delay_alu instid0(VALU_DEP_1) | instskip(NEXT) | instid1(VALU_DEP_1)
	v_fma_f64 v[36:37], -v[36:37], v[42:43], v[40:41]
	v_div_fmas_f64 v[36:37], v[36:37], v[38:39], v[42:43]
	s_delay_alu instid0(VALU_DEP_1)
	v_div_fixup_f64 v[34:35], v[36:37], v[34:35], 1.0
.LBB80_10:                              ;   in Loop: Header=BB80_5 Depth=1
	ds_store_b64 v67, v[34:35]
.LBB80_11:                              ;   in Loop: Header=BB80_5 Depth=1
	s_or_b32 exec_lo, exec_lo, s12
	s_mov_b32 s12, -1
	s_wait_dscnt 0x0
	; wave barrier
                                        ; implicit-def: $vgpr34_vgpr35_vgpr36_vgpr37_vgpr38_vgpr39_vgpr40_vgpr41_vgpr42_vgpr43_vgpr44_vgpr45_vgpr46_vgpr47_vgpr48_vgpr49_vgpr50_vgpr51_vgpr52_vgpr53_vgpr54_vgpr55_vgpr56_vgpr57_vgpr58_vgpr59_vgpr60_vgpr61_vgpr62_vgpr63_vgpr64_vgpr65
	s_and_saveexec_b32 s38, s1
	s_cbranch_execz .LBB80_4
; %bb.12:                               ;   in Loop: Header=BB80_5 Depth=1
	s_mul_u64 s[12:13], s[24:25], s[2:3]
	s_and_not1_b32 vcc_lo, exec_lo, s35
	v_lshl_add_u64 v[70:71], s[12:13], 3, v[68:69]
	s_mul_u64 s[12:13], s[6:7], s[2:3]
	s_mov_b32 s3, -1
                                        ; implicit-def: $vgpr34_vgpr35_vgpr36_vgpr37_vgpr38_vgpr39_vgpr40_vgpr41_vgpr42_vgpr43_vgpr44_vgpr45_vgpr46_vgpr47_vgpr48_vgpr49_vgpr50_vgpr51_vgpr52_vgpr53_vgpr54_vgpr55_vgpr56_vgpr57_vgpr58_vgpr59_vgpr60_vgpr61_vgpr62_vgpr63_vgpr64_vgpr65
	s_cbranch_vccnz .LBB80_32
; %bb.13:                               ;   in Loop: Header=BB80_5 Depth=1
	v_mov_b64_e32 v[64:65], v[32:33]
	v_mov_b64_e32 v[62:63], v[30:31]
	;; [unrolled: 1-line block ×16, first 2 shown]
	s_mov_b32 s3, 0
	s_mov_b32 s14, s33
	s_load_b32 s18, s[20:21], s3 offset:0x0 scale_offset
	s_wait_kmcnt 0x0
	s_add_co_i32 s39, s18, -1
	s_delay_alu instid0(SALU_CYCLE_1)
	s_cmp_lt_i32 s14, s39
	s_cbranch_scc1 .LBB80_29
.LBB80_14:                              ;   in Loop: Header=BB80_5 Depth=1
	s_mul_i32 s15, s14, 0x60
	s_max_i32 s40, s18, 1
	s_add_co_i32 s41, s36, s15
	s_mul_i32 s42, s18, 0xffffffa0
	s_mul_i32 s43, s14, 0x68
	;; [unrolled: 1-line block ×3, first 2 shown]
	s_branch .LBB80_16
.LBB80_15:                              ;   in Loop: Header=BB80_16 Depth=2
	s_sub_co_i32 s14, s14, s18
	s_add_co_i32 s41, s41, s42
	s_add_co_i32 s43, s43, s44
	s_cmp_lt_i32 s14, s39
	s_cbranch_scc1 .LBB80_29
.LBB80_16:                              ;   Parent Loop BB80_5 Depth=1
                                        ; =>  This Loop Header: Depth=2
                                        ;       Child Loop BB80_17 Depth 3
                                        ;       Child Loop BB80_19 Depth 3
                                        ;         Child Loop BB80_20 Depth 4
                                        ;       Child Loop BB80_25 Depth 3
                                        ;         Child Loop BB80_27 Depth 4
	s_wait_xcnt 0x0
	v_add_nc_u64_e32 v[72:73], s[12:13], v[68:69]
	s_ashr_i32 s15, s14, 31
	s_mov_b64 s[16:17], 0
	s_delay_alu instid0(VALU_DEP_1)
	v_lshl_add_u64 v[72:73], s[14:15], 3, v[72:73]
.LBB80_17:                              ;   Parent Loop BB80_5 Depth=1
                                        ;     Parent Loop BB80_16 Depth=2
                                        ; =>    This Inner Loop Header: Depth=3
	global_load_b64 v[74:75], v[72:73], off
	s_wait_xcnt 0x0
	v_add_nc_u64_e32 v[72:73], -8, v[72:73]
	s_lshl_b32 m0, s16, 1
	s_add_nc_u64 s[16:17], s[16:17], 1
	s_delay_alu instid0(SALU_CYCLE_1) | instskip(SKIP_2) | instid1(VALU_DEP_1)
	s_cmp_eq_u32 s40, s16
	s_wait_loadcnt 0x0
	v_mul_f64_e32 v[74:75], s[4:5], v[74:75]
	v_movreld_b32_e32 v34, v74
	s_delay_alu instid0(VALU_DEP_2)
	v_movreld_b32_e32 v35, v75
	s_cbranch_scc0 .LBB80_17
; %bb.18:                               ;   in Loop: Header=BB80_16 Depth=2
	s_cmp_le_i32 s33, s14
	s_mov_b32 s26, s41
	s_mov_b32 s16, s33
	s_cbranch_scc1 .LBB80_22
.LBB80_19:                              ;   Parent Loop BB80_5 Depth=1
                                        ;     Parent Loop BB80_16 Depth=2
                                        ; =>    This Loop Header: Depth=3
                                        ;         Child Loop BB80_20 Depth 4
	s_ashr_i32 s17, s16, 31
	s_mov_b64 s[22:23], 0
	s_wait_xcnt 0x0
	v_lshl_add_u64 v[72:73], s[16:17], 3, v[70:71]
	s_mov_b32 s17, s26
	global_load_b64 v[72:73], v[72:73], off
.LBB80_20:                              ;   Parent Loop BB80_5 Depth=1
                                        ;     Parent Loop BB80_16 Depth=2
                                        ;       Parent Loop BB80_19 Depth=3
                                        ; =>      This Inner Loop Header: Depth=4
	v_mov_b32_e32 v74, s17
	s_lshl_b32 m0, s22, 1
	s_add_nc_u64 s[22:23], s[22:23], 1
	v_movrels_b32_e32 v77, v35
	v_movrels_b32_e32 v76, v34
	ds_load_b64 v[74:75], v74
	s_addk_co_i32 s17, 0xffa0
	s_cmp_eq_u32 s40, s22
	s_wait_loadcnt_dscnt 0x0
	v_fma_f64 v[74:75], -v[72:73], v[74:75], v[76:77]
	s_delay_alu instid0(VALU_DEP_1) | instskip(NEXT) | instid1(VALU_DEP_2)
	v_movreld_b32_e32 v34, v74
	v_movreld_b32_e32 v35, v75
	s_cbranch_scc0 .LBB80_20
; %bb.21:                               ;   in Loop: Header=BB80_19 Depth=3
	s_add_co_i32 s16, s16, -1
	s_add_co_i32 s26, s26, -8
	s_cmp_le_i32 s16, s14
	s_cbranch_scc0 .LBB80_19
.LBB80_22:                              ;   in Loop: Header=BB80_16 Depth=2
	s_mov_b64 s[16:17], 0
	s_mov_b32 s45, s43
	s_branch .LBB80_25
.LBB80_23:                              ;   in Loop: Header=BB80_25 Depth=3
	s_mov_b32 s28, s14
	s_mov_b64 s[22:23], 0
	s_mov_b64 s[26:27], s[14:15]
.LBB80_24:                              ;   in Loop: Header=BB80_25 Depth=3
	s_mul_i32 s23, s28, 0x68
	s_lshl_b32 m0, s22, 1
	s_wait_xcnt 0x0
	v_mov_b32_e32 v72, s23
	v_movrels_b32_e32 v75, v35
	v_movrels_b32_e32 v74, v34
	s_add_nc_u64 s[16:17], s[16:17], 1
	s_addk_co_i32 s45, 0xffa0
	ds_load_b64 v[72:73], v72
	s_cmp_eq_u32 s16, s40
	s_wait_dscnt 0x0
	v_mul_f64_e32 v[72:73], v[74:75], v[72:73]
	v_lshl_add_u64 v[74:75], s[26:27], 3, v[70:71]
	s_delay_alu instid0(VALU_DEP_2) | instskip(NEXT) | instid1(VALU_DEP_3)
	v_movreld_b32_e32 v34, v72
	v_movreld_b32_e32 v35, v73
	global_store_b64 v[74:75], v[72:73], off
	s_cbranch_scc1 .LBB80_15
.LBB80_25:                              ;   Parent Loop BB80_5 Depth=1
                                        ;     Parent Loop BB80_16 Depth=2
                                        ; =>    This Loop Header: Depth=3
                                        ;         Child Loop BB80_27 Depth 4
	s_cmp_eq_u32 s16, 0
	s_cbranch_scc1 .LBB80_23
; %bb.26:                               ;   in Loop: Header=BB80_25 Depth=3
	s_mov_b64 s[22:23], s[16:17]
	s_mov_b64 s[26:27], 0
	s_lshl_b32 s23, s16, 1
	s_mov_b32 s28, s45
.LBB80_27:                              ;   Parent Loop BB80_5 Depth=1
                                        ;     Parent Loop BB80_16 Depth=2
                                        ;       Parent Loop BB80_25 Depth=3
                                        ; =>      This Inner Loop Header: Depth=4
	s_wait_xcnt 0x0
	v_mov_b32_e32 v72, s28
	s_lshl_b32 m0, s26, 1
	s_add_nc_u64 s[26:27], s[26:27], 1
	v_movrels_b32_e32 v75, v35
	v_movrels_b32_e32 v74, v34
	ds_load_b64 v[72:73], v72
	s_mov_b32 m0, s23
	s_add_co_i32 s28, s28, -8
	v_movrels_b32_e32 v77, v35
	v_movrels_b32_e32 v76, v34
	s_cmp_eq_u32 s16, s26
	s_wait_dscnt 0x0
	s_delay_alu instid0(VALU_DEP_1) | instskip(NEXT) | instid1(VALU_DEP_1)
	v_fma_f64 v[72:73], -v[74:75], v[72:73], v[76:77]
	v_movreld_b32_e32 v34, v72
	s_delay_alu instid0(VALU_DEP_2)
	v_movreld_b32_e32 v35, v73
	s_cbranch_scc0 .LBB80_27
; %bb.28:                               ;   in Loop: Header=BB80_25 Depth=3
	s_sub_co_i32 s28, s14, s16
	s_delay_alu instid0(SALU_CYCLE_1) | instskip(NEXT) | instid1(SALU_CYCLE_1)
	s_ashr_i32 s29, s28, 31
	s_mov_b64 s[26:27], s[28:29]
	s_branch .LBB80_24
.LBB80_29:                              ;   Parent Loop BB80_5 Depth=1
                                        ; =>  This Inner Loop Header: Depth=2
	s_cmp_gt_i32 s14, -1
	s_cselect_b32 s16, -1, 0
	s_add_co_i32 s15, s3, 1
	s_cmp_lt_u32 s3, 2
	s_wait_xcnt 0x0
	s_cselect_b32 s3, -1, 0
	s_delay_alu instid0(SALU_CYCLE_1) | instskip(NEXT) | instid1(SALU_CYCLE_1)
	s_and_b32 s3, s16, s3
	s_and_b32 vcc_lo, exec_lo, s3
	s_cbranch_vccz .LBB80_31
; %bb.30:                               ;   in Loop: Header=BB80_29 Depth=2
	s_mov_b32 s3, s15
	s_load_b32 s18, s[20:21], s3 offset:0x0 scale_offset
	s_wait_kmcnt 0x0
	s_add_co_i32 s39, s18, -1
	s_delay_alu instid0(SALU_CYCLE_1)
	s_cmp_lt_i32 s14, s39
	s_cbranch_scc0 .LBB80_14
	s_branch .LBB80_29
.LBB80_31:                              ;   in Loop: Header=BB80_5 Depth=1
	s_mov_b32 s3, 0
.LBB80_32:                              ;   in Loop: Header=BB80_5 Depth=1
	s_delay_alu instid0(SALU_CYCLE_1)
	s_and_b32 vcc_lo, exec_lo, s3
	s_cbranch_vccz .LBB80_3
; %bb.33:                               ;   in Loop: Header=BB80_5 Depth=1
	v_add_nc_u64_e32 v[34:35], s[12:13], v[68:69]
	s_mov_b32 s12, 0
	s_mov_b32 s3, 0
.LBB80_34:                              ;   Parent Loop BB80_5 Depth=1
                                        ; =>  This Loop Header: Depth=2
                                        ;       Child Loop BB80_37 Depth 3
                                        ;         Child Loop BB80_38 Depth 4
                                        ;         Child Loop BB80_41 Depth 4
                                        ;           Child Loop BB80_42 Depth 5
                                        ;         Child Loop BB80_47 Depth 4
                                        ;           Child Loop BB80_49 Depth 5
	s_load_b32 s14, s[20:21], s3 offset:0x0 scale_offset
	s_wait_kmcnt 0x0
	s_add_co_i32 s39, s14, -1
	s_delay_alu instid0(SALU_CYCLE_1) | instskip(NEXT) | instid1(SALU_CYCLE_1)
	s_add_co_i32 s13, s39, s12
	s_cmp_ge_i32 s13, s31
	s_cbranch_scc1 .LBB80_50
; %bb.35:                               ;   in Loop: Header=BB80_34 Depth=2
	s_ashr_i32 s13, s12, 31
	s_ashr_i32 s15, s14, 31
	v_lshl_add_u64 v[36:37], s[12:13], 3, v[34:35]
	s_max_i32 s40, s14, 1
	s_lshl_b64 s[16:17], s[14:15], 3
	s_lshl_b32 s13, s12, 3
	s_lshl_b32 s15, s14, 3
	s_mul_i32 s41, s12, 0x68
	s_mul_i32 s42, s14, 0x68
	s_branch .LBB80_37
.LBB80_36:                              ;   in Loop: Header=BB80_37 Depth=3
	v_add_nc_u64_e32 v[36:37], s[16:17], v[36:37]
	s_add_co_i32 s12, s12, s14
	s_add_co_i32 s13, s13, s15
	s_add_co_i32 s18, s39, s12
	s_add_co_i32 s41, s41, s42
	s_cmp_ge_i32 s18, s31
	s_cbranch_scc1 .LBB80_50
.LBB80_37:                              ;   Parent Loop BB80_5 Depth=1
                                        ;     Parent Loop BB80_34 Depth=2
                                        ; =>    This Loop Header: Depth=3
                                        ;         Child Loop BB80_38 Depth 4
                                        ;         Child Loop BB80_41 Depth 4
                                        ;           Child Loop BB80_42 Depth 5
                                        ;         Child Loop BB80_47 Depth 4
                                        ;           Child Loop BB80_49 Depth 5
	s_wait_xcnt 0x0
	v_mov_b64_e32 v[38:39], v[36:37]
	s_mov_b64 s[22:23], 0
.LBB80_38:                              ;   Parent Loop BB80_5 Depth=1
                                        ;     Parent Loop BB80_34 Depth=2
                                        ;       Parent Loop BB80_37 Depth=3
                                        ; =>      This Inner Loop Header: Depth=4
	global_load_b64 v[40:41], v[38:39], off
	s_wait_xcnt 0x0
	v_add_nc_u64_e32 v[38:39], 8, v[38:39]
	s_lshl_b32 m0, s22, 1
	s_add_nc_u64 s[22:23], s[22:23], 1
	s_delay_alu instid0(SALU_CYCLE_1) | instskip(SKIP_2) | instid1(VALU_DEP_1)
	s_cmp_eq_u32 s40, s22
	s_wait_loadcnt 0x0
	v_mul_f64_e32 v[40:41], s[4:5], v[40:41]
	v_movreld_b32_e32 v2, v40
	s_delay_alu instid0(VALU_DEP_2)
	v_movreld_b32_e32 v3, v41
	s_cbranch_scc0 .LBB80_38
; %bb.39:                               ;   in Loop: Header=BB80_37 Depth=3
	s_cmp_lt_i32 s12, 1
	s_cbranch_scc1 .LBB80_44
; %bb.40:                               ;   in Loop: Header=BB80_37 Depth=3
	s_mov_b32 s18, 0
	s_mov_b32 s26, s13
.LBB80_41:                              ;   Parent Loop BB80_5 Depth=1
                                        ;     Parent Loop BB80_34 Depth=2
                                        ;       Parent Loop BB80_37 Depth=3
                                        ; =>      This Loop Header: Depth=4
                                        ;           Child Loop BB80_42 Depth 5
	s_wait_xcnt 0x0
	v_lshl_add_u64 v[38:39], s[18:19], 3, v[70:71]
	s_mov_b64 s[22:23], 0
	s_mov_b32 s27, s26
	global_load_b64 v[38:39], v[38:39], off
.LBB80_42:                              ;   Parent Loop BB80_5 Depth=1
                                        ;     Parent Loop BB80_34 Depth=2
                                        ;       Parent Loop BB80_37 Depth=3
                                        ;         Parent Loop BB80_41 Depth=4
                                        ; =>        This Inner Loop Header: Depth=5
	v_mov_b32_e32 v40, s27
	s_lshl_b32 m0, s22, 1
	s_add_nc_u64 s[22:23], s[22:23], 1
	v_movrels_b32_e32 v43, v3
	v_movrels_b32_e32 v42, v2
	ds_load_b64 v[40:41], v40
	s_add_co_i32 s27, s27, 8
	s_cmp_eq_u32 s40, s22
	s_wait_loadcnt_dscnt 0x0
	v_fma_f64 v[40:41], -v[38:39], v[40:41], v[42:43]
	s_delay_alu instid0(VALU_DEP_1) | instskip(NEXT) | instid1(VALU_DEP_2)
	v_movreld_b32_e32 v2, v40
	v_movreld_b32_e32 v3, v41
	s_cbranch_scc0 .LBB80_42
; %bb.43:                               ;   in Loop: Header=BB80_41 Depth=4
	s_add_co_i32 s18, s18, 1
	s_addk_co_i32 s26, 0x60
	s_cmp_eq_u32 s18, s12
	s_cbranch_scc0 .LBB80_41
.LBB80_44:                              ;   in Loop: Header=BB80_37 Depth=3
	s_mov_b64 s[22:23], 0
	s_mov_b32 s18, s41
	s_branch .LBB80_47
.LBB80_45:                              ;   in Loop: Header=BB80_47 Depth=4
	s_mov_b64 s[26:27], 0
.LBB80_46:                              ;   in Loop: Header=BB80_47 Depth=4
	s_add_co_i32 s28, s22, s12
	s_lshl_b32 m0, s26, 1
	s_mul_i32 s27, s28, 0x68
	s_wait_xcnt 0x0
	v_movrels_b32_e32 v41, v3
	s_wait_xcnt 0x0
	v_mov_b32_e32 v38, s27
	v_movrels_b32_e32 v40, v2
	s_ashr_i32 s29, s28, 31
	s_add_nc_u64 s[22:23], s[22:23], 1
	s_add_co_i32 s18, s18, 8
	ds_load_b64 v[38:39], v38
	s_cmp_eq_u32 s22, s40
	s_wait_dscnt 0x0
	v_mul_f64_e32 v[38:39], v[40:41], v[38:39]
	v_lshl_add_u64 v[40:41], s[28:29], 3, v[70:71]
	s_delay_alu instid0(VALU_DEP_2) | instskip(NEXT) | instid1(VALU_DEP_3)
	v_movreld_b32_e32 v2, v38
	v_movreld_b32_e32 v3, v39
	global_store_b64 v[40:41], v[38:39], off
	s_cbranch_scc1 .LBB80_36
.LBB80_47:                              ;   Parent Loop BB80_5 Depth=1
                                        ;     Parent Loop BB80_34 Depth=2
                                        ;       Parent Loop BB80_37 Depth=3
                                        ; =>      This Loop Header: Depth=4
                                        ;           Child Loop BB80_49 Depth 5
	s_cmp_eq_u32 s22, 0
	s_cbranch_scc1 .LBB80_45
; %bb.48:                               ;   in Loop: Header=BB80_47 Depth=4
	s_mov_b64 s[26:27], s[22:23]
	s_mov_b64 s[28:29], 0
	s_lshl_b32 s27, s22, 1
	s_mov_b32 s43, s18
.LBB80_49:                              ;   Parent Loop BB80_5 Depth=1
                                        ;     Parent Loop BB80_34 Depth=2
                                        ;       Parent Loop BB80_37 Depth=3
                                        ;         Parent Loop BB80_47 Depth=4
                                        ; =>        This Inner Loop Header: Depth=5
	s_wait_xcnt 0x0
	v_mov_b32_e32 v38, s43
	s_lshl_b32 m0, s28, 1
	s_add_nc_u64 s[28:29], s[28:29], 1
	v_movrels_b32_e32 v41, v3
	v_movrels_b32_e32 v40, v2
	ds_load_b64 v[38:39], v38
	s_mov_b32 m0, s27
	s_addk_co_i32 s43, 0x60
	v_movrels_b32_e32 v43, v3
	v_movrels_b32_e32 v42, v2
	s_cmp_eq_u32 s22, s28
	s_wait_dscnt 0x0
	s_delay_alu instid0(VALU_DEP_1) | instskip(NEXT) | instid1(VALU_DEP_1)
	v_fma_f64 v[38:39], -v[40:41], v[38:39], v[42:43]
	v_movreld_b32_e32 v2, v38
	s_delay_alu instid0(VALU_DEP_2)
	v_movreld_b32_e32 v3, v39
	s_cbranch_scc0 .LBB80_49
	s_branch .LBB80_46
.LBB80_50:                              ;   in Loop: Header=BB80_34 Depth=2
	s_cmp_lt_i32 s12, s31
	s_cselect_b32 s14, -1, 0
	s_add_co_i32 s13, s3, 1
	s_cmp_lt_u32 s3, 2
	s_wait_xcnt 0x0
	s_cselect_b32 s3, -1, 0
	s_delay_alu instid0(SALU_CYCLE_1) | instskip(NEXT) | instid1(SALU_CYCLE_1)
	s_and_b32 s3, s14, s3
	s_and_not1_b32 vcc_lo, exec_lo, s3
	s_cbranch_vccnz .LBB80_2
; %bb.51:                               ;   in Loop: Header=BB80_34 Depth=2
	s_mov_b32 s3, s13
	s_branch .LBB80_34
.LBB80_52:
	s_sendmsg sendmsg(MSG_DEALLOC_VGPRS)
	s_endpgm
	.section	.rodata,"a",@progbits
	.p2align	6, 0x0
	.amdhsa_kernel _ZL30rocblas_trsm_small_left_deviceILi12ELi12ELb1EddPKdPdEv13rocblas_fill_18rocblas_operation_17rocblas_diagonal_iiT3_T4_lilT5_lili
		.amdhsa_group_segment_fixed_size 1152
		.amdhsa_private_segment_fixed_size 0
		.amdhsa_kernarg_size 360
		.amdhsa_user_sgpr_count 2
		.amdhsa_user_sgpr_dispatch_ptr 0
		.amdhsa_user_sgpr_queue_ptr 0
		.amdhsa_user_sgpr_kernarg_segment_ptr 1
		.amdhsa_user_sgpr_dispatch_id 0
		.amdhsa_user_sgpr_kernarg_preload_length 0
		.amdhsa_user_sgpr_kernarg_preload_offset 0
		.amdhsa_user_sgpr_private_segment_size 0
		.amdhsa_wavefront_size32 1
		.amdhsa_uses_dynamic_stack 0
		.amdhsa_enable_private_segment 0
		.amdhsa_system_sgpr_workgroup_id_x 1
		.amdhsa_system_sgpr_workgroup_id_y 0
		.amdhsa_system_sgpr_workgroup_id_z 1
		.amdhsa_system_sgpr_workgroup_info 0
		.amdhsa_system_vgpr_workitem_id 0
		.amdhsa_next_free_vgpr 78
		.amdhsa_next_free_sgpr 46
		.amdhsa_named_barrier_count 0
		.amdhsa_reserve_vcc 1
		.amdhsa_float_round_mode_32 0
		.amdhsa_float_round_mode_16_64 0
		.amdhsa_float_denorm_mode_32 3
		.amdhsa_float_denorm_mode_16_64 3
		.amdhsa_fp16_overflow 0
		.amdhsa_memory_ordered 1
		.amdhsa_forward_progress 1
		.amdhsa_inst_pref_size 18
		.amdhsa_round_robin_scheduling 0
		.amdhsa_exception_fp_ieee_invalid_op 0
		.amdhsa_exception_fp_denorm_src 0
		.amdhsa_exception_fp_ieee_div_zero 0
		.amdhsa_exception_fp_ieee_overflow 0
		.amdhsa_exception_fp_ieee_underflow 0
		.amdhsa_exception_fp_ieee_inexact 0
		.amdhsa_exception_int_div_zero 0
	.end_amdhsa_kernel
	.section	.text._ZL30rocblas_trsm_small_left_deviceILi12ELi12ELb1EddPKdPdEv13rocblas_fill_18rocblas_operation_17rocblas_diagonal_iiT3_T4_lilT5_lili,"axG",@progbits,_ZL30rocblas_trsm_small_left_deviceILi12ELi12ELb1EddPKdPdEv13rocblas_fill_18rocblas_operation_17rocblas_diagonal_iiT3_T4_lilT5_lili,comdat
.Lfunc_end80:
	.size	_ZL30rocblas_trsm_small_left_deviceILi12ELi12ELb1EddPKdPdEv13rocblas_fill_18rocblas_operation_17rocblas_diagonal_iiT3_T4_lilT5_lili, .Lfunc_end80-_ZL30rocblas_trsm_small_left_deviceILi12ELi12ELb1EddPKdPdEv13rocblas_fill_18rocblas_operation_17rocblas_diagonal_iiT3_T4_lilT5_lili
                                        ; -- End function
	.set _ZL30rocblas_trsm_small_left_deviceILi12ELi12ELb1EddPKdPdEv13rocblas_fill_18rocblas_operation_17rocblas_diagonal_iiT3_T4_lilT5_lili.num_vgpr, 78
	.set _ZL30rocblas_trsm_small_left_deviceILi12ELi12ELb1EddPKdPdEv13rocblas_fill_18rocblas_operation_17rocblas_diagonal_iiT3_T4_lilT5_lili.num_agpr, 0
	.set _ZL30rocblas_trsm_small_left_deviceILi12ELi12ELb1EddPKdPdEv13rocblas_fill_18rocblas_operation_17rocblas_diagonal_iiT3_T4_lilT5_lili.numbered_sgpr, 46
	.set _ZL30rocblas_trsm_small_left_deviceILi12ELi12ELb1EddPKdPdEv13rocblas_fill_18rocblas_operation_17rocblas_diagonal_iiT3_T4_lilT5_lili.num_named_barrier, 0
	.set _ZL30rocblas_trsm_small_left_deviceILi12ELi12ELb1EddPKdPdEv13rocblas_fill_18rocblas_operation_17rocblas_diagonal_iiT3_T4_lilT5_lili.private_seg_size, 0
	.set _ZL30rocblas_trsm_small_left_deviceILi12ELi12ELb1EddPKdPdEv13rocblas_fill_18rocblas_operation_17rocblas_diagonal_iiT3_T4_lilT5_lili.uses_vcc, 1
	.set _ZL30rocblas_trsm_small_left_deviceILi12ELi12ELb1EddPKdPdEv13rocblas_fill_18rocblas_operation_17rocblas_diagonal_iiT3_T4_lilT5_lili.uses_flat_scratch, 0
	.set _ZL30rocblas_trsm_small_left_deviceILi12ELi12ELb1EddPKdPdEv13rocblas_fill_18rocblas_operation_17rocblas_diagonal_iiT3_T4_lilT5_lili.has_dyn_sized_stack, 0
	.set _ZL30rocblas_trsm_small_left_deviceILi12ELi12ELb1EddPKdPdEv13rocblas_fill_18rocblas_operation_17rocblas_diagonal_iiT3_T4_lilT5_lili.has_recursion, 0
	.set _ZL30rocblas_trsm_small_left_deviceILi12ELi12ELb1EddPKdPdEv13rocblas_fill_18rocblas_operation_17rocblas_diagonal_iiT3_T4_lilT5_lili.has_indirect_call, 0
	.section	.AMDGPU.csdata,"",@progbits
; Kernel info:
; codeLenInByte = 2260
; TotalNumSgprs: 48
; NumVgprs: 78
; ScratchSize: 0
; MemoryBound: 0
; FloatMode: 240
; IeeeMode: 1
; LDSByteSize: 1152 bytes/workgroup (compile time only)
; SGPRBlocks: 0
; VGPRBlocks: 4
; NumSGPRsForWavesPerEU: 48
; NumVGPRsForWavesPerEU: 78
; NamedBarCnt: 0
; Occupancy: 12
; WaveLimiterHint : 0
; COMPUTE_PGM_RSRC2:SCRATCH_EN: 0
; COMPUTE_PGM_RSRC2:USER_SGPR: 2
; COMPUTE_PGM_RSRC2:TRAP_HANDLER: 0
; COMPUTE_PGM_RSRC2:TGID_X_EN: 1
; COMPUTE_PGM_RSRC2:TGID_Y_EN: 0
; COMPUTE_PGM_RSRC2:TGID_Z_EN: 1
; COMPUTE_PGM_RSRC2:TIDIG_COMP_CNT: 0
	.section	.text._ZL31rocblas_trsm_small_right_deviceIddPKdPdLi12EEv13rocblas_fill_18rocblas_operation_17rocblas_diagonal_iiT0_T1_lilT2_lili,"axG",@progbits,_ZL31rocblas_trsm_small_right_deviceIddPKdPdLi12EEv13rocblas_fill_18rocblas_operation_17rocblas_diagonal_iiT0_T1_lilT2_lili,comdat
	.globl	_ZL31rocblas_trsm_small_right_deviceIddPKdPdLi12EEv13rocblas_fill_18rocblas_operation_17rocblas_diagonal_iiT0_T1_lilT2_lili ; -- Begin function _ZL31rocblas_trsm_small_right_deviceIddPKdPdLi12EEv13rocblas_fill_18rocblas_operation_17rocblas_diagonal_iiT0_T1_lilT2_lili
	.p2align	8
	.type	_ZL31rocblas_trsm_small_right_deviceIddPKdPdLi12EEv13rocblas_fill_18rocblas_operation_17rocblas_diagonal_iiT0_T1_lilT2_lili,@function
_ZL31rocblas_trsm_small_right_deviceIddPKdPdLi12EEv13rocblas_fill_18rocblas_operation_17rocblas_diagonal_iiT0_T1_lilT2_lili: ; @_ZL31rocblas_trsm_small_right_deviceIddPKdPdLi12EEv13rocblas_fill_18rocblas_operation_17rocblas_diagonal_iiT0_T1_lilT2_lili
; %bb.0:
	s_load_b32 s19, s[0:1], 0x60
	s_bfe_u32 s2, ttmp6, 0x40014
	s_lshr_b32 s3, ttmp7, 16
	s_add_co_i32 s2, s2, 1
	s_bfe_u32 s5, ttmp6, 0x40008
	s_mul_i32 s4, s3, s2
	s_getreg_b32 s2, hwreg(HW_REG_IB_STS2, 6, 4)
	s_add_co_i32 s5, s5, s4
	s_cmp_eq_u32 s2, 0
	s_cselect_b32 s23, s3, s5
	s_wait_kmcnt 0x0
	s_cmp_ge_u32 s23, s19
	s_cbranch_scc1 .LBB81_82
; %bb.1:
	s_clause 0x7
	s_load_b96 s[16:18], s[0:1], 0x28
	s_load_b96 s[20:22], s[0:1], 0x48
	s_load_b128 s[12:15], s[0:1], 0x0
	s_load_b32 s24, s[0:1], 0x10
	s_load_b32 s3, s[0:1], 0x68
	s_load_b128 s[4:7], s[0:1], 0x18
	s_load_b128 s[8:11], s[0:1], 0x38
	s_load_b64 s[34:35], s[0:1], 0x58
	v_dual_mov_b32 v9, 0 :: v_dual_lshlrev_b32 v8, 3, v0
	v_mul_u32_u24_e32 v1, 0x60, v0
	v_mov_b64_e32 v[14:15], 1.0
	s_delay_alu instid0(VALU_DEP_3) | instskip(NEXT) | instid1(VALU_DEP_3)
	v_or_b32_e32 v18, 0x480, v8
	v_add_nc_u32_e32 v20, v8, v1
	s_wait_kmcnt 0x0
	s_ashr_i32 s29, s18, 31
	s_ashr_i32 s31, s22, 31
	s_cmp_lg_u32 s12, 0x7a
	s_mov_b32 s28, s18
	s_cselect_b32 s26, -1, 0
	s_bfe_u32 s0, ttmp6, 0x4000c
	s_min_i32 s1, s24, 12
	s_add_co_i32 s0, s0, 1
	s_and_b32 s27, ttmp6, 15
	s_mul_i32 s0, ttmp9, s0
	s_add_co_i32 s3, s3, -1
	s_add_co_i32 s25, s1, -1
	s_add_co_i32 s27, s27, s0
	s_cmp_eq_u32 s2, 0
	s_mov_b32 s30, s22
	s_cselect_b32 s2, ttmp9, s27
	s_delay_alu instid0(SALU_CYCLE_1) | instskip(NEXT) | instid1(SALU_CYCLE_1)
	s_mul_i32 s0, s2, -12
	s_add_co_i32 s0, s15, s0
	s_cmp_ge_u32 s2, s3
	s_cselect_b32 s15, s0, 12
	s_ashr_i32 s3, s2, 31
	s_cmp_eq_u32 s14, 0x84
	v_cmp_gt_i32_e32 vcc_lo, s15, v0
	s_cselect_b32 s14, -1, 0
	s_cmp_gt_i32 s24, 0
	s_mul_u64 s[36:37], s[2:3], 0x60
	s_cselect_b32 s27, -1, 0
	s_cmp_lg_u32 s13, 0x6f
	v_cmp_gt_i32_e64 s0, s1, v0
	s_cselect_b32 s13, -1, 0
	s_cmp_lg_u32 s12, 0x79
	s_cselect_b32 s12, -1, 0
	s_or_b32 s15, s26, s13
	s_or_b32 s18, s12, s13
	s_cmp_gt_i32 s24, 3
	v_cndmask_b32_e64 v19, 0, 1, s12
	s_cselect_b32 s22, -1, 0
	s_lshl_b64 s[20:21], s[20:21], 3
	s_lshl_b64 s[16:17], s[16:17], 3
	s_add_nc_u64 s[20:21], s[36:37], s[20:21]
	s_add_nc_u64 s[6:7], s[6:7], s[16:17]
	;; [unrolled: 1-line block ×3, first 2 shown]
	v_add_nc_u64_e32 v[10:11], s[6:7], v[8:9]
	v_add_nc_u64_e32 v[12:13], s[10:11], v[8:9]
	s_mul_i32 s16, s1, 0x60
	s_mul_i32 s17, s1, 0x68
	v_add3_u32 v9, s16, v8, 0x420
	s_lshl_b32 s21, s1, 3
	s_and_b32 s26, vcc_lo, s27
	s_lshl_b64 s[2:3], s[8:9], 3
	s_lshl_b64 s[8:9], s[28:29], 3
	;; [unrolled: 1-line block ×4, first 2 shown]
	s_add_co_i32 s10, s17, 0xffffff80
	s_add_co_i32 s11, s16, 0xffffffa0
	s_addk_co_i32 s16, 0xff98
	s_addk_co_i32 s17, 0xfe78
	s_add_co_i32 s20, s21, -8
	s_addk_co_i32 s21, 0xff98
	s_branch .LBB81_3
.LBB81_2:                               ;   in Loop: Header=BB81_3 Depth=1
	s_or_b32 exec_lo, exec_lo, s27
	s_add_co_i32 s23, s23, 0x10000
	s_delay_alu instid0(SALU_CYCLE_1)
	s_cmp_lt_u32 s23, s19
	s_cbranch_scc0 .LBB81_82
.LBB81_3:                               ; =>This Loop Header: Depth=1
                                        ;     Child Loop BB81_5 Depth 2
                                        ;     Child Loop BB81_10 Depth 2
                                        ;     Child Loop BB81_16 Depth 2
                                        ;       Child Loop BB81_17 Depth 3
                                        ;     Child Loop BB81_23 Depth 2
                                        ;       Child Loop BB81_24 Depth 3
                                        ;     Child Loop BB81_28 Depth 2
	;; [unrolled: 2-line block ×3, first 2 shown]
                                        ;     Child Loop BB81_42 Depth 2
                                        ;       Child Loop BB81_43 Depth 3
                                        ;       Child Loop BB81_45 Depth 3
                                        ;     Child Loop BB81_49 Depth 2
                                        ;       Child Loop BB81_50 Depth 3
                                        ;     Child Loop BB81_57 Depth 2
                                        ;     Child Loop BB81_62 Depth 2
                                        ;       Child Loop BB81_63 Depth 3
                                        ;       Child Loop BB81_65 Depth 3
                                        ;     Child Loop BB81_70 Depth 2
                                        ;       Child Loop BB81_71 Depth 3
                                        ;     Child Loop BB81_77 Depth 2
	;; [unrolled: 2-line block ×3, first 2 shown]
	s_and_saveexec_b32 s27, s0
	s_cbranch_execz .LBB81_8
; %bb.4:                                ;   in Loop: Header=BB81_3 Depth=1
	v_mad_nc_u64_u32 v[0:1], s2, s23, v[10:11]
	v_mov_b32_e32 v2, v8
	s_mov_b32 s28, s1
	s_delay_alu instid0(VALU_DEP_2)
	v_mad_u32 v1, s3, s23, v1
.LBB81_5:                               ;   Parent Loop BB81_3 Depth=1
                                        ; =>  This Inner Loop Header: Depth=2
	global_load_b64 v[4:5], v[0:1], off
	s_wait_xcnt 0x0
	v_add_nc_u64_e32 v[0:1], s[8:9], v[0:1]
	s_add_co_i32 s28, s28, -1
	s_delay_alu instid0(SALU_CYCLE_1)
	s_cmp_eq_u32 s28, 0
	s_wait_loadcnt 0x0
	ds_store_b64 v2, v[4:5]
	v_add_nc_u32_e32 v2, 0x60, v2
	s_cbranch_scc0 .LBB81_5
; %bb.6:                                ;   in Loop: Header=BB81_3 Depth=1
	s_and_b32 vcc_lo, exec_lo, s14
	s_cbranch_vccz .LBB81_8
; %bb.7:                                ;   in Loop: Header=BB81_3 Depth=1
	ds_store_b64 v20, v[14:15]
.LBB81_8:                               ;   in Loop: Header=BB81_3 Depth=1
	s_or_b32 exec_lo, exec_lo, s27
	v_mad_nc_u64_u32 v[16:17], s12, s23, v[12:13]
	s_delay_alu instid0(VALU_DEP_1)
	v_mad_u32 v17, s13, s23, v17
	s_and_saveexec_b32 s27, s26
	s_cbranch_execz .LBB81_11
; %bb.9:                                ;   in Loop: Header=BB81_3 Depth=1
	s_delay_alu instid0(VALU_DEP_1)
	v_mov_b64_e32 v[0:1], v[16:17]
	v_mov_b32_e32 v2, v18
	s_mov_b32 s28, s24
.LBB81_10:                              ;   Parent Loop BB81_3 Depth=1
                                        ; =>  This Inner Loop Header: Depth=2
	global_load_b64 v[4:5], v[0:1], off
	s_wait_xcnt 0x0
	v_add_nc_u64_e32 v[0:1], s[6:7], v[0:1]
	s_add_co_i32 s28, s28, -1
	s_delay_alu instid0(SALU_CYCLE_1)
	s_cmp_lg_u32 s28, 0
	s_wait_loadcnt 0x0
	v_mul_f64_e32 v[4:5], s[4:5], v[4:5]
	ds_store_b64 v2, v[4:5]
	v_add_nc_u32_e32 v2, 0x60, v2
	s_cbranch_scc1 .LBB81_10
.LBB81_11:                              ;   in Loop: Header=BB81_3 Depth=1
	s_or_b32 exec_lo, exec_lo, s27
	s_delay_alu instid0(SALU_CYCLE_1)
	s_and_b32 vcc_lo, exec_lo, s18
	s_mov_b32 s27, -1
	s_wait_dscnt 0x0
	; wave barrier
	s_cbranch_vccz .LBB81_67
; %bb.12:                               ;   in Loop: Header=BB81_3 Depth=1
	s_and_b32 vcc_lo, exec_lo, s15
	s_cbranch_vccz .LBB81_47
; %bb.13:                               ;   in Loop: Header=BB81_3 Depth=1
	v_cmp_ne_u32_e32 vcc_lo, 1, v19
	s_cbranch_vccnz .LBB81_26
; %bb.14:                               ;   in Loop: Header=BB81_3 Depth=1
	s_and_not1_b32 vcc_lo, exec_lo, s22
	s_mov_b32 s29, 0
	s_cbranch_vccnz .LBB81_20
; %bb.15:                               ;   in Loop: Header=BB81_3 Depth=1
	s_mov_b32 s27, 0
	s_mov_b32 s28, 0
.LBB81_16:                              ;   Parent Loop BB81_3 Depth=1
                                        ; =>  This Loop Header: Depth=2
                                        ;       Child Loop BB81_17 Depth 3
	s_delay_alu instid0(SALU_CYCLE_1) | instskip(SKIP_3) | instid1(SALU_CYCLE_1)
	v_mad_u32 v21, 0x60, s28, v18
	s_or_b32 s29, s28, 3
	s_cmp_eq_u32 s28, 0
	s_mulk_i32 s29, 0x60
	v_dual_mov_b32 v23, v18 :: v_dual_add_nc_u32 v22, s29, v18
	s_mov_b32 s29, s27
	s_mov_b32 s30, s28
	ds_load_2addr_b64 v[0:3], v21 offset1:12
	ds_load_b64 v[6:7], v21 offset:192
	ds_load_b64 v[4:5], v22
	s_cbranch_scc1 .LBB81_18
.LBB81_17:                              ;   Parent Loop BB81_3 Depth=1
                                        ;     Parent Loop BB81_16 Depth=2
                                        ; =>    This Inner Loop Header: Depth=3
	v_mov_b32_e32 v28, s29
	s_add_co_i32 s30, s30, -1
	s_addk_co_i32 s29, 0x60
	s_cmp_eq_u32 s30, 0
	ds_load_b64 v[32:33], v23
	ds_load_b128 v[24:27], v28
	ds_load_b128 v[28:31], v28 offset:16
	v_add_nc_u32_e32 v23, 0x60, v23
	s_wait_dscnt 0x1
	v_fma_f64 v[0:1], -v[32:33], v[24:25], v[0:1]
	v_fma_f64 v[2:3], -v[32:33], v[26:27], v[2:3]
	s_wait_dscnt 0x0
	v_fma_f64 v[6:7], -v[32:33], v[28:29], v[6:7]
	v_fma_f64 v[4:5], -v[32:33], v[30:31], v[4:5]
	s_cbranch_scc0 .LBB81_17
.LBB81_18:                              ;   in Loop: Header=BB81_16 Depth=2
	s_lshl_b32 s29, s28, 3
	s_mul_i32 s30, s28, 0x60
	s_or_b32 s31, s29, 8
	s_add_co_i32 s30, s29, s30
	s_add_co_i32 s27, s27, 32
	v_mov_b32_e32 v23, s30
	s_addk_co_i32 s30, 0x68
	ds_load_b128 v[24:27], v23
	ds_load_b128 v[28:31], v23 offset:16
	s_sub_co_i32 s30, s30, s31
	s_delay_alu instid0(SALU_CYCLE_1) | instskip(SKIP_3) | instid1(VALU_DEP_2)
	s_add_co_i32 s29, s30, s29
	s_wait_dscnt 0x1
	v_div_scale_f64 v[32:33], null, v[24:25], v[24:25], v[0:1]
	v_div_scale_f64 v[38:39], vcc_lo, v[0:1], v[24:25], v[0:1]
	v_rcp_f64_e32 v[34:35], v[32:33]
	v_nop
	s_delay_alu instid0(TRANS32_DEP_1) | instskip(NEXT) | instid1(VALU_DEP_1)
	v_fma_f64 v[36:37], -v[32:33], v[34:35], 1.0
	v_fmac_f64_e32 v[34:35], v[34:35], v[36:37]
	s_delay_alu instid0(VALU_DEP_1) | instskip(NEXT) | instid1(VALU_DEP_1)
	v_fma_f64 v[36:37], -v[32:33], v[34:35], 1.0
	v_fmac_f64_e32 v[34:35], v[34:35], v[36:37]
	s_delay_alu instid0(VALU_DEP_1) | instskip(NEXT) | instid1(VALU_DEP_1)
	v_mul_f64_e32 v[36:37], v[38:39], v[34:35]
	v_fma_f64 v[32:33], -v[32:33], v[36:37], v[38:39]
	s_delay_alu instid0(VALU_DEP_1) | instskip(NEXT) | instid1(VALU_DEP_1)
	v_div_fmas_f64 v[32:33], v[32:33], v[34:35], v[36:37]
	v_div_fixup_f64 v[32:33], v[32:33], v[24:25], v[0:1]
	s_delay_alu instid0(VALU_DEP_1)
	v_fma_f64 v[34:35], -v[32:33], v[26:27], v[2:3]
	ds_load_2addr_b64 v[0:3], v23 offset0:13 offset1:14
	ds_load_b128 v[24:27], v23 offset:208
	s_wait_dscnt 0x2
	v_fma_f64 v[6:7], -v[32:33], v[28:29], v[6:7]
	v_fma_f64 v[4:5], -v[32:33], v[30:31], v[4:5]
	s_wait_dscnt 0x1
	v_div_scale_f64 v[36:37], null, v[0:1], v[0:1], v[34:35]
	v_div_scale_f64 v[42:43], vcc_lo, v[34:35], v[0:1], v[34:35]
	s_delay_alu instid0(VALU_DEP_2) | instskip(SKIP_1) | instid1(TRANS32_DEP_1)
	v_rcp_f64_e32 v[38:39], v[36:37]
	v_nop
	v_fma_f64 v[40:41], -v[36:37], v[38:39], 1.0
	s_delay_alu instid0(VALU_DEP_1) | instskip(NEXT) | instid1(VALU_DEP_1)
	v_fmac_f64_e32 v[38:39], v[38:39], v[40:41]
	v_fma_f64 v[40:41], -v[36:37], v[38:39], 1.0
	s_delay_alu instid0(VALU_DEP_1) | instskip(NEXT) | instid1(VALU_DEP_1)
	v_fmac_f64_e32 v[38:39], v[38:39], v[40:41]
	v_mul_f64_e32 v[40:41], v[42:43], v[38:39]
	s_delay_alu instid0(VALU_DEP_1) | instskip(NEXT) | instid1(VALU_DEP_1)
	v_fma_f64 v[36:37], -v[36:37], v[40:41], v[42:43]
	v_div_fmas_f64 v[36:37], v[36:37], v[38:39], v[40:41]
	s_delay_alu instid0(VALU_DEP_1) | instskip(NEXT) | instid1(VALU_DEP_1)
	v_div_fixup_f64 v[0:1], v[36:37], v[0:1], v[34:35]
	v_fma_f64 v[2:3], -v[0:1], v[2:3], v[6:7]
	s_wait_dscnt 0x0
	s_delay_alu instid0(VALU_DEP_1) | instskip(SKIP_1) | instid1(VALU_DEP_2)
	v_div_scale_f64 v[6:7], null, v[24:25], v[24:25], v[2:3]
	v_div_scale_f64 v[36:37], vcc_lo, v[2:3], v[24:25], v[2:3]
	v_rcp_f64_e32 v[28:29], v[6:7]
	v_nop
	s_delay_alu instid0(TRANS32_DEP_1) | instskip(NEXT) | instid1(VALU_DEP_1)
	v_fma_f64 v[34:35], -v[6:7], v[28:29], 1.0
	v_fmac_f64_e32 v[28:29], v[28:29], v[34:35]
	s_delay_alu instid0(VALU_DEP_1) | instskip(NEXT) | instid1(VALU_DEP_1)
	v_fma_f64 v[34:35], -v[6:7], v[28:29], 1.0
	v_fmac_f64_e32 v[28:29], v[28:29], v[34:35]
	s_delay_alu instid0(VALU_DEP_1) | instskip(NEXT) | instid1(VALU_DEP_1)
	v_mul_f64_e32 v[34:35], v[36:37], v[28:29]
	v_fma_f64 v[6:7], -v[6:7], v[34:35], v[36:37]
	s_delay_alu instid0(VALU_DEP_1)
	v_div_fmas_f64 v[6:7], v[6:7], v[28:29], v[34:35]
	v_mov_b32_e32 v28, s29
	s_add_co_i32 s29, s28, 4
	s_add_co_i32 s28, s28, 7
	ds_load_b64 v[28:29], v28 offset:24
	ds_load_b64 v[30:31], v23 offset:312
	s_cmp_ge_i32 s28, s1
	ds_store_2addr_b64 v21, v[32:33], v[0:1] offset1:12
	s_wait_dscnt 0x2
	v_fma_f64 v[4:5], -v[0:1], v[28:29], v[4:5]
	v_div_fixup_f64 v[2:3], v[6:7], v[24:25], v[2:3]
	s_delay_alu instid0(VALU_DEP_1) | instskip(SKIP_1) | instid1(VALU_DEP_1)
	v_fma_f64 v[4:5], -v[2:3], v[26:27], v[4:5]
	s_wait_dscnt 0x1
	v_div_scale_f64 v[6:7], null, v[30:31], v[30:31], v[4:5]
	s_delay_alu instid0(VALU_DEP_1) | instskip(SKIP_1) | instid1(TRANS32_DEP_1)
	v_rcp_f64_e32 v[24:25], v[6:7]
	v_nop
	v_fma_f64 v[26:27], -v[6:7], v[24:25], 1.0
	s_delay_alu instid0(VALU_DEP_1) | instskip(NEXT) | instid1(VALU_DEP_1)
	v_fmac_f64_e32 v[24:25], v[24:25], v[26:27]
	v_fma_f64 v[26:27], -v[6:7], v[24:25], 1.0
	s_delay_alu instid0(VALU_DEP_1) | instskip(SKIP_1) | instid1(VALU_DEP_1)
	v_fmac_f64_e32 v[24:25], v[24:25], v[26:27]
	v_div_scale_f64 v[26:27], vcc_lo, v[4:5], v[30:31], v[4:5]
	v_mul_f64_e32 v[28:29], v[26:27], v[24:25]
	s_delay_alu instid0(VALU_DEP_1) | instskip(NEXT) | instid1(VALU_DEP_1)
	v_fma_f64 v[6:7], -v[6:7], v[28:29], v[26:27]
	v_div_fmas_f64 v[6:7], v[6:7], v[24:25], v[28:29]
	s_delay_alu instid0(VALU_DEP_1)
	v_div_fixup_f64 v[4:5], v[6:7], v[30:31], v[4:5]
	ds_store_b64 v21, v[2:3] offset:192
	ds_store_b64 v22, v[4:5]
	s_cbranch_scc1 .LBB81_20
; %bb.19:                               ;   in Loop: Header=BB81_16 Depth=2
	s_mov_b32 s28, s29
	s_branch .LBB81_16
.LBB81_20:                              ;   in Loop: Header=BB81_3 Depth=1
	s_cmp_ge_i32 s29, s1
	s_cbranch_scc1 .LBB81_25
; %bb.21:                               ;   in Loop: Header=BB81_3 Depth=1
	s_lshl_b32 s27, s29, 3
	s_branch .LBB81_23
.LBB81_22:                              ;   in Loop: Header=BB81_23 Depth=2
	s_lshl_b32 s30, s29, 3
	s_add_co_i32 s29, s29, 1
	s_add_co_i32 s28, s30, s28
	s_add_co_i32 s27, s27, 8
	v_mov_b32_e32 v3, s28
	s_cmp_ge_i32 s29, s1
	ds_load_b64 v[4:5], v3
	s_wait_dscnt 0x0
	v_div_scale_f64 v[6:7], null, v[4:5], v[4:5], v[0:1]
	s_delay_alu instid0(VALU_DEP_1) | instskip(SKIP_1) | instid1(TRANS32_DEP_1)
	v_rcp_f64_e32 v[22:23], v[6:7]
	v_nop
	v_fma_f64 v[24:25], -v[6:7], v[22:23], 1.0
	s_delay_alu instid0(VALU_DEP_1) | instskip(NEXT) | instid1(VALU_DEP_1)
	v_fmac_f64_e32 v[22:23], v[22:23], v[24:25]
	v_fma_f64 v[24:25], -v[6:7], v[22:23], 1.0
	s_delay_alu instid0(VALU_DEP_1) | instskip(SKIP_1) | instid1(VALU_DEP_1)
	v_fmac_f64_e32 v[22:23], v[22:23], v[24:25]
	v_div_scale_f64 v[24:25], vcc_lo, v[0:1], v[4:5], v[0:1]
	v_mul_f64_e32 v[26:27], v[24:25], v[22:23]
	s_delay_alu instid0(VALU_DEP_1) | instskip(NEXT) | instid1(VALU_DEP_1)
	v_fma_f64 v[6:7], -v[6:7], v[26:27], v[24:25]
	v_div_fmas_f64 v[6:7], v[6:7], v[22:23], v[26:27]
	s_delay_alu instid0(VALU_DEP_1)
	v_div_fixup_f64 v[0:1], v[6:7], v[4:5], v[0:1]
	ds_store_b64 v2, v[0:1]
	s_cbranch_scc1 .LBB81_25
.LBB81_23:                              ;   Parent Loop BB81_3 Depth=1
                                        ; =>  This Loop Header: Depth=2
                                        ;       Child Loop BB81_24 Depth 3
	s_mul_i32 s28, s29, 0x60
	s_cmp_eq_u32 s29, 0
	v_dual_mov_b32 v3, v18 :: v_dual_add_nc_u32 v2, s28, v18
	s_mov_b32 s30, s27
	s_mov_b32 s31, s29
	ds_load_b64 v[0:1], v2
	s_cbranch_scc1 .LBB81_22
.LBB81_24:                              ;   Parent Loop BB81_3 Depth=1
                                        ;     Parent Loop BB81_23 Depth=2
                                        ; =>    This Inner Loop Header: Depth=3
	v_mov_b32_e32 v6, s30
	s_add_co_i32 s31, s31, -1
	s_addk_co_i32 s30, 0x60
	s_cmp_eq_u32 s31, 0
	ds_load_b64 v[4:5], v3
	ds_load_b64 v[6:7], v6
	v_add_nc_u32_e32 v3, 0x60, v3
	s_wait_dscnt 0x0
	v_fma_f64 v[0:1], -v[4:5], v[6:7], v[0:1]
	s_cbranch_scc0 .LBB81_24
	s_branch .LBB81_22
.LBB81_25:                              ;   in Loop: Header=BB81_3 Depth=1
	s_mov_b32 s27, 0
.LBB81_26:                              ;   in Loop: Header=BB81_3 Depth=1
	s_delay_alu instid0(SALU_CYCLE_1)
	s_and_b32 vcc_lo, exec_lo, s27
	s_cbranch_vccz .LBB81_46
; %bb.27:                               ;   in Loop: Header=BB81_3 Depth=1
	s_mov_b32 s29, s25
	s_and_not1_b32 vcc_lo, exec_lo, s22
	s_mov_b32 s27, s10
	s_mov_b32 s28, s25
	s_cbranch_vccnz .LBB81_33
.LBB81_28:                              ;   Parent Loop BB81_3 Depth=1
                                        ; =>  This Loop Header: Depth=2
                                        ;       Child Loop BB81_29 Depth 3
	s_mul_i32 s30, s28, 0x60
	s_mov_b32 s31, s27
	s_add_co_i32 s29, s30, 0xfffffee0
	s_delay_alu instid0(SALU_CYCLE_1) | instskip(SKIP_2) | instid1(VALU_DEP_1)
	v_dual_add_nc_u32 v21, s30, v18 :: v_dual_add_nc_u32 v24, s29, v18
	s_cmp_le_i32 s25, s28
	s_mov_b32 s33, s25
	v_dual_mov_b32 v25, v9 :: v_dual_add_nc_u32 v22, 0xffffffa0, v21
	v_add_nc_u32_e32 v23, 0xffffff40, v21
	ds_load_b64 v[6:7], v21
	ds_load_b64 v[4:5], v22
	;; [unrolled: 1-line block ×4, first 2 shown]
	s_cbranch_scc1 .LBB81_30
.LBB81_29:                              ;   Parent Loop BB81_3 Depth=1
                                        ;     Parent Loop BB81_28 Depth=2
                                        ; =>    This Inner Loop Header: Depth=3
	v_mov_b32_e32 v30, s31
	s_add_co_i32 s33, s33, -1
	s_addk_co_i32 s31, 0xffa0
	s_cmp_le_i32 s33, s28
	ds_load_b64 v[34:35], v25
	ds_load_2addr_b64 v[26:29], v30 offset0:2 offset1:3
	ds_load_2addr_b64 v[30:33], v30 offset1:1
	v_add_nc_u32_e32 v25, 0xffffffa0, v25
	s_wait_dscnt 0x1
	v_fma_f64 v[6:7], -v[34:35], v[28:29], v[6:7]
	v_fma_f64 v[4:5], -v[34:35], v[26:27], v[4:5]
	s_wait_dscnt 0x0
	v_fma_f64 v[2:3], -v[34:35], v[32:33], v[2:3]
	v_fma_f64 v[0:1], -v[34:35], v[30:31], v[0:1]
	s_cbranch_scc0 .LBB81_29
.LBB81_30:                              ;   in Loop: Header=BB81_28 Depth=2
	s_add_co_i32 s31, s28, -3
; %bb.31:                               ;   in Loop: Header=BB81_28 Depth=2
	s_lshl_b32 s33, s28, 3
	s_lshl_b32 s31, s31, 3
	s_add_co_i32 s34, s33, s30
	s_add_co_i32 s30, s30, s31
	s_add_co_i32 s35, s34, -8
	s_add_co_i32 s31, s30, 0xffffffa0
	v_mov_b32_e32 v25, s35
	s_add_co_i32 s35, s34, 0xffffff98
	s_sub_co_i32 s34, s34, 24
	s_addk_co_i32 s30, 0xff40
	s_add_co_i32 s33, s33, s29
	ds_load_2addr_b64 v[26:29], v25 offset1:1
	s_sub_co_i32 s29, s33, 24
	s_sub_co_i32 s27, s27, 32
	s_wait_dscnt 0x0
	v_div_scale_f64 v[32:33], null, v[28:29], v[28:29], v[6:7]
	v_div_scale_f64 v[38:39], vcc_lo, v[6:7], v[28:29], v[6:7]
	s_delay_alu instid0(VALU_DEP_2) | instskip(SKIP_1) | instid1(TRANS32_DEP_1)
	v_rcp_f64_e32 v[34:35], v[32:33]
	v_nop
	v_fma_f64 v[36:37], -v[32:33], v[34:35], 1.0
	s_delay_alu instid0(VALU_DEP_1) | instskip(NEXT) | instid1(VALU_DEP_1)
	v_fmac_f64_e32 v[34:35], v[34:35], v[36:37]
	v_fma_f64 v[36:37], -v[32:33], v[34:35], 1.0
	s_delay_alu instid0(VALU_DEP_1) | instskip(NEXT) | instid1(VALU_DEP_1)
	v_fmac_f64_e32 v[34:35], v[34:35], v[36:37]
	v_dual_mul_f64 v[36:37], v[38:39], v[34:35] :: v_dual_mov_b32 v25, s35
	s_delay_alu instid0(VALU_DEP_1) | instskip(SKIP_3) | instid1(VALU_DEP_1)
	v_fma_f64 v[32:33], -v[32:33], v[36:37], v[38:39]
	ds_load_b64 v[30:31], v25
	v_mov_b32_e32 v25, s31
	v_div_fmas_f64 v[32:33], v[32:33], v[34:35], v[36:37]
	v_div_fixup_f64 v[32:33], v[32:33], v[28:29], v[6:7]
	s_delay_alu instid0(VALU_DEP_1) | instskip(SKIP_1) | instid1(VALU_DEP_1)
	v_fma_f64 v[34:35], -v[32:33], v[26:27], v[4:5]
	s_wait_dscnt 0x0
	v_div_scale_f64 v[4:5], null, v[30:31], v[30:31], v[34:35]
	v_div_scale_f64 v[28:29], vcc_lo, v[34:35], v[30:31], v[34:35]
	s_delay_alu instid0(VALU_DEP_2) | instskip(SKIP_1) | instid1(TRANS32_DEP_1)
	v_rcp_f64_e32 v[6:7], v[4:5]
	v_nop
	v_fma_f64 v[26:27], -v[4:5], v[6:7], 1.0
	s_delay_alu instid0(VALU_DEP_1) | instskip(NEXT) | instid1(VALU_DEP_1)
	v_fmac_f64_e32 v[6:7], v[6:7], v[26:27]
	v_fma_f64 v[26:27], -v[4:5], v[6:7], 1.0
	s_delay_alu instid0(VALU_DEP_1) | instskip(NEXT) | instid1(VALU_DEP_1)
	v_fmac_f64_e32 v[6:7], v[6:7], v[26:27]
	v_mul_f64_e32 v[26:27], v[28:29], v[6:7]
	s_delay_alu instid0(VALU_DEP_1) | instskip(NEXT) | instid1(VALU_DEP_1)
	v_fma_f64 v[4:5], -v[4:5], v[26:27], v[28:29]
	v_div_fmas_f64 v[36:37], v[4:5], v[6:7], v[26:27]
	v_mov_b32_e32 v4, s34
	ds_load_2addr_b64 v[26:29], v25 offset1:1
	v_mov_b32_e32 v25, s30
	ds_load_2addr_b64 v[4:7], v4 offset1:1
	s_wait_dscnt 0x0
	v_fma_f64 v[2:3], -v[32:33], v[6:7], v[2:3]
	v_fma_f64 v[0:1], -v[32:33], v[4:5], v[0:1]
	v_div_fixup_f64 v[6:7], v[36:37], v[30:31], v[34:35]
	s_delay_alu instid0(VALU_DEP_1)
	v_fma_f64 v[2:3], -v[6:7], v[28:29], v[2:3]
	ds_load_2addr_b64 v[28:31], v25 offset1:1
	v_dual_fma_f64 v[0:1], -v[6:7], v[26:27], v[0:1] :: v_dual_mov_b32 v25, s29
	s_add_co_i32 s29, s28, -4
	s_cmp_lt_i32 s28, 7
	ds_load_b64 v[34:35], v25
	s_wait_dscnt 0x1
	v_div_scale_f64 v[36:37], null, v[30:31], v[30:31], v[2:3]
	v_div_scale_f64 v[42:43], vcc_lo, v[2:3], v[30:31], v[2:3]
	s_delay_alu instid0(VALU_DEP_2) | instskip(SKIP_1) | instid1(TRANS32_DEP_1)
	v_rcp_f64_e32 v[38:39], v[36:37]
	v_nop
	v_fma_f64 v[40:41], -v[36:37], v[38:39], 1.0
	s_delay_alu instid0(VALU_DEP_1) | instskip(NEXT) | instid1(VALU_DEP_1)
	v_fmac_f64_e32 v[38:39], v[38:39], v[40:41]
	v_fma_f64 v[40:41], -v[36:37], v[38:39], 1.0
	s_delay_alu instid0(VALU_DEP_1) | instskip(NEXT) | instid1(VALU_DEP_1)
	v_fmac_f64_e32 v[38:39], v[38:39], v[40:41]
	v_mul_f64_e32 v[40:41], v[42:43], v[38:39]
	s_delay_alu instid0(VALU_DEP_1) | instskip(NEXT) | instid1(VALU_DEP_1)
	v_fma_f64 v[36:37], -v[36:37], v[40:41], v[42:43]
	v_div_fmas_f64 v[4:5], v[36:37], v[38:39], v[40:41]
	s_delay_alu instid0(VALU_DEP_1) | instskip(NEXT) | instid1(VALU_DEP_1)
	v_div_fixup_f64 v[2:3], v[4:5], v[30:31], v[2:3]
	v_fma_f64 v[0:1], -v[2:3], v[28:29], v[0:1]
	s_wait_dscnt 0x0
	s_delay_alu instid0(VALU_DEP_1) | instskip(NEXT) | instid1(VALU_DEP_1)
	v_div_scale_f64 v[4:5], null, v[34:35], v[34:35], v[0:1]
	v_rcp_f64_e32 v[26:27], v[4:5]
	v_nop
	s_delay_alu instid0(TRANS32_DEP_1) | instskip(NEXT) | instid1(VALU_DEP_1)
	v_fma_f64 v[28:29], -v[4:5], v[26:27], 1.0
	v_fmac_f64_e32 v[26:27], v[26:27], v[28:29]
	s_delay_alu instid0(VALU_DEP_1) | instskip(NEXT) | instid1(VALU_DEP_1)
	v_fma_f64 v[28:29], -v[4:5], v[26:27], 1.0
	v_fmac_f64_e32 v[26:27], v[26:27], v[28:29]
	v_div_scale_f64 v[28:29], vcc_lo, v[0:1], v[34:35], v[0:1]
	s_delay_alu instid0(VALU_DEP_1) | instskip(NEXT) | instid1(VALU_DEP_1)
	v_mul_f64_e32 v[30:31], v[28:29], v[26:27]
	v_fma_f64 v[4:5], -v[4:5], v[30:31], v[28:29]
	s_delay_alu instid0(VALU_DEP_1) | instskip(NEXT) | instid1(VALU_DEP_1)
	v_div_fmas_f64 v[4:5], v[4:5], v[26:27], v[30:31]
	v_div_fixup_f64 v[0:1], v[4:5], v[34:35], v[0:1]
	ds_store_b64 v21, v[32:33]
	ds_store_b64 v22, v[6:7]
	;; [unrolled: 1-line block ×4, first 2 shown]
	s_cbranch_scc1 .LBB81_33
; %bb.32:                               ;   in Loop: Header=BB81_28 Depth=2
	s_mov_b32 s28, s29
	s_branch .LBB81_28
.LBB81_33:                              ;   in Loop: Header=BB81_3 Depth=1
	s_cmp_lt_i32 s29, 0
	s_cbranch_scc1 .LBB81_46
; %bb.34:                               ;   in Loop: Header=BB81_3 Depth=1
	s_bitcmp1_b32 s29, 0
	s_cselect_b32 s27, -1, 0
	s_delay_alu instid0(SALU_CYCLE_1)
	s_and_b32 vcc_lo, exec_lo, s27
	s_mov_b32 s27, s29
	s_cbranch_vccnz .LBB81_39
; %bb.35:                               ;   in Loop: Header=BB81_3 Depth=1
	s_mul_i32 s27, s29, 0x60
	s_cmp_le_i32 s25, s29
	v_add_nc_u32_e32 v2, s27, v18
	ds_load_b64 v[0:1], v2
	s_cbranch_scc1 .LBB81_38
; %bb.36:                               ;   in Loop: Header=BB81_3 Depth=1
	v_mov_b32_e32 v3, v9
	s_lshl_b32 s28, s29, 3
	s_mov_b32 s30, s25
	s_add_co_i32 s28, s11, s28
.LBB81_37:                              ;   Parent Loop BB81_3 Depth=1
                                        ; =>  This Inner Loop Header: Depth=2
	s_delay_alu instid0(SALU_CYCLE_1)
	v_mov_b32_e32 v6, s28
	s_add_co_i32 s30, s30, -1
	s_addk_co_i32 s28, 0xffa0
	s_cmp_gt_i32 s30, s29
	ds_load_b64 v[4:5], v3
	ds_load_b64 v[6:7], v6
	v_add_nc_u32_e32 v3, 0xffffffa0, v3
	s_wait_dscnt 0x0
	v_fma_f64 v[0:1], -v[4:5], v[6:7], v[0:1]
	s_cbranch_scc1 .LBB81_37
.LBB81_38:                              ;   in Loop: Header=BB81_3 Depth=1
	s_lshl_b32 s28, s29, 3
	s_delay_alu instid0(SALU_CYCLE_1) | instskip(NEXT) | instid1(SALU_CYCLE_1)
	s_add_co_i32 s27, s28, s27
	v_mov_b32_e32 v3, s27
	s_add_co_i32 s27, s29, -1
	ds_load_b64 v[4:5], v3
	s_wait_dscnt 0x0
	v_div_scale_f64 v[6:7], null, v[4:5], v[4:5], v[0:1]
	s_delay_alu instid0(VALU_DEP_1) | instskip(SKIP_1) | instid1(TRANS32_DEP_1)
	v_rcp_f64_e32 v[22:23], v[6:7]
	v_nop
	v_fma_f64 v[24:25], -v[6:7], v[22:23], 1.0
	s_delay_alu instid0(VALU_DEP_1) | instskip(NEXT) | instid1(VALU_DEP_1)
	v_fmac_f64_e32 v[22:23], v[22:23], v[24:25]
	v_fma_f64 v[24:25], -v[6:7], v[22:23], 1.0
	s_delay_alu instid0(VALU_DEP_1) | instskip(SKIP_1) | instid1(VALU_DEP_1)
	v_fmac_f64_e32 v[22:23], v[22:23], v[24:25]
	v_div_scale_f64 v[24:25], vcc_lo, v[0:1], v[4:5], v[0:1]
	v_mul_f64_e32 v[26:27], v[24:25], v[22:23]
	s_delay_alu instid0(VALU_DEP_1) | instskip(NEXT) | instid1(VALU_DEP_1)
	v_fma_f64 v[6:7], -v[6:7], v[26:27], v[24:25]
	v_div_fmas_f64 v[6:7], v[6:7], v[22:23], v[26:27]
	s_delay_alu instid0(VALU_DEP_1)
	v_div_fixup_f64 v[0:1], v[6:7], v[4:5], v[0:1]
	ds_store_b64 v2, v[0:1]
.LBB81_39:                              ;   in Loop: Header=BB81_3 Depth=1
	s_cmp_eq_u32 s29, 0
	s_cbranch_scc1 .LBB81_46
; %bb.40:                               ;   in Loop: Header=BB81_3 Depth=1
	s_lshl_b32 s29, s27, 3
	s_delay_alu instid0(SALU_CYCLE_1)
	s_add_co_i32 s28, s11, s29
	s_add_co_i32 s29, s16, s29
	s_branch .LBB81_42
.LBB81_41:                              ;   in Loop: Header=BB81_42 Depth=2
	s_addk_co_i32 s30, 0xff98
	s_add_co_i32 s28, s28, -16
	v_mov_b32_e32 v0, s30
	s_add_co_i32 s30, s27, -2
	s_add_co_i32 s29, s29, -16
	s_cmp_lt_i32 s27, 2
	s_mov_b32 s27, s30
	ds_load_b64 v[0:1], v0
	s_wait_dscnt 0x0
	v_div_scale_f64 v[6:7], null, v[0:1], v[0:1], v[2:3]
	s_delay_alu instid0(VALU_DEP_1) | instskip(SKIP_1) | instid1(TRANS32_DEP_1)
	v_rcp_f64_e32 v[22:23], v[6:7]
	v_nop
	v_fma_f64 v[24:25], -v[6:7], v[22:23], 1.0
	s_delay_alu instid0(VALU_DEP_1) | instskip(NEXT) | instid1(VALU_DEP_1)
	v_fmac_f64_e32 v[22:23], v[22:23], v[24:25]
	v_fma_f64 v[24:25], -v[6:7], v[22:23], 1.0
	s_delay_alu instid0(VALU_DEP_1) | instskip(SKIP_1) | instid1(VALU_DEP_1)
	v_fmac_f64_e32 v[22:23], v[22:23], v[24:25]
	v_div_scale_f64 v[24:25], vcc_lo, v[2:3], v[0:1], v[2:3]
	v_mul_f64_e32 v[26:27], v[24:25], v[22:23]
	s_delay_alu instid0(VALU_DEP_1) | instskip(NEXT) | instid1(VALU_DEP_1)
	v_fma_f64 v[6:7], -v[6:7], v[26:27], v[24:25]
	v_div_fmas_f64 v[6:7], v[6:7], v[22:23], v[26:27]
	s_delay_alu instid0(VALU_DEP_1)
	v_div_fixup_f64 v[0:1], v[6:7], v[0:1], v[2:3]
	ds_store_b64 v5, v[0:1]
	s_cbranch_scc1 .LBB81_46
.LBB81_42:                              ;   Parent Loop BB81_3 Depth=1
                                        ; =>  This Loop Header: Depth=2
                                        ;       Child Loop BB81_43 Depth 3
                                        ;       Child Loop BB81_45 Depth 3
	s_mul_i32 s31, s27, 0x60
	s_cmp_le_i32 s25, s27
	v_dual_add_nc_u32 v4, s31, v18 :: v_dual_mov_b32 v2, v9
	s_mov_b32 s30, s28
	s_mov_b32 s33, s25
	ds_load_b64 v[0:1], v4
	s_cbranch_scc1 .LBB81_44
.LBB81_43:                              ;   Parent Loop BB81_3 Depth=1
                                        ;     Parent Loop BB81_42 Depth=2
                                        ; =>    This Inner Loop Header: Depth=3
	v_mov_b32_e32 v3, s30
	s_add_co_i32 s33, s33, -1
	s_addk_co_i32 s30, 0xffa0
	s_cmp_le_i32 s33, s27
	ds_load_b64 v[6:7], v2
	ds_load_b64 v[22:23], v3
	v_add_nc_u32_e32 v2, 0xffffffa0, v2
	s_wait_dscnt 0x0
	v_fma_f64 v[0:1], -v[6:7], v[22:23], v[0:1]
	s_cbranch_scc0 .LBB81_43
.LBB81_44:                              ;   in Loop: Header=BB81_42 Depth=2
	s_lshl_b32 s30, s27, 3
	s_mov_b32 s33, s1
	s_add_co_i32 s30, s30, s31
	s_addk_co_i32 s31, 0xffa0
	s_delay_alu instid0(SALU_CYCLE_1)
	v_dual_mov_b32 v2, s30 :: v_dual_add_nc_u32 v5, s31, v18
	s_cmp_le_i32 s1, s27
	s_mov_b32 s31, s29
	ds_load_b64 v[6:7], v2
	ds_load_b64 v[2:3], v5
	s_wait_dscnt 0x1
	v_div_scale_f64 v[22:23], null, v[6:7], v[6:7], v[0:1]
	s_delay_alu instid0(VALU_DEP_1) | instskip(SKIP_1) | instid1(TRANS32_DEP_1)
	v_rcp_f64_e32 v[24:25], v[22:23]
	v_nop
	v_fma_f64 v[26:27], -v[22:23], v[24:25], 1.0
	s_delay_alu instid0(VALU_DEP_1) | instskip(NEXT) | instid1(VALU_DEP_1)
	v_fmac_f64_e32 v[24:25], v[24:25], v[26:27]
	v_fma_f64 v[26:27], -v[22:23], v[24:25], 1.0
	s_delay_alu instid0(VALU_DEP_1) | instskip(SKIP_1) | instid1(VALU_DEP_1)
	v_fmac_f64_e32 v[24:25], v[24:25], v[26:27]
	v_div_scale_f64 v[26:27], vcc_lo, v[0:1], v[6:7], v[0:1]
	v_mul_f64_e32 v[28:29], v[26:27], v[24:25]
	s_delay_alu instid0(VALU_DEP_1) | instskip(NEXT) | instid1(VALU_DEP_1)
	v_fma_f64 v[22:23], -v[22:23], v[28:29], v[26:27]
	v_div_fmas_f64 v[22:23], v[22:23], v[24:25], v[28:29]
	s_delay_alu instid0(VALU_DEP_1)
	v_div_fixup_f64 v[6:7], v[22:23], v[6:7], v[0:1]
	v_mov_b32_e32 v0, v9
	ds_store_b64 v4, v[6:7]
	s_cbranch_scc1 .LBB81_41
.LBB81_45:                              ;   Parent Loop BB81_3 Depth=1
                                        ;     Parent Loop BB81_42 Depth=2
                                        ; =>    This Inner Loop Header: Depth=3
	v_mov_b32_e32 v1, s31
	s_add_co_i32 s33, s33, -1
	s_addk_co_i32 s31, 0xffa0
	s_cmp_gt_i32 s33, s27
	ds_load_b64 v[6:7], v0
	ds_load_b64 v[22:23], v1
	v_add_nc_u32_e32 v0, 0xffffffa0, v0
	s_wait_dscnt 0x0
	v_fma_f64 v[2:3], -v[6:7], v[22:23], v[2:3]
	s_cbranch_scc1 .LBB81_45
	s_branch .LBB81_41
.LBB81_46:                              ;   in Loop: Header=BB81_3 Depth=1
	s_mov_b32 s27, 0
.LBB81_47:                              ;   in Loop: Header=BB81_3 Depth=1
	s_delay_alu instid0(SALU_CYCLE_1)
	s_and_not1_b32 vcc_lo, exec_lo, s27
	s_cbranch_vccnz .LBB81_66
; %bb.48:                               ;   in Loop: Header=BB81_3 Depth=1
	s_mov_b32 s29, s25
	s_and_not1_b32 vcc_lo, exec_lo, s22
	s_mov_b32 s27, s17
	s_mov_b32 s28, s25
	s_cbranch_vccnz .LBB81_53
.LBB81_49:                              ;   Parent Loop BB81_3 Depth=1
                                        ; =>  This Loop Header: Depth=2
                                        ;       Child Loop BB81_50 Depth 3
	s_mul_i32 s29, s28, 12
	s_cmp_le_i32 s25, s28
	v_lshl_add_u32 v21, s29, 3, v18
	s_mov_b32 s30, s27
	s_mov_b32 s31, s25
	s_delay_alu instid0(VALU_DEP_1)
	v_dual_mov_b32 v25, v9 :: v_dual_add_nc_u32 v22, 0xffffffa0, v21
	v_add_nc_u32_e32 v23, 0xffffff40, v21
	v_add_nc_u32_e32 v24, 0xfffffee0, v21
	ds_load_b64 v[6:7], v21
	ds_load_b64 v[4:5], v22
	;; [unrolled: 1-line block ×4, first 2 shown]
	s_cbranch_scc1 .LBB81_51
.LBB81_50:                              ;   Parent Loop BB81_3 Depth=1
                                        ;     Parent Loop BB81_49 Depth=2
                                        ; =>    This Inner Loop Header: Depth=3
	v_mov_b32_e32 v30, s30
	s_add_co_i32 s31, s31, -1
	s_add_co_i32 s30, s30, -8
	s_cmp_le_i32 s31, s28
	ds_load_b64 v[34:35], v25
	ds_load_2addr_b64 v[26:29], v30 offset0:24 offset1:36
	ds_load_2addr_b64 v[30:33], v30 offset1:12
	v_add_nc_u32_e32 v25, 0xffffffa0, v25
	s_wait_dscnt 0x1
	v_fma_f64 v[6:7], -v[34:35], v[28:29], v[6:7]
	v_fma_f64 v[4:5], -v[34:35], v[26:27], v[4:5]
	s_wait_dscnt 0x0
	v_fma_f64 v[2:3], -v[34:35], v[32:33], v[2:3]
	v_fma_f64 v[0:1], -v[34:35], v[30:31], v[0:1]
	s_cbranch_scc0 .LBB81_50
.LBB81_51:                              ;   in Loop: Header=BB81_49 Depth=2
	s_mul_i32 s30, s28, 0x68
	s_lshl_b32 s29, s29, 3
	v_mov_b32_e32 v25, s30
	s_lshl_b32 s30, s28, 3
	s_addk_co_i32 s27, 0xfe80
	s_add_co_i32 s29, s29, s30
	s_delay_alu instid0(SALU_CYCLE_1) | instskip(SKIP_4) | instid1(VALU_DEP_2)
	s_add_co_i32 s30, s29, 0xffffff98
	ds_load_b64 v[30:31], v25
	s_wait_dscnt 0x0
	v_div_scale_f64 v[32:33], null, v[30:31], v[30:31], v[6:7]
	v_div_scale_f64 v[38:39], vcc_lo, v[6:7], v[30:31], v[6:7]
	v_rcp_f64_e32 v[34:35], v[32:33]
	v_nop
	s_delay_alu instid0(TRANS32_DEP_1) | instskip(NEXT) | instid1(VALU_DEP_1)
	v_fma_f64 v[36:37], -v[32:33], v[34:35], 1.0
	v_fmac_f64_e32 v[34:35], v[34:35], v[36:37]
	s_delay_alu instid0(VALU_DEP_1) | instskip(NEXT) | instid1(VALU_DEP_1)
	v_fma_f64 v[36:37], -v[32:33], v[34:35], 1.0
	v_fmac_f64_e32 v[34:35], v[34:35], v[36:37]
	s_delay_alu instid0(VALU_DEP_1) | instskip(SKIP_1) | instid1(VALU_DEP_1)
	v_dual_mul_f64 v[36:37], v[38:39], v[34:35] :: v_dual_mov_b32 v25, s30
	s_add_co_i32 s30, s29, 0xffffff40
	v_fma_f64 v[32:33], -v[32:33], v[36:37], v[38:39]
	ds_load_2addr_b64 v[26:29], v25 offset1:1
	v_div_fmas_f64 v[32:33], v[32:33], v[34:35], v[36:37]
	s_delay_alu instid0(VALU_DEP_1) | instskip(SKIP_1) | instid1(VALU_DEP_1)
	v_div_fixup_f64 v[34:35], v[32:33], v[30:31], v[6:7]
	s_wait_dscnt 0x0
	v_fma_f64 v[28:29], -v[34:35], v[28:29], v[4:5]
	s_delay_alu instid0(VALU_DEP_1) | instskip(SKIP_1) | instid1(VALU_DEP_2)
	v_div_scale_f64 v[4:5], null, v[26:27], v[26:27], v[28:29]
	v_div_scale_f64 v[32:33], vcc_lo, v[28:29], v[26:27], v[28:29]
	v_rcp_f64_e32 v[6:7], v[4:5]
	v_nop
	s_delay_alu instid0(TRANS32_DEP_1) | instskip(NEXT) | instid1(VALU_DEP_1)
	v_fma_f64 v[30:31], -v[4:5], v[6:7], 1.0
	v_fmac_f64_e32 v[6:7], v[6:7], v[30:31]
	s_delay_alu instid0(VALU_DEP_1) | instskip(NEXT) | instid1(VALU_DEP_1)
	v_fma_f64 v[30:31], -v[4:5], v[6:7], 1.0
	v_fmac_f64_e32 v[6:7], v[6:7], v[30:31]
	s_delay_alu instid0(VALU_DEP_1) | instskip(NEXT) | instid1(VALU_DEP_1)
	v_mul_f64_e32 v[30:31], v[32:33], v[6:7]
	v_fma_f64 v[4:5], -v[4:5], v[30:31], v[32:33]
	s_delay_alu instid0(VALU_DEP_1)
	v_div_fmas_f64 v[30:31], v[4:5], v[6:7], v[30:31]
	v_mov_b32_e32 v4, s30
	s_add_co_i32 s30, s29, 0xffffff30
	ds_load_b64 v[32:33], v4
	v_mov_b32_e32 v4, s30
	s_add_co_i32 s30, s29, 0xfffffed8
	s_addk_co_i32 s29, 0xfec8
	v_mov_b32_e32 v25, s30
	ds_load_2addr_b64 v[4:7], v4 offset1:1
	s_wait_dscnt 0x1
	v_fma_f64 v[2:3], -v[34:35], v[32:33], v[2:3]
	v_div_fixup_f64 v[36:37], v[30:31], v[26:27], v[28:29]
	s_wait_dscnt 0x0
	s_delay_alu instid0(VALU_DEP_1) | instskip(NEXT) | instid1(VALU_DEP_1)
	v_fma_f64 v[2:3], -v[36:37], v[6:7], v[2:3]
	v_div_scale_f64 v[6:7], null, v[4:5], v[4:5], v[2:3]
	v_div_scale_f64 v[28:29], vcc_lo, v[2:3], v[4:5], v[2:3]
	s_delay_alu instid0(VALU_DEP_2) | instskip(SKIP_1) | instid1(TRANS32_DEP_1)
	v_rcp_f64_e32 v[38:39], v[6:7]
	v_nop
	v_fma_f64 v[26:27], -v[6:7], v[38:39], 1.0
	s_delay_alu instid0(VALU_DEP_1) | instskip(NEXT) | instid1(VALU_DEP_1)
	v_fmac_f64_e32 v[38:39], v[38:39], v[26:27]
	v_fma_f64 v[26:27], -v[6:7], v[38:39], 1.0
	s_delay_alu instid0(VALU_DEP_1) | instskip(NEXT) | instid1(VALU_DEP_1)
	v_fmac_f64_e32 v[38:39], v[38:39], v[26:27]
	v_mul_f64_e32 v[40:41], v[28:29], v[38:39]
	s_delay_alu instid0(VALU_DEP_1)
	v_fma_f64 v[6:7], -v[6:7], v[40:41], v[28:29]
	ds_load_2addr_b64 v[26:29], v25 offset1:1
	v_mov_b32_e32 v25, s29
	s_add_co_i32 s29, s28, -4
	s_cmp_lt_i32 s28, 7
	ds_load_2addr_b64 v[30:33], v25 offset1:1
	s_wait_dscnt 0x1
	v_fma_f64 v[0:1], -v[34:35], v[28:29], v[0:1]
	v_div_fmas_f64 v[6:7], v[6:7], v[38:39], v[40:41]
	s_delay_alu instid0(VALU_DEP_2) | instskip(NEXT) | instid1(VALU_DEP_2)
	v_fma_f64 v[0:1], -v[36:37], v[26:27], v[0:1]
	v_div_fixup_f64 v[2:3], v[6:7], v[4:5], v[2:3]
	s_wait_dscnt 0x0
	s_delay_alu instid0(VALU_DEP_1) | instskip(NEXT) | instid1(VALU_DEP_1)
	v_fma_f64 v[0:1], -v[2:3], v[32:33], v[0:1]
	v_div_scale_f64 v[4:5], null, v[30:31], v[30:31], v[0:1]
	s_delay_alu instid0(VALU_DEP_1) | instskip(SKIP_1) | instid1(TRANS32_DEP_1)
	v_rcp_f64_e32 v[6:7], v[4:5]
	v_nop
	v_fma_f64 v[26:27], -v[4:5], v[6:7], 1.0
	s_delay_alu instid0(VALU_DEP_1) | instskip(NEXT) | instid1(VALU_DEP_1)
	v_fmac_f64_e32 v[6:7], v[6:7], v[26:27]
	v_fma_f64 v[26:27], -v[4:5], v[6:7], 1.0
	s_delay_alu instid0(VALU_DEP_1) | instskip(SKIP_1) | instid1(VALU_DEP_1)
	v_fmac_f64_e32 v[6:7], v[6:7], v[26:27]
	v_div_scale_f64 v[26:27], vcc_lo, v[0:1], v[30:31], v[0:1]
	v_mul_f64_e32 v[28:29], v[26:27], v[6:7]
	s_delay_alu instid0(VALU_DEP_1) | instskip(NEXT) | instid1(VALU_DEP_1)
	v_fma_f64 v[4:5], -v[4:5], v[28:29], v[26:27]
	v_div_fmas_f64 v[4:5], v[4:5], v[6:7], v[28:29]
	s_delay_alu instid0(VALU_DEP_1)
	v_div_fixup_f64 v[0:1], v[4:5], v[30:31], v[0:1]
	ds_store_b64 v21, v[34:35]
	ds_store_b64 v22, v[36:37]
	;; [unrolled: 1-line block ×4, first 2 shown]
	s_cbranch_scc1 .LBB81_53
; %bb.52:                               ;   in Loop: Header=BB81_49 Depth=2
	s_mov_b32 s28, s29
	s_branch .LBB81_49
.LBB81_53:                              ;   in Loop: Header=BB81_3 Depth=1
	s_cmp_lt_i32 s29, 0
	s_cbranch_scc1 .LBB81_66
; %bb.54:                               ;   in Loop: Header=BB81_3 Depth=1
	s_bitcmp1_b32 s29, 0
	s_cselect_b32 s27, -1, 0
	s_delay_alu instid0(SALU_CYCLE_1)
	s_and_b32 vcc_lo, exec_lo, s27
	s_mov_b32 s27, s29
	s_cbranch_vccnz .LBB81_59
; %bb.55:                               ;   in Loop: Header=BB81_3 Depth=1
	v_mad_u32 v2, 0x60, s29, v18
	s_cmp_le_i32 s25, s29
	ds_load_b64 v[0:1], v2
	s_cbranch_scc1 .LBB81_58
; %bb.56:                               ;   in Loop: Header=BB81_3 Depth=1
	v_mov_b32_e32 v3, v9
	s_mul_i32 s27, s29, 0x60
	s_mov_b32 s28, s25
	s_add_co_i32 s27, s20, s27
.LBB81_57:                              ;   Parent Loop BB81_3 Depth=1
                                        ; =>  This Inner Loop Header: Depth=2
	s_delay_alu instid0(SALU_CYCLE_1)
	v_mov_b32_e32 v6, s27
	s_add_co_i32 s28, s28, -1
	s_add_co_i32 s27, s27, -8
	s_cmp_gt_u32 s28, s29
	ds_load_b64 v[4:5], v3
	ds_load_b64 v[6:7], v6
	v_add_nc_u32_e32 v3, 0xffffffa0, v3
	s_wait_dscnt 0x0
	v_fma_f64 v[0:1], -v[4:5], v[6:7], v[0:1]
	s_cbranch_scc1 .LBB81_57
.LBB81_58:                              ;   in Loop: Header=BB81_3 Depth=1
	s_mul_i32 s27, s29, 0x68
	s_delay_alu instid0(SALU_CYCLE_1) | instskip(SKIP_4) | instid1(VALU_DEP_1)
	v_mov_b32_e32 v3, s27
	s_add_co_i32 s27, s29, -1
	ds_load_b64 v[4:5], v3
	s_wait_dscnt 0x0
	v_div_scale_f64 v[6:7], null, v[4:5], v[4:5], v[0:1]
	v_rcp_f64_e32 v[22:23], v[6:7]
	v_nop
	s_delay_alu instid0(TRANS32_DEP_1) | instskip(NEXT) | instid1(VALU_DEP_1)
	v_fma_f64 v[24:25], -v[6:7], v[22:23], 1.0
	v_fmac_f64_e32 v[22:23], v[22:23], v[24:25]
	s_delay_alu instid0(VALU_DEP_1) | instskip(NEXT) | instid1(VALU_DEP_1)
	v_fma_f64 v[24:25], -v[6:7], v[22:23], 1.0
	v_fmac_f64_e32 v[22:23], v[22:23], v[24:25]
	v_div_scale_f64 v[24:25], vcc_lo, v[0:1], v[4:5], v[0:1]
	s_delay_alu instid0(VALU_DEP_1) | instskip(NEXT) | instid1(VALU_DEP_1)
	v_mul_f64_e32 v[26:27], v[24:25], v[22:23]
	v_fma_f64 v[6:7], -v[6:7], v[26:27], v[24:25]
	s_delay_alu instid0(VALU_DEP_1) | instskip(NEXT) | instid1(VALU_DEP_1)
	v_div_fmas_f64 v[6:7], v[6:7], v[22:23], v[26:27]
	v_div_fixup_f64 v[0:1], v[6:7], v[4:5], v[0:1]
	ds_store_b64 v2, v[0:1]
.LBB81_59:                              ;   in Loop: Header=BB81_3 Depth=1
	s_cmp_eq_u32 s29, 0
	s_cbranch_scc1 .LBB81_66
; %bb.60:                               ;   in Loop: Header=BB81_3 Depth=1
	s_mul_i32 s29, s27, 0x60
	s_delay_alu instid0(SALU_CYCLE_1)
	s_add_co_i32 s28, s20, s29
	s_add_co_i32 s29, s21, s29
	s_branch .LBB81_62
.LBB81_61:                              ;   in Loop: Header=BB81_62 Depth=2
	s_addk_co_i32 s30, 0xff98
	s_add_co_i32 s27, s27, -2
	v_mov_b32_e32 v0, s30
	s_addk_co_i32 s28, 0xff40
	s_addk_co_i32 s29, 0xff40
	s_cmp_eq_u32 s31, 0
	ds_load_b64 v[0:1], v0
	s_wait_dscnt 0x0
	v_div_scale_f64 v[6:7], null, v[0:1], v[0:1], v[2:3]
	s_delay_alu instid0(VALU_DEP_1) | instskip(SKIP_1) | instid1(TRANS32_DEP_1)
	v_rcp_f64_e32 v[22:23], v[6:7]
	v_nop
	v_fma_f64 v[24:25], -v[6:7], v[22:23], 1.0
	s_delay_alu instid0(VALU_DEP_1) | instskip(NEXT) | instid1(VALU_DEP_1)
	v_fmac_f64_e32 v[22:23], v[22:23], v[24:25]
	v_fma_f64 v[24:25], -v[6:7], v[22:23], 1.0
	s_delay_alu instid0(VALU_DEP_1) | instskip(SKIP_1) | instid1(VALU_DEP_1)
	v_fmac_f64_e32 v[22:23], v[22:23], v[24:25]
	v_div_scale_f64 v[24:25], vcc_lo, v[2:3], v[0:1], v[2:3]
	v_mul_f64_e32 v[26:27], v[24:25], v[22:23]
	s_delay_alu instid0(VALU_DEP_1) | instskip(NEXT) | instid1(VALU_DEP_1)
	v_fma_f64 v[6:7], -v[6:7], v[26:27], v[24:25]
	v_div_fmas_f64 v[6:7], v[6:7], v[22:23], v[26:27]
	s_delay_alu instid0(VALU_DEP_1)
	v_div_fixup_f64 v[0:1], v[6:7], v[0:1], v[2:3]
	ds_store_b64 v5, v[0:1]
	s_cbranch_scc1 .LBB81_66
.LBB81_62:                              ;   Parent Loop BB81_3 Depth=1
                                        ; =>  This Loop Header: Depth=2
                                        ;       Child Loop BB81_63 Depth 3
                                        ;       Child Loop BB81_65 Depth 3
	v_mad_u32 v4, 0x60, s27, v18
	v_mov_b32_e32 v2, v9
	s_cmp_le_i32 s25, s27
	s_mov_b32 s30, s28
	s_mov_b32 s31, s25
	ds_load_b64 v[0:1], v4
	s_cbranch_scc1 .LBB81_64
.LBB81_63:                              ;   Parent Loop BB81_3 Depth=1
                                        ;     Parent Loop BB81_62 Depth=2
                                        ; =>    This Inner Loop Header: Depth=3
	v_mov_b32_e32 v3, s30
	s_add_co_i32 s31, s31, -1
	s_add_co_i32 s30, s30, -8
	s_cmp_le_u32 s31, s27
	ds_load_b64 v[6:7], v2
	ds_load_b64 v[22:23], v3
	v_add_nc_u32_e32 v2, 0xffffffa0, v2
	s_wait_dscnt 0x0
	v_fma_f64 v[0:1], -v[6:7], v[22:23], v[0:1]
	s_cbranch_scc0 .LBB81_63
.LBB81_64:                              ;   in Loop: Header=BB81_62 Depth=2
	s_mul_i32 s30, s27, 0x68
	s_add_co_i32 s31, s27, -1
	v_dual_mov_b32 v2, s30 :: v_dual_add_nc_u32 v5, 0xffffffa0, v4
	s_cmp_le_i32 s1, s27
	s_mov_b32 s33, s29
	s_mov_b32 s34, s25
	ds_load_b64 v[6:7], v2
	ds_load_b64 v[2:3], v5
	s_wait_dscnt 0x1
	v_div_scale_f64 v[22:23], null, v[6:7], v[6:7], v[0:1]
	s_delay_alu instid0(VALU_DEP_1) | instskip(SKIP_1) | instid1(TRANS32_DEP_1)
	v_rcp_f64_e32 v[24:25], v[22:23]
	v_nop
	v_fma_f64 v[26:27], -v[22:23], v[24:25], 1.0
	s_delay_alu instid0(VALU_DEP_1) | instskip(NEXT) | instid1(VALU_DEP_1)
	v_fmac_f64_e32 v[24:25], v[24:25], v[26:27]
	v_fma_f64 v[26:27], -v[22:23], v[24:25], 1.0
	s_delay_alu instid0(VALU_DEP_1) | instskip(SKIP_1) | instid1(VALU_DEP_1)
	v_fmac_f64_e32 v[24:25], v[24:25], v[26:27]
	v_div_scale_f64 v[26:27], vcc_lo, v[0:1], v[6:7], v[0:1]
	v_mul_f64_e32 v[28:29], v[26:27], v[24:25]
	s_delay_alu instid0(VALU_DEP_1) | instskip(NEXT) | instid1(VALU_DEP_1)
	v_fma_f64 v[22:23], -v[22:23], v[28:29], v[26:27]
	v_div_fmas_f64 v[22:23], v[22:23], v[24:25], v[28:29]
	s_delay_alu instid0(VALU_DEP_1)
	v_div_fixup_f64 v[6:7], v[22:23], v[6:7], v[0:1]
	v_mov_b32_e32 v0, v9
	ds_store_b64 v4, v[6:7]
	s_cbranch_scc1 .LBB81_61
.LBB81_65:                              ;   Parent Loop BB81_3 Depth=1
                                        ;     Parent Loop BB81_62 Depth=2
                                        ; =>    This Inner Loop Header: Depth=3
	v_mov_b32_e32 v1, s33
	s_add_co_i32 s34, s34, -1
	s_add_co_i32 s33, s33, -8
	s_cmp_gt_u32 s34, s31
	ds_load_b64 v[6:7], v0
	ds_load_b64 v[22:23], v1
	v_add_nc_u32_e32 v0, 0xffffffa0, v0
	s_wait_dscnt 0x0
	v_fma_f64 v[2:3], -v[6:7], v[22:23], v[2:3]
	s_cbranch_scc1 .LBB81_65
	s_branch .LBB81_61
.LBB81_66:                              ;   in Loop: Header=BB81_3 Depth=1
	s_mov_b32 s27, 0
.LBB81_67:                              ;   in Loop: Header=BB81_3 Depth=1
	s_delay_alu instid0(SALU_CYCLE_1)
	s_and_not1_b32 vcc_lo, exec_lo, s27
	s_cbranch_vccnz .LBB81_79
; %bb.68:                               ;   in Loop: Header=BB81_3 Depth=1
	s_and_not1_b32 vcc_lo, exec_lo, s22
	s_mov_b32 s29, 0
	s_cbranch_vccnz .LBB81_74
; %bb.69:                               ;   in Loop: Header=BB81_3 Depth=1
	s_mov_b32 s27, 0
	s_mov_b32 s28, 0
.LBB81_70:                              ;   Parent Loop BB81_3 Depth=1
                                        ; =>  This Loop Header: Depth=2
                                        ;       Child Loop BB81_71 Depth 3
	s_delay_alu instid0(SALU_CYCLE_1)
	s_mul_i32 s29, s28, 12
	v_mov_b32_e32 v22, v18
	v_lshl_add_u32 v21, s29, 3, v18
	s_cmp_eq_u32 s28, 0
	s_mov_b32 s30, s27
	s_mov_b32 s31, s28
	ds_load_2addr_b64 v[4:7], v21 offset1:12
	ds_load_2addr_b64 v[0:3], v21 offset0:24 offset1:36
	s_cbranch_scc1 .LBB81_72
.LBB81_71:                              ;   Parent Loop BB81_3 Depth=1
                                        ;     Parent Loop BB81_70 Depth=2
                                        ; =>    This Inner Loop Header: Depth=3
	v_mov_b32_e32 v23, s30
	s_add_co_i32 s31, s31, -1
	s_add_co_i32 s30, s30, 8
	s_cmp_eq_u32 s31, 0
	ds_load_b64 v[32:33], v22
	ds_load_2addr_b64 v[24:27], v23 offset1:12
	ds_load_2addr_b64 v[28:31], v23 offset0:24 offset1:36
	v_add_nc_u32_e32 v22, 0x60, v22
	s_wait_dscnt 0x1
	v_fma_f64 v[4:5], -v[32:33], v[24:25], v[4:5]
	v_fma_f64 v[6:7], -v[32:33], v[26:27], v[6:7]
	s_wait_dscnt 0x0
	v_fma_f64 v[0:1], -v[32:33], v[28:29], v[0:1]
	v_fma_f64 v[2:3], -v[32:33], v[30:31], v[2:3]
	s_cbranch_scc0 .LBB81_71
.LBB81_72:                              ;   in Loop: Header=BB81_70 Depth=2
	s_mul_i32 s30, s28, 0x68
	s_lshl_b32 s29, s29, 3
	v_mov_b32_e32 v22, s30
	s_lshl_b32 s30, s28, 3
	s_addk_co_i32 s27, 0x180
	s_add_co_i32 s29, s29, s30
	s_delay_alu instid0(SALU_CYCLE_1)
	v_mov_b32_e32 v38, s29
	ds_load_b64 v[26:27], v22
	s_add_co_i32 s29, s28, 4
	s_add_co_i32 s28, s28, 7
	ds_load_b128 v[22:25], v38 offset:96
	s_cmp_ge_i32 s28, s1
	s_wait_dscnt 0x1
	v_div_scale_f64 v[28:29], null, v[26:27], v[26:27], v[4:5]
	v_div_scale_f64 v[34:35], vcc_lo, v[4:5], v[26:27], v[4:5]
	s_delay_alu instid0(VALU_DEP_2) | instskip(SKIP_1) | instid1(TRANS32_DEP_1)
	v_rcp_f64_e32 v[30:31], v[28:29]
	v_nop
	v_fma_f64 v[32:33], -v[28:29], v[30:31], 1.0
	s_delay_alu instid0(VALU_DEP_1) | instskip(NEXT) | instid1(VALU_DEP_1)
	v_fmac_f64_e32 v[30:31], v[30:31], v[32:33]
	v_fma_f64 v[32:33], -v[28:29], v[30:31], 1.0
	s_delay_alu instid0(VALU_DEP_1) | instskip(NEXT) | instid1(VALU_DEP_1)
	v_fmac_f64_e32 v[30:31], v[30:31], v[32:33]
	v_mul_f64_e32 v[32:33], v[34:35], v[30:31]
	s_delay_alu instid0(VALU_DEP_1) | instskip(NEXT) | instid1(VALU_DEP_1)
	v_fma_f64 v[28:29], -v[28:29], v[32:33], v[34:35]
	v_div_fmas_f64 v[28:29], v[28:29], v[30:31], v[32:33]
	s_delay_alu instid0(VALU_DEP_1) | instskip(SKIP_1) | instid1(VALU_DEP_1)
	v_div_fixup_f64 v[26:27], v[28:29], v[26:27], v[4:5]
	s_wait_dscnt 0x0
	v_fma_f64 v[22:23], -v[26:27], v[22:23], v[6:7]
	s_delay_alu instid0(VALU_DEP_1) | instskip(SKIP_1) | instid1(VALU_DEP_2)
	v_div_scale_f64 v[4:5], null, v[24:25], v[24:25], v[22:23]
	v_div_scale_f64 v[30:31], vcc_lo, v[22:23], v[24:25], v[22:23]
	v_rcp_f64_e32 v[6:7], v[4:5]
	v_nop
	s_delay_alu instid0(TRANS32_DEP_1) | instskip(NEXT) | instid1(VALU_DEP_1)
	v_fma_f64 v[28:29], -v[4:5], v[6:7], 1.0
	v_fmac_f64_e32 v[6:7], v[6:7], v[28:29]
	s_delay_alu instid0(VALU_DEP_1) | instskip(NEXT) | instid1(VALU_DEP_1)
	v_fma_f64 v[28:29], -v[4:5], v[6:7], 1.0
	v_fmac_f64_e32 v[6:7], v[6:7], v[28:29]
	s_delay_alu instid0(VALU_DEP_1) | instskip(NEXT) | instid1(VALU_DEP_1)
	v_mul_f64_e32 v[28:29], v[30:31], v[6:7]
	v_fma_f64 v[4:5], -v[4:5], v[28:29], v[30:31]
	s_delay_alu instid0(VALU_DEP_1)
	v_div_fmas_f64 v[28:29], v[4:5], v[6:7], v[28:29]
	ds_load_b128 v[4:7], v38 offset:192
	ds_load_b64 v[30:31], v38 offset:208
	s_wait_dscnt 0x1
	v_fma_f64 v[0:1], -v[26:27], v[4:5], v[0:1]
	v_div_fixup_f64 v[28:29], v[28:29], v[24:25], v[22:23]
	s_delay_alu instid0(VALU_DEP_1) | instskip(SKIP_1) | instid1(VALU_DEP_1)
	v_fma_f64 v[0:1], -v[28:29], v[6:7], v[0:1]
	s_wait_dscnt 0x0
	v_div_scale_f64 v[4:5], null, v[30:31], v[30:31], v[0:1]
	v_div_scale_f64 v[22:23], vcc_lo, v[0:1], v[30:31], v[0:1]
	s_delay_alu instid0(VALU_DEP_2) | instskip(SKIP_1) | instid1(TRANS32_DEP_1)
	v_rcp_f64_e32 v[32:33], v[4:5]
	v_nop
	v_fma_f64 v[6:7], -v[4:5], v[32:33], 1.0
	s_delay_alu instid0(VALU_DEP_1) | instskip(NEXT) | instid1(VALU_DEP_1)
	v_fmac_f64_e32 v[32:33], v[32:33], v[6:7]
	v_fma_f64 v[6:7], -v[4:5], v[32:33], 1.0
	s_delay_alu instid0(VALU_DEP_1) | instskip(NEXT) | instid1(VALU_DEP_1)
	v_fmac_f64_e32 v[32:33], v[32:33], v[6:7]
	v_mul_f64_e32 v[34:35], v[22:23], v[32:33]
	s_delay_alu instid0(VALU_DEP_1)
	v_fma_f64 v[36:37], -v[4:5], v[34:35], v[22:23]
	ds_load_b128 v[4:7], v38 offset:288
	ds_load_b128 v[22:25], v38 offset:304
	s_wait_dscnt 0x1
	v_fma_f64 v[2:3], -v[26:27], v[4:5], v[2:3]
	v_div_fmas_f64 v[4:5], v[36:37], v[32:33], v[34:35]
	s_delay_alu instid0(VALU_DEP_2) | instskip(NEXT) | instid1(VALU_DEP_2)
	v_fma_f64 v[2:3], -v[28:29], v[6:7], v[2:3]
	v_div_fixup_f64 v[0:1], v[4:5], v[30:31], v[0:1]
	s_wait_dscnt 0x0
	s_delay_alu instid0(VALU_DEP_1) | instskip(NEXT) | instid1(VALU_DEP_1)
	v_fma_f64 v[2:3], -v[0:1], v[22:23], v[2:3]
	v_div_scale_f64 v[4:5], null, v[24:25], v[24:25], v[2:3]
	s_delay_alu instid0(VALU_DEP_1) | instskip(SKIP_1) | instid1(TRANS32_DEP_1)
	v_rcp_f64_e32 v[6:7], v[4:5]
	v_nop
	v_fma_f64 v[22:23], -v[4:5], v[6:7], 1.0
	s_delay_alu instid0(VALU_DEP_1) | instskip(NEXT) | instid1(VALU_DEP_1)
	v_fmac_f64_e32 v[6:7], v[6:7], v[22:23]
	v_fma_f64 v[22:23], -v[4:5], v[6:7], 1.0
	s_delay_alu instid0(VALU_DEP_1) | instskip(SKIP_1) | instid1(VALU_DEP_1)
	v_fmac_f64_e32 v[6:7], v[6:7], v[22:23]
	v_div_scale_f64 v[22:23], vcc_lo, v[2:3], v[24:25], v[2:3]
	v_mul_f64_e32 v[30:31], v[22:23], v[6:7]
	s_delay_alu instid0(VALU_DEP_1) | instskip(NEXT) | instid1(VALU_DEP_1)
	v_fma_f64 v[4:5], -v[4:5], v[30:31], v[22:23]
	v_div_fmas_f64 v[4:5], v[4:5], v[6:7], v[30:31]
	s_delay_alu instid0(VALU_DEP_1)
	v_div_fixup_f64 v[2:3], v[4:5], v[24:25], v[2:3]
	ds_store_2addr_b64 v21, v[26:27], v[28:29] offset1:12
	ds_store_2addr_b64 v21, v[0:1], v[2:3] offset0:24 offset1:36
	s_cbranch_scc1 .LBB81_74
; %bb.73:                               ;   in Loop: Header=BB81_70 Depth=2
	s_mov_b32 s28, s29
	s_branch .LBB81_70
.LBB81_74:                              ;   in Loop: Header=BB81_3 Depth=1
	s_cmp_ge_i32 s29, s1
	s_cbranch_scc1 .LBB81_79
; %bb.75:                               ;   in Loop: Header=BB81_3 Depth=1
	s_mul_i32 s27, s29, 0x60
	s_branch .LBB81_77
.LBB81_76:                              ;   in Loop: Header=BB81_77 Depth=2
	s_mul_i32 s28, s29, 0x68
	s_add_co_i32 s29, s29, 1
	v_mov_b32_e32 v3, s28
	s_addk_co_i32 s27, 0x60
	s_cmp_ge_i32 s29, s1
	ds_load_b64 v[4:5], v3
	s_wait_dscnt 0x0
	v_div_scale_f64 v[6:7], null, v[4:5], v[4:5], v[0:1]
	s_delay_alu instid0(VALU_DEP_1) | instskip(SKIP_1) | instid1(TRANS32_DEP_1)
	v_rcp_f64_e32 v[22:23], v[6:7]
	v_nop
	v_fma_f64 v[24:25], -v[6:7], v[22:23], 1.0
	s_delay_alu instid0(VALU_DEP_1) | instskip(NEXT) | instid1(VALU_DEP_1)
	v_fmac_f64_e32 v[22:23], v[22:23], v[24:25]
	v_fma_f64 v[24:25], -v[6:7], v[22:23], 1.0
	s_delay_alu instid0(VALU_DEP_1) | instskip(SKIP_1) | instid1(VALU_DEP_1)
	v_fmac_f64_e32 v[22:23], v[22:23], v[24:25]
	v_div_scale_f64 v[24:25], vcc_lo, v[0:1], v[4:5], v[0:1]
	v_mul_f64_e32 v[26:27], v[24:25], v[22:23]
	s_delay_alu instid0(VALU_DEP_1) | instskip(NEXT) | instid1(VALU_DEP_1)
	v_fma_f64 v[6:7], -v[6:7], v[26:27], v[24:25]
	v_div_fmas_f64 v[6:7], v[6:7], v[22:23], v[26:27]
	s_delay_alu instid0(VALU_DEP_1)
	v_div_fixup_f64 v[0:1], v[6:7], v[4:5], v[0:1]
	ds_store_b64 v2, v[0:1]
	s_cbranch_scc1 .LBB81_79
.LBB81_77:                              ;   Parent Loop BB81_3 Depth=1
                                        ; =>  This Loop Header: Depth=2
                                        ;       Child Loop BB81_78 Depth 3
	v_mad_u32 v2, 0x60, s29, v18
	v_mov_b32_e32 v3, v18
	s_cmp_eq_u32 s29, 0
	s_mov_b32 s28, s27
	s_mov_b32 s30, s29
	ds_load_b64 v[0:1], v2
	s_cbranch_scc1 .LBB81_76
.LBB81_78:                              ;   Parent Loop BB81_3 Depth=1
                                        ;     Parent Loop BB81_77 Depth=2
                                        ; =>    This Inner Loop Header: Depth=3
	v_mov_b32_e32 v6, s28
	s_add_co_i32 s30, s30, -1
	s_add_co_i32 s28, s28, 8
	s_cmp_eq_u32 s30, 0
	ds_load_b64 v[4:5], v3
	ds_load_b64 v[6:7], v6
	v_add_nc_u32_e32 v3, 0x60, v3
	s_wait_dscnt 0x0
	v_fma_f64 v[0:1], -v[4:5], v[6:7], v[0:1]
	s_cbranch_scc0 .LBB81_78
	s_branch .LBB81_76
.LBB81_79:                              ;   in Loop: Header=BB81_3 Depth=1
	s_and_saveexec_b32 s27, s26
	s_cbranch_execz .LBB81_2
; %bb.80:                               ;   in Loop: Header=BB81_3 Depth=1
	v_mov_b32_e32 v0, v18
	s_mov_b32 s28, s24
.LBB81_81:                              ;   Parent Loop BB81_3 Depth=1
                                        ; =>  This Inner Loop Header: Depth=2
	ds_load_b64 v[2:3], v0
	v_add_nc_u32_e32 v0, 0x60, v0
	s_add_co_i32 s28, s28, -1
	s_delay_alu instid0(SALU_CYCLE_1)
	s_cmp_lg_u32 s28, 0
	s_wait_dscnt 0x0
	global_store_b64 v[16:17], v[2:3], off
	s_wait_xcnt 0x0
	v_add_nc_u64_e32 v[16:17], s[6:7], v[16:17]
	s_cbranch_scc1 .LBB81_81
	s_branch .LBB81_2
.LBB81_82:
	s_endpgm
	.section	.rodata,"a",@progbits
	.p2align	6, 0x0
	.amdhsa_kernel _ZL31rocblas_trsm_small_right_deviceIddPKdPdLi12EEv13rocblas_fill_18rocblas_operation_17rocblas_diagonal_iiT0_T1_lilT2_lili
		.amdhsa_group_segment_fixed_size 2304
		.amdhsa_private_segment_fixed_size 0
		.amdhsa_kernarg_size 360
		.amdhsa_user_sgpr_count 2
		.amdhsa_user_sgpr_dispatch_ptr 0
		.amdhsa_user_sgpr_queue_ptr 0
		.amdhsa_user_sgpr_kernarg_segment_ptr 1
		.amdhsa_user_sgpr_dispatch_id 0
		.amdhsa_user_sgpr_kernarg_preload_length 0
		.amdhsa_user_sgpr_kernarg_preload_offset 0
		.amdhsa_user_sgpr_private_segment_size 0
		.amdhsa_wavefront_size32 1
		.amdhsa_uses_dynamic_stack 0
		.amdhsa_enable_private_segment 0
		.amdhsa_system_sgpr_workgroup_id_x 1
		.amdhsa_system_sgpr_workgroup_id_y 0
		.amdhsa_system_sgpr_workgroup_id_z 1
		.amdhsa_system_sgpr_workgroup_info 0
		.amdhsa_system_vgpr_workitem_id 0
		.amdhsa_next_free_vgpr 44
		.amdhsa_next_free_sgpr 38
		.amdhsa_named_barrier_count 0
		.amdhsa_reserve_vcc 1
		.amdhsa_float_round_mode_32 0
		.amdhsa_float_round_mode_16_64 0
		.amdhsa_float_denorm_mode_32 3
		.amdhsa_float_denorm_mode_16_64 3
		.amdhsa_fp16_overflow 0
		.amdhsa_memory_ordered 1
		.amdhsa_forward_progress 1
		.amdhsa_inst_pref_size 49
		.amdhsa_round_robin_scheduling 0
		.amdhsa_exception_fp_ieee_invalid_op 0
		.amdhsa_exception_fp_denorm_src 0
		.amdhsa_exception_fp_ieee_div_zero 0
		.amdhsa_exception_fp_ieee_overflow 0
		.amdhsa_exception_fp_ieee_underflow 0
		.amdhsa_exception_fp_ieee_inexact 0
		.amdhsa_exception_int_div_zero 0
	.end_amdhsa_kernel
	.section	.text._ZL31rocblas_trsm_small_right_deviceIddPKdPdLi12EEv13rocblas_fill_18rocblas_operation_17rocblas_diagonal_iiT0_T1_lilT2_lili,"axG",@progbits,_ZL31rocblas_trsm_small_right_deviceIddPKdPdLi12EEv13rocblas_fill_18rocblas_operation_17rocblas_diagonal_iiT0_T1_lilT2_lili,comdat
.Lfunc_end81:
	.size	_ZL31rocblas_trsm_small_right_deviceIddPKdPdLi12EEv13rocblas_fill_18rocblas_operation_17rocblas_diagonal_iiT0_T1_lilT2_lili, .Lfunc_end81-_ZL31rocblas_trsm_small_right_deviceIddPKdPdLi12EEv13rocblas_fill_18rocblas_operation_17rocblas_diagonal_iiT0_T1_lilT2_lili
                                        ; -- End function
	.set _ZL31rocblas_trsm_small_right_deviceIddPKdPdLi12EEv13rocblas_fill_18rocblas_operation_17rocblas_diagonal_iiT0_T1_lilT2_lili.num_vgpr, 44
	.set _ZL31rocblas_trsm_small_right_deviceIddPKdPdLi12EEv13rocblas_fill_18rocblas_operation_17rocblas_diagonal_iiT0_T1_lilT2_lili.num_agpr, 0
	.set _ZL31rocblas_trsm_small_right_deviceIddPKdPdLi12EEv13rocblas_fill_18rocblas_operation_17rocblas_diagonal_iiT0_T1_lilT2_lili.numbered_sgpr, 38
	.set _ZL31rocblas_trsm_small_right_deviceIddPKdPdLi12EEv13rocblas_fill_18rocblas_operation_17rocblas_diagonal_iiT0_T1_lilT2_lili.num_named_barrier, 0
	.set _ZL31rocblas_trsm_small_right_deviceIddPKdPdLi12EEv13rocblas_fill_18rocblas_operation_17rocblas_diagonal_iiT0_T1_lilT2_lili.private_seg_size, 0
	.set _ZL31rocblas_trsm_small_right_deviceIddPKdPdLi12EEv13rocblas_fill_18rocblas_operation_17rocblas_diagonal_iiT0_T1_lilT2_lili.uses_vcc, 1
	.set _ZL31rocblas_trsm_small_right_deviceIddPKdPdLi12EEv13rocblas_fill_18rocblas_operation_17rocblas_diagonal_iiT0_T1_lilT2_lili.uses_flat_scratch, 0
	.set _ZL31rocblas_trsm_small_right_deviceIddPKdPdLi12EEv13rocblas_fill_18rocblas_operation_17rocblas_diagonal_iiT0_T1_lilT2_lili.has_dyn_sized_stack, 0
	.set _ZL31rocblas_trsm_small_right_deviceIddPKdPdLi12EEv13rocblas_fill_18rocblas_operation_17rocblas_diagonal_iiT0_T1_lilT2_lili.has_recursion, 0
	.set _ZL31rocblas_trsm_small_right_deviceIddPKdPdLi12EEv13rocblas_fill_18rocblas_operation_17rocblas_diagonal_iiT0_T1_lilT2_lili.has_indirect_call, 0
	.section	.AMDGPU.csdata,"",@progbits
; Kernel info:
; codeLenInByte = 6200
; TotalNumSgprs: 40
; NumVgprs: 44
; ScratchSize: 0
; MemoryBound: 0
; FloatMode: 240
; IeeeMode: 1
; LDSByteSize: 2304 bytes/workgroup (compile time only)
; SGPRBlocks: 0
; VGPRBlocks: 2
; NumSGPRsForWavesPerEU: 40
; NumVGPRsForWavesPerEU: 44
; NamedBarCnt: 0
; Occupancy: 16
; WaveLimiterHint : 0
; COMPUTE_PGM_RSRC2:SCRATCH_EN: 0
; COMPUTE_PGM_RSRC2:USER_SGPR: 2
; COMPUTE_PGM_RSRC2:TRAP_HANDLER: 0
; COMPUTE_PGM_RSRC2:TGID_X_EN: 1
; COMPUTE_PGM_RSRC2:TGID_Y_EN: 0
; COMPUTE_PGM_RSRC2:TGID_Z_EN: 1
; COMPUTE_PGM_RSRC2:TIDIG_COMP_CNT: 0
	.section	.text._ZL38rocblas_trsm_small_left_device_sharedBILi16ELi16ELb0EddPKdPdEv13rocblas_fill_18rocblas_operation_17rocblas_diagonal_iiT3_T4_lilT5_lili,"axG",@progbits,_ZL38rocblas_trsm_small_left_device_sharedBILi16ELi16ELb0EddPKdPdEv13rocblas_fill_18rocblas_operation_17rocblas_diagonal_iiT3_T4_lilT5_lili,comdat
	.globl	_ZL38rocblas_trsm_small_left_device_sharedBILi16ELi16ELb0EddPKdPdEv13rocblas_fill_18rocblas_operation_17rocblas_diagonal_iiT3_T4_lilT5_lili ; -- Begin function _ZL38rocblas_trsm_small_left_device_sharedBILi16ELi16ELb0EddPKdPdEv13rocblas_fill_18rocblas_operation_17rocblas_diagonal_iiT3_T4_lilT5_lili
	.p2align	8
	.type	_ZL38rocblas_trsm_small_left_device_sharedBILi16ELi16ELb0EddPKdPdEv13rocblas_fill_18rocblas_operation_17rocblas_diagonal_iiT3_T4_lilT5_lili,@function
_ZL38rocblas_trsm_small_left_device_sharedBILi16ELi16ELb0EddPKdPdEv13rocblas_fill_18rocblas_operation_17rocblas_diagonal_iiT3_T4_lilT5_lili: ; @_ZL38rocblas_trsm_small_left_device_sharedBILi16ELi16ELb0EddPKdPdEv13rocblas_fill_18rocblas_operation_17rocblas_diagonal_iiT3_T4_lilT5_lili
; %bb.0:
	s_load_b32 s19, s[0:1], 0x60
	s_bfe_u32 s2, ttmp6, 0x40014
	s_lshr_b32 s3, ttmp7, 16
	s_add_co_i32 s2, s2, 1
	s_bfe_u32 s5, ttmp6, 0x40008
	s_mul_i32 s4, s3, s2
	s_getreg_b32 s2, hwreg(HW_REG_IB_STS2, 6, 4)
	s_add_co_i32 s5, s5, s4
	s_cmp_eq_u32 s2, 0
	s_cselect_b32 s23, s3, s5
	s_wait_kmcnt 0x0
	s_cmp_ge_u32 s23, s19
	s_cbranch_scc1 .LBB82_55
; %bb.1:
	s_clause 0x6
	s_load_b96 s[16:18], s[0:1], 0x28
	s_load_b96 s[20:22], s[0:1], 0x48
	s_load_b128 s[12:15], s[0:1], 0x4
	s_load_b32 s3, s[0:1], 0x68
	s_load_b64 s[24:25], s[0:1], 0x58
	s_load_b128 s[4:7], s[0:1], 0x18
	s_load_b128 s[8:11], s[0:1], 0x38
	s_wait_xcnt 0x0
	s_bfe_u32 s0, ttmp6, 0x4000c
	s_and_b32 s1, ttmp6, 15
	s_add_co_i32 s0, s0, 1
	v_dual_mov_b32 v67, 0 :: v_dual_lshlrev_b32 v66, 3, v0
	s_mul_i32 s0, ttmp9, s0
	v_lshlrev_b32_e32 v34, 7, v0
	s_add_co_i32 s0, s1, s0
	s_delay_alu instid0(VALU_DEP_2)
	v_or_b32_e32 v74, 0x800, v66
	v_dual_mov_b32 v2, v67 :: v_dual_mov_b32 v3, v67
	v_dual_mov_b32 v4, v67 :: v_dual_mov_b32 v5, v67
	v_mov_b32_e32 v6, v67
	s_wait_kmcnt 0x0
	s_ashr_i32 s31, s18, 31
	s_min_i32 s1, s14, 16
	s_ashr_i32 s29, s22, 31
	s_add_co_i32 s3, s3, -1
	s_add_co_i32 s26, s1, -1
	s_cmp_eq_u32 s2, 0
	v_dual_mov_b32 v8, v67 :: v_dual_mov_b32 v9, v67
	s_cselect_b32 s0, ttmp9, s0
	v_dual_mov_b32 v10, v67 :: v_dual_mov_b32 v11, v67
	s_lshl_b32 s2, s0, 4
	v_dual_mov_b32 v12, v67 :: v_dual_mov_b32 v13, v67
	s_sub_co_i32 s15, s15, s2
	s_cmp_ge_u32 s0, s3
	v_dual_mov_b32 v14, v67 :: v_dual_mov_b32 v15, v67
	s_cselect_b32 s0, s15, 16
	s_ashr_i32 s3, s2, 31
	s_cmp_lg_u32 s13, 0x84
	v_cmp_gt_i32_e32 vcc_lo, s0, v0
	s_cselect_b32 s27, -1, 0
	s_cmp_gt_i32 s14, 0
	v_cmp_gt_i32_e64 s0, s1, v0
	s_cselect_b32 s14, -1, 0
	s_cmp_lg_u32 s12, 0x6f
	v_dual_mov_b32 v16, v67 :: v_dual_mov_b32 v17, v67
	s_cselect_b32 s28, -1, 0
	s_lshl_b64 s[2:3], s[2:3], 3
	s_delay_alu instid0(SALU_CYCLE_1)
	v_dual_mov_b32 v7, v67 :: v_dual_bitop2_b32 v21, s2, v66 bitop3:0x54
	s_lshl_b64 s[12:13], s[20:21], 3
	v_dual_mov_b32 v18, v67 :: v_dual_mov_b32 v19, v67
	s_add_nc_u64 s[10:11], s[10:11], s[12:13]
	v_mov_b32_e32 v20, v67
	v_mad_nc_u64_u32 v[68:69], v21, s22, s[10:11]
	s_lshl_b64 s[10:11], s[16:17], 3
	v_dual_mov_b32 v24, v67 :: v_dual_mov_b32 v25, v67
	v_dual_mov_b32 v26, v67 :: v_dual_mov_b32 v27, v67
	;; [unrolled: 1-line block ×5, first 2 shown]
	v_mad_u32 v22, s3, s22, v69
	s_lshl_b64 s[2:3], s[8:9], 3
	s_add_nc_u64 s[8:9], s[6:7], s[10:11]
	v_mov_b32_e32 v23, v67
	v_add_nc_u64_e32 v[0:1], s[8:9], v[66:67]
	s_mov_b32 s30, s18
	s_lshl_b32 s20, s1, 7
	s_and_b32 s18, vcc_lo, s14
	s_lshl_b64 s[6:7], s[30:31], 3
	s_lshl_b64 s[10:11], s[24:25], 3
	s_addk_co_i32 s20, 0xff80
	v_mad_u32 v69, v21, s29, v22
	v_dual_mov_b32 v21, v67 :: v_dual_mov_b32 v22, v67
	v_add_nc_u32_e32 v67, v66, v34
	s_get_pc_i64 s[8:9]
	s_add_nc_u64 s[8:9], s[8:9], __const._ZL38rocblas_trsm_small_left_device_sharedBILi16ELi16ELb0EddPKdPdEv13rocblas_fill_18rocblas_operation_17rocblas_diagonal_iiT3_T4_lilT5_lili.step_sizes@rel64+4
	s_branch .LBB82_3
.LBB82_2:                               ;   in Loop: Header=BB82_3 Depth=1
	s_or_b32 exec_lo, exec_lo, s12
	s_delay_alu instid0(VALU_DEP_1)
	v_mov_b64_e32 v[2:3], v[34:35]
	v_mov_b64_e32 v[4:5], v[36:37]
	;; [unrolled: 1-line block ×16, first 2 shown]
	s_add_co_i32 s23, s23, 0x10000
	s_delay_alu instid0(SALU_CYCLE_1)
	s_cmp_lt_u32 s23, s19
	s_cbranch_scc0 .LBB82_55
.LBB82_3:                               ; =>This Loop Header: Depth=1
                                        ;     Child Loop BB82_5 Depth 2
                                        ;     Child Loop BB82_11 Depth 2
	;; [unrolled: 1-line block ×3, first 2 shown]
                                        ;       Child Loop BB82_17 Depth 3
                                        ;         Child Loop BB82_18 Depth 4
                                        ;         Child Loop BB82_21 Depth 4
                                        ;           Child Loop BB82_22 Depth 5
                                        ;         Child Loop BB82_27 Depth 4
                                        ;           Child Loop BB82_29 Depth 5
                                        ;     Child Loop BB82_37 Depth 2
                                        ;       Child Loop BB82_38 Depth 3
                                        ;       Child Loop BB82_40 Depth 3
                                        ;         Child Loop BB82_41 Depth 4
                                        ;       Child Loop BB82_46 Depth 3
                                        ;         Child Loop BB82_48 Depth 4
                                        ;     Child Loop BB82_49 Depth 2
                                        ;     Child Loop BB82_54 Depth 2
	s_and_saveexec_b32 s12, s0
	s_cbranch_execz .LBB82_9
; %bb.4:                                ;   in Loop: Header=BB82_3 Depth=1
	v_mad_nc_u64_u32 v[34:35], s2, s23, v[0:1]
	v_mov_b32_e32 v36, v66
	s_mov_b32 s13, s1
	s_delay_alu instid0(VALU_DEP_2)
	v_mad_u32 v35, s3, s23, v35
.LBB82_5:                               ;   Parent Loop BB82_3 Depth=1
                                        ; =>  This Inner Loop Header: Depth=2
	global_load_b64 v[38:39], v[34:35], off
	s_wait_xcnt 0x0
	v_add_nc_u64_e32 v[34:35], s[6:7], v[34:35]
	s_add_co_i32 s13, s13, -1
	s_delay_alu instid0(SALU_CYCLE_1)
	s_cmp_eq_u32 s13, 0
	s_wait_loadcnt 0x0
	ds_store_b64 v36, v[38:39]
	v_add_nc_u32_e32 v36, 0x80, v36
	s_cbranch_scc0 .LBB82_5
; %bb.6:                                ;   in Loop: Header=BB82_3 Depth=1
	v_mov_b64_e32 v[34:35], 1.0
	s_and_b32 vcc_lo, exec_lo, s27
	s_cbranch_vccz .LBB82_8
; %bb.7:                                ;   in Loop: Header=BB82_3 Depth=1
	ds_load_b64 v[34:35], v67
	s_wait_dscnt 0x0
	v_div_scale_f64 v[36:37], null, v[34:35], v[34:35], 1.0
	s_delay_alu instid0(VALU_DEP_1) | instskip(SKIP_1) | instid1(TRANS32_DEP_1)
	v_rcp_f64_e32 v[38:39], v[36:37]
	v_nop
	v_fma_f64 v[40:41], -v[36:37], v[38:39], 1.0
	s_delay_alu instid0(VALU_DEP_1) | instskip(NEXT) | instid1(VALU_DEP_1)
	v_fmac_f64_e32 v[38:39], v[38:39], v[40:41]
	v_fma_f64 v[40:41], -v[36:37], v[38:39], 1.0
	s_delay_alu instid0(VALU_DEP_1) | instskip(SKIP_1) | instid1(VALU_DEP_1)
	v_fmac_f64_e32 v[38:39], v[38:39], v[40:41]
	v_div_scale_f64 v[40:41], vcc_lo, 1.0, v[34:35], 1.0
	v_mul_f64_e32 v[42:43], v[40:41], v[38:39]
	s_delay_alu instid0(VALU_DEP_1) | instskip(NEXT) | instid1(VALU_DEP_1)
	v_fma_f64 v[36:37], -v[36:37], v[42:43], v[40:41]
	v_div_fmas_f64 v[36:37], v[36:37], v[38:39], v[42:43]
	s_delay_alu instid0(VALU_DEP_1)
	v_div_fixup_f64 v[34:35], v[36:37], v[34:35], 1.0
.LBB82_8:                               ;   in Loop: Header=BB82_3 Depth=1
	ds_store_b64 v67, v[34:35]
.LBB82_9:                               ;   in Loop: Header=BB82_3 Depth=1
	s_or_b32 exec_lo, exec_lo, s12
	s_delay_alu instid0(VALU_DEP_3) | instskip(NEXT) | instid1(VALU_DEP_1)
	v_mad_nc_u64_u32 v[70:71], s10, s23, v[68:69]
	v_mad_u32 v71, s11, s23, v71
	s_and_saveexec_b32 s12, s18
	s_cbranch_execz .LBB82_12
; %bb.10:                               ;   in Loop: Header=BB82_3 Depth=1
	s_delay_alu instid0(VALU_DEP_1)
	v_mov_b64_e32 v[34:35], v[70:71]
	v_mov_b32_e32 v36, v74
	s_mov_b32 s13, s1
.LBB82_11:                              ;   Parent Loop BB82_3 Depth=1
                                        ; =>  This Inner Loop Header: Depth=2
	global_load_b64 v[38:39], v[34:35], off
	s_wait_xcnt 0x0
	v_add_nc_u64_e32 v[34:35], 8, v[34:35]
	s_add_co_i32 s13, s13, -1
	s_delay_alu instid0(SALU_CYCLE_1)
	s_cmp_lg_u32 s13, 0
	s_wait_loadcnt 0x0
	v_mul_f64_e32 v[38:39], s[4:5], v[38:39]
	ds_store_b64 v36, v[38:39]
	v_add_nc_u32_e32 v36, 0x80, v36
	s_cbranch_scc1 .LBB82_11
.LBB82_12:                              ;   in Loop: Header=BB82_3 Depth=1
	s_or_b32 exec_lo, exec_lo, s12
	s_delay_alu instid0(SALU_CYCLE_1)
	s_and_not1_b32 vcc_lo, exec_lo, s28
	s_mov_b32 s12, -1
	s_wait_dscnt 0x0
	; wave barrier
                                        ; implicit-def: $vgpr34_vgpr35_vgpr36_vgpr37_vgpr38_vgpr39_vgpr40_vgpr41_vgpr42_vgpr43_vgpr44_vgpr45_vgpr46_vgpr47_vgpr48_vgpr49_vgpr50_vgpr51_vgpr52_vgpr53_vgpr54_vgpr55_vgpr56_vgpr57_vgpr58_vgpr59_vgpr60_vgpr61_vgpr62_vgpr63_vgpr64_vgpr65
	s_cbranch_vccnz .LBB82_33
; %bb.13:                               ;   in Loop: Header=BB82_3 Depth=1
	v_mov_b64_e32 v[64:65], v[32:33]
	v_mov_b64_e32 v[62:63], v[30:31]
	;; [unrolled: 1-line block ×16, first 2 shown]
	s_wait_xcnt 0x0
	s_mov_b32 s22, 0
	s_mov_b32 s21, 0
.LBB82_14:                              ;   Parent Loop BB82_3 Depth=1
                                        ; =>  This Loop Header: Depth=2
                                        ;       Child Loop BB82_17 Depth 3
                                        ;         Child Loop BB82_18 Depth 4
                                        ;         Child Loop BB82_21 Depth 4
                                        ;           Child Loop BB82_22 Depth 5
                                        ;         Child Loop BB82_27 Depth 4
                                        ;           Child Loop BB82_29 Depth 5
	s_load_b32 s24, s[8:9], s22 offset:0x0 scale_offset
	s_wait_kmcnt 0x0
	s_add_co_i32 s25, s24, -1
	s_delay_alu instid0(SALU_CYCLE_1) | instskip(NEXT) | instid1(SALU_CYCLE_1)
	s_add_co_i32 s12, s25, s21
	s_cmp_ge_i32 s12, s1
	s_cbranch_scc1 .LBB82_30
; %bb.15:                               ;   in Loop: Header=BB82_14 Depth=2
	s_lshl_b32 s29, s21, 7
	s_max_i32 s30, s24, 1
	v_add_nc_u32_e32 v75, s29, v74
	s_lshl_b32 s31, s24, 7
	s_mul_i32 s33, s21, 0x88
	s_mul_i32 s34, s24, 0x88
	s_branch .LBB82_17
.LBB82_16:                              ;   in Loop: Header=BB82_17 Depth=3
	s_add_co_i32 s21, s21, s24
	v_add_nc_u32_e32 v75, s31, v75
	s_add_co_i32 s12, s25, s21
	s_add_co_i32 s29, s29, s31
	;; [unrolled: 1-line block ×3, first 2 shown]
	s_cmp_ge_i32 s12, s1
	s_cbranch_scc1 .LBB82_30
.LBB82_17:                              ;   Parent Loop BB82_3 Depth=1
                                        ;     Parent Loop BB82_14 Depth=2
                                        ; =>    This Loop Header: Depth=3
                                        ;         Child Loop BB82_18 Depth 4
                                        ;         Child Loop BB82_21 Depth 4
                                        ;           Child Loop BB82_22 Depth 5
                                        ;         Child Loop BB82_27 Depth 4
                                        ;           Child Loop BB82_29 Depth 5
	v_mov_b32_e32 v72, v75
	s_mov_b64 s[12:13], 0
.LBB82_18:                              ;   Parent Loop BB82_3 Depth=1
                                        ;     Parent Loop BB82_14 Depth=2
                                        ;       Parent Loop BB82_17 Depth=3
                                        ; =>      This Inner Loop Header: Depth=4
	ds_load_b64 v[76:77], v72
	v_add_nc_u32_e32 v72, 0x80, v72
	s_lshl_b32 m0, s12, 1
	s_add_nc_u64 s[12:13], s[12:13], 1
	s_delay_alu instid0(SALU_CYCLE_1)
	s_cmp_eq_u32 s30, s12
	s_wait_dscnt 0x0
	v_movreld_b32_e32 v34, v76
	v_movreld_b32_e32 v35, v77
	s_cbranch_scc0 .LBB82_18
; %bb.19:                               ;   in Loop: Header=BB82_17 Depth=3
	s_cmp_lt_i32 s21, 1
	s_cbranch_scc1 .LBB82_24
; %bb.20:                               ;   in Loop: Header=BB82_17 Depth=3
	s_mov_b32 s14, 0
	s_mov_b32 s15, s29
.LBB82_21:                              ;   Parent Loop BB82_3 Depth=1
                                        ;     Parent Loop BB82_14 Depth=2
                                        ;       Parent Loop BB82_17 Depth=3
                                        ; =>      This Loop Header: Depth=4
                                        ;           Child Loop BB82_22 Depth 5
	v_lshl_add_u32 v72, s14, 7, v74
	s_mov_b64 s[12:13], 0
	s_mov_b32 s16, s15
	ds_load_b64 v[72:73], v72
.LBB82_22:                              ;   Parent Loop BB82_3 Depth=1
                                        ;     Parent Loop BB82_14 Depth=2
                                        ;       Parent Loop BB82_17 Depth=3
                                        ;         Parent Loop BB82_21 Depth=4
                                        ; =>        This Inner Loop Header: Depth=5
	v_mov_b32_e32 v76, s16
	s_lshl_b32 m0, s12, 1
	s_add_nc_u64 s[12:13], s[12:13], 1
	v_movrels_b32_e32 v79, v35
	v_movrels_b32_e32 v78, v34
	ds_load_b64 v[76:77], v76
	s_addk_co_i32 s16, 0x80
	s_cmp_eq_u32 s30, s12
	s_wait_dscnt 0x0
	v_fma_f64 v[76:77], -v[72:73], v[76:77], v[78:79]
	s_delay_alu instid0(VALU_DEP_1) | instskip(NEXT) | instid1(VALU_DEP_2)
	v_movreld_b32_e32 v34, v76
	v_movreld_b32_e32 v35, v77
	s_cbranch_scc0 .LBB82_22
; %bb.23:                               ;   in Loop: Header=BB82_21 Depth=4
	s_add_co_i32 s14, s14, 1
	s_add_co_i32 s15, s15, 8
	s_cmp_eq_u32 s14, s21
	s_cbranch_scc0 .LBB82_21
.LBB82_24:                              ;   in Loop: Header=BB82_17 Depth=3
	s_lshl_b32 s35, s21, 7
	s_mov_b64 s[12:13], 0
	s_mov_b32 s36, s33
	s_branch .LBB82_27
.LBB82_25:                              ;   in Loop: Header=BB82_27 Depth=4
	s_mov_b32 s38, s21
	s_mov_b64 s[14:15], 0
	s_mov_b32 s37, s35
.LBB82_26:                              ;   in Loop: Header=BB82_27 Depth=4
	s_mul_i32 s15, s38, 0x88
	s_lshl_b32 m0, s14, 1
	v_mov_b32_e32 v72, s15
	v_movrels_b32_e32 v77, v35
	v_movrels_b32_e32 v76, v34
	s_add_nc_u64 s[12:13], s[12:13], 1
	s_addk_co_i32 s36, 0x80
	ds_load_b64 v[72:73], v72
	s_cmp_eq_u32 s12, s30
	s_wait_dscnt 0x0
	v_dual_mul_f64 v[72:73], v[76:77], v[72:73] :: v_dual_add_nc_u32 v76, s37, v74
	s_delay_alu instid0(VALU_DEP_1) | instskip(NEXT) | instid1(VALU_DEP_2)
	v_movreld_b32_e32 v34, v72
	v_movreld_b32_e32 v35, v73
	ds_store_b64 v76, v[72:73]
	s_cbranch_scc1 .LBB82_16
.LBB82_27:                              ;   Parent Loop BB82_3 Depth=1
                                        ;     Parent Loop BB82_14 Depth=2
                                        ;       Parent Loop BB82_17 Depth=3
                                        ; =>      This Loop Header: Depth=4
                                        ;           Child Loop BB82_29 Depth 5
	s_cmp_eq_u32 s12, 0
	s_cbranch_scc1 .LBB82_25
; %bb.28:                               ;   in Loop: Header=BB82_27 Depth=4
	s_add_co_i32 s38, s12, s21
	s_mov_b64 s[14:15], s[12:13]
	s_mov_b64 s[16:17], 0
	s_lshl_b32 s37, s38, 7
	s_lshl_b32 s15, s12, 1
	s_mov_b32 s39, s36
.LBB82_29:                              ;   Parent Loop BB82_3 Depth=1
                                        ;     Parent Loop BB82_14 Depth=2
                                        ;       Parent Loop BB82_17 Depth=3
                                        ;         Parent Loop BB82_27 Depth=4
                                        ; =>        This Inner Loop Header: Depth=5
	s_delay_alu instid0(SALU_CYCLE_1)
	v_mov_b32_e32 v72, s39
	s_lshl_b32 m0, s16, 1
	s_add_nc_u64 s[16:17], s[16:17], 1
	v_movrels_b32_e32 v77, v35
	v_movrels_b32_e32 v76, v34
	ds_load_b64 v[72:73], v72
	s_mov_b32 m0, s15
	s_add_co_i32 s39, s39, 8
	v_movrels_b32_e32 v79, v35
	v_movrels_b32_e32 v78, v34
	s_cmp_eq_u32 s12, s16
	s_wait_dscnt 0x0
	s_delay_alu instid0(VALU_DEP_1) | instskip(NEXT) | instid1(VALU_DEP_1)
	v_fma_f64 v[72:73], -v[76:77], v[72:73], v[78:79]
	v_movreld_b32_e32 v34, v72
	s_delay_alu instid0(VALU_DEP_2)
	v_movreld_b32_e32 v35, v73
	s_cbranch_scc0 .LBB82_29
	s_branch .LBB82_26
.LBB82_30:                              ;   in Loop: Header=BB82_14 Depth=2
	s_cmp_lt_i32 s21, s1
	s_cselect_b32 s13, -1, 0
	s_add_co_i32 s12, s22, 1
	s_cmp_lt_u32 s22, 2
	s_cselect_b32 s14, -1, 0
	s_delay_alu instid0(SALU_CYCLE_1) | instskip(NEXT) | instid1(SALU_CYCLE_1)
	s_and_b32 s13, s13, s14
	s_and_b32 vcc_lo, exec_lo, s13
	s_cbranch_vccz .LBB82_32
; %bb.31:                               ;   in Loop: Header=BB82_14 Depth=2
	s_wait_xcnt 0x0
	s_mov_b32 s22, s12
	s_branch .LBB82_14
.LBB82_32:                              ;   in Loop: Header=BB82_3 Depth=1
	s_mov_b32 s12, 0
.LBB82_33:                              ;   in Loop: Header=BB82_3 Depth=1
	s_delay_alu instid0(SALU_CYCLE_1)
	s_and_b32 vcc_lo, exec_lo, s12
	s_cbranch_vccz .LBB82_52
; %bb.34:                               ;   in Loop: Header=BB82_3 Depth=1
	s_wait_xcnt 0x0
	s_mov_b32 s22, 0
	s_mov_b32 s21, s26
	s_load_b32 s24, s[8:9], s22 offset:0x0 scale_offset
	s_wait_kmcnt 0x0
	s_add_co_i32 s25, s24, -1
	s_delay_alu instid0(SALU_CYCLE_1)
	s_cmp_lt_i32 s21, s25
	s_cbranch_scc1 .LBB82_49
.LBB82_35:                              ;   in Loop: Header=BB82_3 Depth=1
	s_lshl_b32 s12, s24, 7
	v_lshl_add_u32 v36, s21, 7, v74
	s_sub_co_i32 s30, 0, s12
	s_lshl_b32 s12, s21, 3
	s_lshl_b32 s13, s24, 3
	s_max_i32 s29, s24, 1
	s_add_co_i32 s31, s20, s12
	s_sub_co_i32 s33, 0, s13
	s_mul_i32 s34, s21, 0x88
	s_mul_i32 s35, s24, 0xffffff78
	s_branch .LBB82_37
.LBB82_36:                              ;   in Loop: Header=BB82_37 Depth=2
	v_add_nc_u32_e32 v36, s30, v36
	s_sub_co_i32 s21, s21, s24
	s_add_co_i32 s31, s31, s33
	s_add_co_i32 s34, s34, s35
	s_cmp_lt_i32 s21, s25
	s_cbranch_scc1 .LBB82_49
.LBB82_37:                              ;   Parent Loop BB82_3 Depth=1
                                        ; =>  This Loop Header: Depth=2
                                        ;       Child Loop BB82_38 Depth 3
                                        ;       Child Loop BB82_40 Depth 3
                                        ;         Child Loop BB82_41 Depth 4
                                        ;       Child Loop BB82_46 Depth 3
                                        ;         Child Loop BB82_48 Depth 4
	v_mov_b32_e32 v34, v36
	s_mov_b64 s[12:13], 0
.LBB82_38:                              ;   Parent Loop BB82_3 Depth=1
                                        ;     Parent Loop BB82_37 Depth=2
                                        ; =>    This Inner Loop Header: Depth=3
	ds_load_b64 v[38:39], v34
	v_add_nc_u32_e32 v34, 0xffffff80, v34
	s_lshl_b32 m0, s12, 1
	s_add_nc_u64 s[12:13], s[12:13], 1
	s_delay_alu instid0(SALU_CYCLE_1)
	s_cmp_eq_u32 s29, s12
	s_wait_dscnt 0x0
	v_movreld_b32_e32 v2, v38
	v_movreld_b32_e32 v3, v39
	s_cbranch_scc0 .LBB82_38
; %bb.39:                               ;   in Loop: Header=BB82_37 Depth=2
	s_cmp_le_i32 s26, s21
	s_mov_b32 s14, s31
	s_mov_b32 s15, s26
	s_cbranch_scc1 .LBB82_43
.LBB82_40:                              ;   Parent Loop BB82_3 Depth=1
                                        ;     Parent Loop BB82_37 Depth=2
                                        ; =>    This Loop Header: Depth=3
                                        ;         Child Loop BB82_41 Depth 4
	v_lshl_add_u32 v34, s15, 7, v74
	s_mov_b64 s[12:13], 0
	s_mov_b32 s16, s14
	ds_load_b64 v[34:35], v34
.LBB82_41:                              ;   Parent Loop BB82_3 Depth=1
                                        ;     Parent Loop BB82_37 Depth=2
                                        ;       Parent Loop BB82_40 Depth=3
                                        ; =>      This Inner Loop Header: Depth=4
	s_lshl_b32 m0, s12, 1
	s_add_nc_u64 s[12:13], s[12:13], 1
	v_movrels_b32_e32 v41, v3
	v_movrels_b32_e32 v40, v2
	v_mov_b32_e32 v37, s16
	s_add_co_i32 s16, s16, -8
	s_cmp_eq_u32 s29, s12
	ds_load_b64 v[38:39], v37
	s_wait_dscnt 0x0
	v_fma_f64 v[38:39], -v[34:35], v[38:39], v[40:41]
	s_delay_alu instid0(VALU_DEP_1) | instskip(NEXT) | instid1(VALU_DEP_2)
	v_movreld_b32_e32 v2, v38
	v_movreld_b32_e32 v3, v39
	s_cbranch_scc0 .LBB82_41
; %bb.42:                               ;   in Loop: Header=BB82_40 Depth=3
	s_add_co_i32 s15, s15, -1
	s_addk_co_i32 s14, 0xff80
	s_cmp_le_i32 s15, s21
	s_cbranch_scc0 .LBB82_40
.LBB82_43:                              ;   in Loop: Header=BB82_37 Depth=2
	s_mov_b64 s[12:13], 0
	s_mov_b32 s36, s34
	s_branch .LBB82_46
.LBB82_44:                              ;   in Loop: Header=BB82_46 Depth=3
	s_mov_b32 s37, s21
	s_mov_b64 s[14:15], 0
.LBB82_45:                              ;   in Loop: Header=BB82_46 Depth=3
	s_mul_i32 s15, s37, 0x88
	s_lshl_b32 m0, s14, 1
	v_mov_b32_e32 v34, s15
	v_movrels_b32_e32 v39, v3
	v_movrels_b32_e32 v38, v2
	v_lshl_add_u32 v37, s37, 7, v74
	s_add_nc_u64 s[12:13], s[12:13], 1
	ds_load_b64 v[34:35], v34
	s_add_co_i32 s36, s36, -8
	s_cmp_eq_u32 s12, s29
	s_wait_dscnt 0x0
	v_mul_f64_e32 v[34:35], v[38:39], v[34:35]
	s_delay_alu instid0(VALU_DEP_1) | instskip(NEXT) | instid1(VALU_DEP_2)
	v_movreld_b32_e32 v2, v34
	v_movreld_b32_e32 v3, v35
	ds_store_b64 v37, v[34:35]
	s_cbranch_scc1 .LBB82_36
.LBB82_46:                              ;   Parent Loop BB82_3 Depth=1
                                        ;     Parent Loop BB82_37 Depth=2
                                        ; =>    This Loop Header: Depth=3
                                        ;         Child Loop BB82_48 Depth 4
	s_cmp_eq_u32 s12, 0
	s_cbranch_scc1 .LBB82_44
; %bb.47:                               ;   in Loop: Header=BB82_46 Depth=3
	s_mov_b64 s[14:15], s[12:13]
	s_sub_co_i32 s37, s21, s12
	s_mov_b64 s[16:17], 0
	s_lshl_b32 s15, s12, 1
	s_mov_b32 s38, s36
.LBB82_48:                              ;   Parent Loop BB82_3 Depth=1
                                        ;     Parent Loop BB82_37 Depth=2
                                        ;       Parent Loop BB82_46 Depth=3
                                        ; =>      This Inner Loop Header: Depth=4
	s_delay_alu instid0(SALU_CYCLE_1)
	v_mov_b32_e32 v34, s38
	s_lshl_b32 m0, s16, 1
	s_add_nc_u64 s[16:17], s[16:17], 1
	v_movrels_b32_e32 v39, v3
	v_movrels_b32_e32 v38, v2
	ds_load_b64 v[34:35], v34
	s_mov_b32 m0, s15
	s_addk_co_i32 s38, 0xff80
	v_movrels_b32_e32 v41, v3
	v_movrels_b32_e32 v40, v2
	s_cmp_eq_u32 s12, s16
	s_wait_dscnt 0x0
	s_delay_alu instid0(VALU_DEP_1) | instskip(NEXT) | instid1(VALU_DEP_1)
	v_fma_f64 v[34:35], -v[38:39], v[34:35], v[40:41]
	v_movreld_b32_e32 v2, v34
	s_delay_alu instid0(VALU_DEP_2)
	v_movreld_b32_e32 v3, v35
	s_cbranch_scc0 .LBB82_48
	s_branch .LBB82_45
.LBB82_49:                              ;   Parent Loop BB82_3 Depth=1
                                        ; =>  This Inner Loop Header: Depth=2
	s_cmp_gt_i32 s21, -1
	s_cselect_b32 s13, -1, 0
	s_add_co_i32 s12, s22, 1
	s_cmp_lt_u32 s22, 2
	s_cselect_b32 s14, -1, 0
	s_delay_alu instid0(SALU_CYCLE_1) | instskip(NEXT) | instid1(SALU_CYCLE_1)
	s_and_b32 s13, s13, s14
	s_and_not1_b32 vcc_lo, exec_lo, s13
	s_cbranch_vccnz .LBB82_51
; %bb.50:                               ;   in Loop: Header=BB82_49 Depth=2
	s_wait_xcnt 0x0
	s_mov_b32 s22, s12
	s_load_b32 s24, s[8:9], s22 offset:0x0 scale_offset
	s_wait_kmcnt 0x0
	s_add_co_i32 s25, s24, -1
	s_delay_alu instid0(SALU_CYCLE_1)
	s_cmp_lt_i32 s21, s25
	s_cbranch_scc0 .LBB82_35
	s_branch .LBB82_49
.LBB82_51:                              ;   in Loop: Header=BB82_3 Depth=1
	v_mov_b64_e32 v[64:65], v[32:33]
	v_mov_b64_e32 v[62:63], v[30:31]
	;; [unrolled: 1-line block ×16, first 2 shown]
.LBB82_52:                              ;   in Loop: Header=BB82_3 Depth=1
	s_wait_dscnt 0x0
	; wave barrier
	s_and_saveexec_b32 s12, s18
	s_cbranch_execz .LBB82_2
; %bb.53:                               ;   in Loop: Header=BB82_3 Depth=1
	v_mov_b32_e32 v2, v74
	s_mov_b32 s13, s1
.LBB82_54:                              ;   Parent Loop BB82_3 Depth=1
                                        ; =>  This Inner Loop Header: Depth=2
	ds_load_b64 v[4:5], v2
	v_add_nc_u32_e32 v2, 0x80, v2
	s_add_co_i32 s13, s13, -1
	s_delay_alu instid0(SALU_CYCLE_1)
	s_cmp_lg_u32 s13, 0
	s_wait_dscnt 0x0
	global_store_b64 v[70:71], v[4:5], off
	s_wait_xcnt 0x0
	v_add_nc_u64_e32 v[70:71], 8, v[70:71]
	s_cbranch_scc1 .LBB82_54
	s_branch .LBB82_2
.LBB82_55:
	s_sendmsg sendmsg(MSG_DEALLOC_VGPRS)
	s_endpgm
	.section	.rodata,"a",@progbits
	.p2align	6, 0x0
	.amdhsa_kernel _ZL38rocblas_trsm_small_left_device_sharedBILi16ELi16ELb0EddPKdPdEv13rocblas_fill_18rocblas_operation_17rocblas_diagonal_iiT3_T4_lilT5_lili
		.amdhsa_group_segment_fixed_size 4096
		.amdhsa_private_segment_fixed_size 0
		.amdhsa_kernarg_size 360
		.amdhsa_user_sgpr_count 2
		.amdhsa_user_sgpr_dispatch_ptr 0
		.amdhsa_user_sgpr_queue_ptr 0
		.amdhsa_user_sgpr_kernarg_segment_ptr 1
		.amdhsa_user_sgpr_dispatch_id 0
		.amdhsa_user_sgpr_kernarg_preload_length 0
		.amdhsa_user_sgpr_kernarg_preload_offset 0
		.amdhsa_user_sgpr_private_segment_size 0
		.amdhsa_wavefront_size32 1
		.amdhsa_uses_dynamic_stack 0
		.amdhsa_enable_private_segment 0
		.amdhsa_system_sgpr_workgroup_id_x 1
		.amdhsa_system_sgpr_workgroup_id_y 0
		.amdhsa_system_sgpr_workgroup_id_z 1
		.amdhsa_system_sgpr_workgroup_info 0
		.amdhsa_system_vgpr_workitem_id 0
		.amdhsa_next_free_vgpr 80
		.amdhsa_next_free_sgpr 40
		.amdhsa_named_barrier_count 0
		.amdhsa_reserve_vcc 1
		.amdhsa_float_round_mode_32 0
		.amdhsa_float_round_mode_16_64 0
		.amdhsa_float_denorm_mode_32 3
		.amdhsa_float_denorm_mode_16_64 3
		.amdhsa_fp16_overflow 0
		.amdhsa_memory_ordered 1
		.amdhsa_forward_progress 1
		.amdhsa_inst_pref_size 19
		.amdhsa_round_robin_scheduling 0
		.amdhsa_exception_fp_ieee_invalid_op 0
		.amdhsa_exception_fp_denorm_src 0
		.amdhsa_exception_fp_ieee_div_zero 0
		.amdhsa_exception_fp_ieee_overflow 0
		.amdhsa_exception_fp_ieee_underflow 0
		.amdhsa_exception_fp_ieee_inexact 0
		.amdhsa_exception_int_div_zero 0
	.end_amdhsa_kernel
	.section	.text._ZL38rocblas_trsm_small_left_device_sharedBILi16ELi16ELb0EddPKdPdEv13rocblas_fill_18rocblas_operation_17rocblas_diagonal_iiT3_T4_lilT5_lili,"axG",@progbits,_ZL38rocblas_trsm_small_left_device_sharedBILi16ELi16ELb0EddPKdPdEv13rocblas_fill_18rocblas_operation_17rocblas_diagonal_iiT3_T4_lilT5_lili,comdat
.Lfunc_end82:
	.size	_ZL38rocblas_trsm_small_left_device_sharedBILi16ELi16ELb0EddPKdPdEv13rocblas_fill_18rocblas_operation_17rocblas_diagonal_iiT3_T4_lilT5_lili, .Lfunc_end82-_ZL38rocblas_trsm_small_left_device_sharedBILi16ELi16ELb0EddPKdPdEv13rocblas_fill_18rocblas_operation_17rocblas_diagonal_iiT3_T4_lilT5_lili
                                        ; -- End function
	.set _ZL38rocblas_trsm_small_left_device_sharedBILi16ELi16ELb0EddPKdPdEv13rocblas_fill_18rocblas_operation_17rocblas_diagonal_iiT3_T4_lilT5_lili.num_vgpr, 80
	.set _ZL38rocblas_trsm_small_left_device_sharedBILi16ELi16ELb0EddPKdPdEv13rocblas_fill_18rocblas_operation_17rocblas_diagonal_iiT3_T4_lilT5_lili.num_agpr, 0
	.set _ZL38rocblas_trsm_small_left_device_sharedBILi16ELi16ELb0EddPKdPdEv13rocblas_fill_18rocblas_operation_17rocblas_diagonal_iiT3_T4_lilT5_lili.numbered_sgpr, 40
	.set _ZL38rocblas_trsm_small_left_device_sharedBILi16ELi16ELb0EddPKdPdEv13rocblas_fill_18rocblas_operation_17rocblas_diagonal_iiT3_T4_lilT5_lili.num_named_barrier, 0
	.set _ZL38rocblas_trsm_small_left_device_sharedBILi16ELi16ELb0EddPKdPdEv13rocblas_fill_18rocblas_operation_17rocblas_diagonal_iiT3_T4_lilT5_lili.private_seg_size, 0
	.set _ZL38rocblas_trsm_small_left_device_sharedBILi16ELi16ELb0EddPKdPdEv13rocblas_fill_18rocblas_operation_17rocblas_diagonal_iiT3_T4_lilT5_lili.uses_vcc, 1
	.set _ZL38rocblas_trsm_small_left_device_sharedBILi16ELi16ELb0EddPKdPdEv13rocblas_fill_18rocblas_operation_17rocblas_diagonal_iiT3_T4_lilT5_lili.uses_flat_scratch, 0
	.set _ZL38rocblas_trsm_small_left_device_sharedBILi16ELi16ELb0EddPKdPdEv13rocblas_fill_18rocblas_operation_17rocblas_diagonal_iiT3_T4_lilT5_lili.has_dyn_sized_stack, 0
	.set _ZL38rocblas_trsm_small_left_device_sharedBILi16ELi16ELb0EddPKdPdEv13rocblas_fill_18rocblas_operation_17rocblas_diagonal_iiT3_T4_lilT5_lili.has_recursion, 0
	.set _ZL38rocblas_trsm_small_left_device_sharedBILi16ELi16ELb0EddPKdPdEv13rocblas_fill_18rocblas_operation_17rocblas_diagonal_iiT3_T4_lilT5_lili.has_indirect_call, 0
	.section	.AMDGPU.csdata,"",@progbits
; Kernel info:
; codeLenInByte = 2344
; TotalNumSgprs: 42
; NumVgprs: 80
; ScratchSize: 0
; MemoryBound: 0
; FloatMode: 240
; IeeeMode: 1
; LDSByteSize: 4096 bytes/workgroup (compile time only)
; SGPRBlocks: 0
; VGPRBlocks: 4
; NumSGPRsForWavesPerEU: 42
; NumVGPRsForWavesPerEU: 80
; NamedBarCnt: 0
; Occupancy: 12
; WaveLimiterHint : 0
; COMPUTE_PGM_RSRC2:SCRATCH_EN: 0
; COMPUTE_PGM_RSRC2:USER_SGPR: 2
; COMPUTE_PGM_RSRC2:TRAP_HANDLER: 0
; COMPUTE_PGM_RSRC2:TGID_X_EN: 1
; COMPUTE_PGM_RSRC2:TGID_Y_EN: 0
; COMPUTE_PGM_RSRC2:TGID_Z_EN: 1
; COMPUTE_PGM_RSRC2:TIDIG_COMP_CNT: 0
	.section	.text._ZL30rocblas_trsm_small_left_deviceILi16ELi16ELb0EddPKdPdEv13rocblas_fill_18rocblas_operation_17rocblas_diagonal_iiT3_T4_lilT5_lili,"axG",@progbits,_ZL30rocblas_trsm_small_left_deviceILi16ELi16ELb0EddPKdPdEv13rocblas_fill_18rocblas_operation_17rocblas_diagonal_iiT3_T4_lilT5_lili,comdat
	.globl	_ZL30rocblas_trsm_small_left_deviceILi16ELi16ELb0EddPKdPdEv13rocblas_fill_18rocblas_operation_17rocblas_diagonal_iiT3_T4_lilT5_lili ; -- Begin function _ZL30rocblas_trsm_small_left_deviceILi16ELi16ELb0EddPKdPdEv13rocblas_fill_18rocblas_operation_17rocblas_diagonal_iiT3_T4_lilT5_lili
	.p2align	8
	.type	_ZL30rocblas_trsm_small_left_deviceILi16ELi16ELb0EddPKdPdEv13rocblas_fill_18rocblas_operation_17rocblas_diagonal_iiT3_T4_lilT5_lili,@function
_ZL30rocblas_trsm_small_left_deviceILi16ELi16ELb0EddPKdPdEv13rocblas_fill_18rocblas_operation_17rocblas_diagonal_iiT3_T4_lilT5_lili: ; @_ZL30rocblas_trsm_small_left_deviceILi16ELi16ELb0EddPKdPdEv13rocblas_fill_18rocblas_operation_17rocblas_diagonal_iiT3_T4_lilT5_lili
; %bb.0:
	s_load_b32 s33, s[0:1], 0x60
	s_bfe_u32 s2, ttmp6, 0x40014
	s_lshr_b32 s4, ttmp7, 16
	s_add_co_i32 s2, s2, 1
	s_bfe_u32 s5, ttmp6, 0x40008
	s_mul_i32 s2, s4, s2
	s_getreg_b32 s3, hwreg(HW_REG_IB_STS2, 6, 4)
	s_add_co_i32 s5, s5, s2
	s_cmp_eq_u32 s3, 0
	s_mov_b32 s19, 0
	s_cselect_b32 s2, s4, s5
	s_wait_kmcnt 0x0
	s_cmp_ge_u32 s2, s33
	s_cbranch_scc1 .LBB83_52
; %bb.1:
	s_clause 0x6
	s_load_b96 s[16:18], s[0:1], 0x28
	s_load_b96 s[20:22], s[0:1], 0x48
	s_load_b128 s[8:11], s[0:1], 0x4
	s_load_b32 s26, s[0:1], 0x68
	s_load_b64 s[24:25], s[0:1], 0x58
	s_load_b128 s[4:7], s[0:1], 0x18
	s_load_b128 s[12:15], s[0:1], 0x38
	s_wait_xcnt 0x0
	s_bfe_u32 s1, ttmp6, 0x4000c
	s_and_b32 s0, ttmp6, 15
	s_add_co_i32 s1, s1, 1
	v_dual_mov_b32 v67, 0 :: v_dual_lshlrev_b32 v66, 3, v0
	s_mul_i32 s1, ttmp9, s1
	v_lshlrev_b32_e32 v34, 7, v0
	s_add_co_i32 s0, s0, s1
	s_delay_alu instid0(VALU_DEP_2)
	v_dual_mov_b32 v2, v67 :: v_dual_mov_b32 v3, v67
	v_dual_mov_b32 v4, v67 :: v_dual_mov_b32 v5, v67
	v_mov_b32_e32 v6, v67
	s_wait_kmcnt 0x0
	s_ashr_i32 s23, s18, 31
	s_ashr_i32 s1, s22, 31
	s_min_i32 s36, s10, 16
	s_lshl_b64 s[20:21], s[20:21], 3
	s_add_co_i32 s26, s26, -1
	s_add_co_i32 s37, s36, -1
	s_cmp_eq_u32 s3, 0
	s_add_nc_u64 s[14:15], s[14:15], s[20:21]
	s_cselect_b32 s3, ttmp9, s0
	s_mov_b32 s0, s22
	s_lshl_b32 s10, s3, 4
	s_delay_alu instid0(SALU_CYCLE_1) | instskip(SKIP_2) | instid1(VALU_DEP_3)
	v_dual_mov_b32 v7, v67 :: v_dual_bitop2_b32 v14, s10, v0 bitop3:0x54
	v_dual_mov_b32 v10, v67 :: v_dual_mov_b32 v8, v67
	v_dual_mov_b32 v9, v67 :: v_dual_mov_b32 v11, v67
	v_dual_mov_b32 v12, v67 :: v_dual_ashrrev_i32 v15, 31, v14
	v_dual_mov_b32 v13, v67 :: v_dual_mov_b32 v17, v67
	v_dual_mov_b32 v18, v67 :: v_dual_mov_b32 v16, v67
	s_delay_alu instid0(VALU_DEP_3)
	v_mul_u64_e32 v[28:29], s[0:1], v[14:15]
	s_sub_co_i32 s0, s11, s10
	s_cmp_ge_u32 s3, s26
	v_mov_b32_e32 v14, v67
	s_cselect_b32 s1, s0, 16
	s_cmp_lg_u32 s9, 0x84
	v_cmp_gt_i32_e64 s0, s36, v0
	s_cselect_b32 s38, -1, 0
	s_cmp_lg_u32 s8, 0x6f
	v_cmp_gt_i32_e64 s1, s1, v0
	s_cselect_b32 s39, -1, 0
	s_lshl_b64 s[16:17], s[16:17], 3
	v_mov_b32_e32 v15, v67
	s_add_nc_u64 s[6:7], s[6:7], s[16:17]
	v_dual_mov_b32 v19, v67 :: v_dual_mov_b32 v20, v67
	v_add_nc_u64_e32 v[0:1], s[6:7], v[66:67]
	v_dual_mov_b32 v21, v67 :: v_dual_mov_b32 v22, v67
	v_dual_mov_b32 v23, v67 :: v_dual_mov_b32 v24, v67
	v_dual_mov_b32 v25, v67 :: v_dual_mov_b32 v26, v67
	v_dual_mov_b32 v27, v67 :: v_dual_mov_b32 v31, v67
	v_dual_mov_b32 v32, v67 :: v_dual_mov_b32 v33, v67
	s_mov_b32 s22, s18
	s_lshl_b32 s40, s36, 7
	s_lshl_b64 s[8:9], s[12:13], 3
	v_mov_b32_e32 v30, v67
	s_lshl_b64 s[10:11], s[22:23], 3
	v_lshl_add_u64 v[68:69], v[28:29], 3, s[14:15]
	v_dual_mov_b32 v28, v67 :: v_dual_mov_b32 v29, v67
	v_add_nc_u32_e32 v67, v66, v34
	s_lshl_b64 s[12:13], s[24:25], 3
	s_addk_co_i32 s40, 0xff80
	s_mov_b32 s41, 0
	s_get_pc_i64 s[6:7]
	s_add_nc_u64 s[6:7], s[6:7], __const._ZL30rocblas_trsm_small_left_deviceILi16ELi16ELb0EddPKdPdEv13rocblas_fill_18rocblas_operation_17rocblas_diagonal_iiT3_T4_lilT5_lili.step_sizes@rel64+4
	s_branch .LBB83_5
.LBB83_2:                               ;   in Loop: Header=BB83_5 Depth=1
	s_wait_xcnt 0x0
	v_mov_b64_e32 v[64:65], v[32:33]
	v_mov_b64_e32 v[62:63], v[30:31]
	;; [unrolled: 1-line block ×16, first 2 shown]
.LBB83_3:                               ;   in Loop: Header=BB83_5 Depth=1
	s_add_co_i32 s2, s2, 0x10000
	s_delay_alu instid0(SALU_CYCLE_1) | instskip(SKIP_1) | instid1(SALU_CYCLE_1)
	s_cmp_ge_u32 s2, s33
	s_cselect_b32 s3, -1, 0
	s_or_not1_b32 s14, s3, exec_lo
.LBB83_4:                               ;   in Loop: Header=BB83_5 Depth=1
	s_wait_xcnt 0x0
	s_or_b32 exec_lo, exec_lo, s42
	v_mov_b64_e32 v[2:3], v[34:35]
	v_mov_b64_e32 v[4:5], v[36:37]
	;; [unrolled: 1-line block ×16, first 2 shown]
	s_and_b32 s3, exec_lo, s14
	s_delay_alu instid0(SALU_CYCLE_1) | instskip(NEXT) | instid1(SALU_CYCLE_1)
	s_or_b32 s41, s3, s41
	s_and_not1_b32 exec_lo, exec_lo, s41
	s_cbranch_execz .LBB83_52
.LBB83_5:                               ; =>This Loop Header: Depth=1
                                        ;     Child Loop BB83_7 Depth 2
                                        ;     Child Loop BB83_14 Depth 2
                                        ;       Child Loop BB83_17 Depth 3
                                        ;         Child Loop BB83_18 Depth 4
                                        ;         Child Loop BB83_21 Depth 4
                                        ;           Child Loop BB83_22 Depth 5
                                        ;         Child Loop BB83_27 Depth 4
                                        ;           Child Loop BB83_29 Depth 5
                                        ;     Child Loop BB83_37 Depth 2
                                        ;       Child Loop BB83_38 Depth 3
                                        ;       Child Loop BB83_40 Depth 3
                                        ;         Child Loop BB83_41 Depth 4
                                        ;       Child Loop BB83_46 Depth 3
                                        ;         Child Loop BB83_48 Depth 4
                                        ;     Child Loop BB83_50 Depth 2
	s_mov_b32 s3, s19
	s_and_saveexec_b32 s14, s0
	s_cbranch_execz .LBB83_11
; %bb.6:                                ;   in Loop: Header=BB83_5 Depth=1
	v_mad_nc_u64_u32 v[34:35], s8, s2, v[0:1]
	v_mov_b32_e32 v36, v66
	s_mov_b32 s15, s36
	s_delay_alu instid0(VALU_DEP_2)
	v_mad_u32 v35, s9, s2, v35
.LBB83_7:                               ;   Parent Loop BB83_5 Depth=1
                                        ; =>  This Inner Loop Header: Depth=2
	global_load_b64 v[38:39], v[34:35], off
	s_wait_xcnt 0x0
	v_add_nc_u64_e32 v[34:35], s[10:11], v[34:35]
	s_add_co_i32 s15, s15, -1
	s_delay_alu instid0(SALU_CYCLE_1)
	s_cmp_eq_u32 s15, 0
	s_wait_loadcnt 0x0
	ds_store_b64 v36, v[38:39]
	v_add_nc_u32_e32 v36, 0x80, v36
	s_cbranch_scc0 .LBB83_7
; %bb.8:                                ;   in Loop: Header=BB83_5 Depth=1
	v_mov_b64_e32 v[34:35], 1.0
	s_and_b32 vcc_lo, exec_lo, s38
	s_cbranch_vccz .LBB83_10
; %bb.9:                                ;   in Loop: Header=BB83_5 Depth=1
	ds_load_b64 v[34:35], v67
	s_wait_dscnt 0x0
	v_div_scale_f64 v[36:37], null, v[34:35], v[34:35], 1.0
	s_delay_alu instid0(VALU_DEP_1) | instskip(SKIP_1) | instid1(TRANS32_DEP_1)
	v_rcp_f64_e32 v[38:39], v[36:37]
	v_nop
	v_fma_f64 v[40:41], -v[36:37], v[38:39], 1.0
	s_delay_alu instid0(VALU_DEP_1) | instskip(NEXT) | instid1(VALU_DEP_1)
	v_fmac_f64_e32 v[38:39], v[38:39], v[40:41]
	v_fma_f64 v[40:41], -v[36:37], v[38:39], 1.0
	s_delay_alu instid0(VALU_DEP_1) | instskip(SKIP_1) | instid1(VALU_DEP_1)
	v_fmac_f64_e32 v[38:39], v[38:39], v[40:41]
	v_div_scale_f64 v[40:41], vcc_lo, 1.0, v[34:35], 1.0
	v_mul_f64_e32 v[42:43], v[40:41], v[38:39]
	s_delay_alu instid0(VALU_DEP_1) | instskip(NEXT) | instid1(VALU_DEP_1)
	v_fma_f64 v[36:37], -v[36:37], v[42:43], v[40:41]
	v_div_fmas_f64 v[36:37], v[36:37], v[38:39], v[42:43]
	s_delay_alu instid0(VALU_DEP_1)
	v_div_fixup_f64 v[34:35], v[36:37], v[34:35], 1.0
.LBB83_10:                              ;   in Loop: Header=BB83_5 Depth=1
	ds_store_b64 v67, v[34:35]
.LBB83_11:                              ;   in Loop: Header=BB83_5 Depth=1
	s_or_b32 exec_lo, exec_lo, s14
	s_mov_b32 s14, -1
	s_wait_dscnt 0x0
	; wave barrier
                                        ; implicit-def: $vgpr34_vgpr35_vgpr36_vgpr37_vgpr38_vgpr39_vgpr40_vgpr41_vgpr42_vgpr43_vgpr44_vgpr45_vgpr46_vgpr47_vgpr48_vgpr49_vgpr50_vgpr51_vgpr52_vgpr53_vgpr54_vgpr55_vgpr56_vgpr57_vgpr58_vgpr59_vgpr60_vgpr61_vgpr62_vgpr63_vgpr64_vgpr65
	s_and_saveexec_b32 s42, s1
	s_cbranch_execz .LBB83_4
; %bb.12:                               ;   in Loop: Header=BB83_5 Depth=1
	s_mul_u64 s[14:15], s[24:25], s[2:3]
	s_and_not1_b32 vcc_lo, exec_lo, s39
	v_lshl_add_u64 v[70:71], s[14:15], 3, v[68:69]
	s_mul_u64 s[14:15], s[12:13], s[2:3]
	s_mov_b32 s3, -1
                                        ; implicit-def: $vgpr34_vgpr35_vgpr36_vgpr37_vgpr38_vgpr39_vgpr40_vgpr41_vgpr42_vgpr43_vgpr44_vgpr45_vgpr46_vgpr47_vgpr48_vgpr49_vgpr50_vgpr51_vgpr52_vgpr53_vgpr54_vgpr55_vgpr56_vgpr57_vgpr58_vgpr59_vgpr60_vgpr61_vgpr62_vgpr63_vgpr64_vgpr65
	s_cbranch_vccnz .LBB83_33
; %bb.13:                               ;   in Loop: Header=BB83_5 Depth=1
	v_mov_b64_e32 v[64:65], v[32:33]
	v_add_nc_u64_e32 v[72:73], s[14:15], v[68:69]
	v_mov_b64_e32 v[62:63], v[30:31]
	v_mov_b64_e32 v[60:61], v[28:29]
	;; [unrolled: 1-line block ×15, first 2 shown]
	s_mov_b32 s3, 0
	s_mov_b32 s16, 0
.LBB83_14:                              ;   Parent Loop BB83_5 Depth=1
                                        ; =>  This Loop Header: Depth=2
                                        ;       Child Loop BB83_17 Depth 3
                                        ;         Child Loop BB83_18 Depth 4
                                        ;         Child Loop BB83_21 Depth 4
                                        ;           Child Loop BB83_22 Depth 5
                                        ;         Child Loop BB83_27 Depth 4
                                        ;           Child Loop BB83_29 Depth 5
	s_load_b32 s20, s[6:7], s3 offset:0x0 scale_offset
	s_wait_kmcnt 0x0
	s_add_co_i32 s43, s20, -1
	s_delay_alu instid0(SALU_CYCLE_1) | instskip(NEXT) | instid1(SALU_CYCLE_1)
	s_add_co_i32 s17, s43, s16
	s_cmp_ge_i32 s17, s36
	s_cbranch_scc1 .LBB83_30
; %bb.15:                               ;   in Loop: Header=BB83_14 Depth=2
	s_ashr_i32 s17, s16, 31
	s_ashr_i32 s21, s20, 31
	v_lshl_add_u64 v[74:75], s[16:17], 3, v[72:73]
	s_max_i32 s44, s20, 1
	s_lshl_b64 s[22:23], s[20:21], 3
	s_lshl_b32 s17, s16, 7
	s_lshl_b32 s21, s20, 7
	s_mul_i32 s45, s16, 0x88
	s_mul_i32 s46, s20, 0x88
	s_branch .LBB83_17
.LBB83_16:                              ;   in Loop: Header=BB83_17 Depth=3
	v_add_nc_u64_e32 v[74:75], s[22:23], v[74:75]
	s_add_co_i32 s16, s16, s20
	s_add_co_i32 s17, s17, s21
	;; [unrolled: 1-line block ×4, first 2 shown]
	s_cmp_ge_i32 s18, s36
	s_cbranch_scc1 .LBB83_30
.LBB83_17:                              ;   Parent Loop BB83_5 Depth=1
                                        ;     Parent Loop BB83_14 Depth=2
                                        ; =>    This Loop Header: Depth=3
                                        ;         Child Loop BB83_18 Depth 4
                                        ;         Child Loop BB83_21 Depth 4
                                        ;           Child Loop BB83_22 Depth 5
                                        ;         Child Loop BB83_27 Depth 4
                                        ;           Child Loop BB83_29 Depth 5
	s_wait_xcnt 0x0
	v_mov_b64_e32 v[76:77], v[74:75]
	s_mov_b64 s[26:27], 0
.LBB83_18:                              ;   Parent Loop BB83_5 Depth=1
                                        ;     Parent Loop BB83_14 Depth=2
                                        ;       Parent Loop BB83_17 Depth=3
                                        ; =>      This Inner Loop Header: Depth=4
	global_load_b64 v[78:79], v[76:77], off
	s_wait_xcnt 0x0
	v_add_nc_u64_e32 v[76:77], 8, v[76:77]
	s_lshl_b32 m0, s26, 1
	s_add_nc_u64 s[26:27], s[26:27], 1
	s_delay_alu instid0(SALU_CYCLE_1) | instskip(SKIP_2) | instid1(VALU_DEP_1)
	s_cmp_eq_u32 s44, s26
	s_wait_loadcnt 0x0
	v_mul_f64_e32 v[78:79], s[4:5], v[78:79]
	v_movreld_b32_e32 v34, v78
	s_delay_alu instid0(VALU_DEP_2)
	v_movreld_b32_e32 v35, v79
	s_cbranch_scc0 .LBB83_18
; %bb.19:                               ;   in Loop: Header=BB83_17 Depth=3
	s_cmp_lt_i32 s16, 1
	s_cbranch_scc1 .LBB83_24
; %bb.20:                               ;   in Loop: Header=BB83_17 Depth=3
	s_mov_b32 s18, 0
	s_mov_b32 s28, s17
.LBB83_21:                              ;   Parent Loop BB83_5 Depth=1
                                        ;     Parent Loop BB83_14 Depth=2
                                        ;       Parent Loop BB83_17 Depth=3
                                        ; =>      This Loop Header: Depth=4
                                        ;           Child Loop BB83_22 Depth 5
	s_wait_xcnt 0x0
	v_lshl_add_u64 v[76:77], s[18:19], 3, v[70:71]
	s_mov_b64 s[26:27], 0
	s_mov_b32 s29, s28
	global_load_b64 v[76:77], v[76:77], off
.LBB83_22:                              ;   Parent Loop BB83_5 Depth=1
                                        ;     Parent Loop BB83_14 Depth=2
                                        ;       Parent Loop BB83_17 Depth=3
                                        ;         Parent Loop BB83_21 Depth=4
                                        ; =>        This Inner Loop Header: Depth=5
	v_mov_b32_e32 v78, s29
	s_lshl_b32 m0, s26, 1
	s_add_nc_u64 s[26:27], s[26:27], 1
	v_movrels_b32_e32 v81, v35
	v_movrels_b32_e32 v80, v34
	ds_load_b64 v[78:79], v78
	s_addk_co_i32 s29, 0x80
	s_cmp_eq_u32 s44, s26
	s_wait_loadcnt_dscnt 0x0
	v_fma_f64 v[78:79], -v[76:77], v[78:79], v[80:81]
	s_delay_alu instid0(VALU_DEP_1) | instskip(NEXT) | instid1(VALU_DEP_2)
	v_movreld_b32_e32 v34, v78
	v_movreld_b32_e32 v35, v79
	s_cbranch_scc0 .LBB83_22
; %bb.23:                               ;   in Loop: Header=BB83_21 Depth=4
	s_add_co_i32 s18, s18, 1
	s_add_co_i32 s28, s28, 8
	s_cmp_eq_u32 s18, s16
	s_cbranch_scc0 .LBB83_21
.LBB83_24:                              ;   in Loop: Header=BB83_17 Depth=3
	s_mov_b64 s[26:27], 0
	s_mov_b32 s18, s45
	s_branch .LBB83_27
.LBB83_25:                              ;   in Loop: Header=BB83_27 Depth=4
	s_mov_b32 s28, s16
	s_mov_b64 s[30:31], 0
.LBB83_26:                              ;   in Loop: Header=BB83_27 Depth=4
	s_mul_i32 s29, s28, 0x88
	s_lshl_b32 m0, s30, 1
	s_wait_xcnt 0x0
	v_mov_b32_e32 v76, s29
	v_movrels_b32_e32 v79, v35
	v_movrels_b32_e32 v78, v34
	s_ashr_i32 s29, s28, 31
	s_add_nc_u64 s[26:27], s[26:27], 1
	ds_load_b64 v[76:77], v76
	s_addk_co_i32 s18, 0x80
	s_cmp_eq_u32 s26, s44
	s_wait_dscnt 0x0
	v_mul_f64_e32 v[76:77], v[78:79], v[76:77]
	v_lshl_add_u64 v[78:79], s[28:29], 3, v[70:71]
	s_delay_alu instid0(VALU_DEP_2) | instskip(NEXT) | instid1(VALU_DEP_3)
	v_movreld_b32_e32 v34, v76
	v_movreld_b32_e32 v35, v77
	global_store_b64 v[78:79], v[76:77], off
	s_cbranch_scc1 .LBB83_16
.LBB83_27:                              ;   Parent Loop BB83_5 Depth=1
                                        ;     Parent Loop BB83_14 Depth=2
                                        ;       Parent Loop BB83_17 Depth=3
                                        ; =>      This Loop Header: Depth=4
                                        ;           Child Loop BB83_29 Depth 5
	s_cmp_eq_u32 s26, 0
	s_cbranch_scc1 .LBB83_25
; %bb.28:                               ;   in Loop: Header=BB83_27 Depth=4
	s_mov_b64 s[30:31], s[26:27]
	s_add_co_i32 s28, s26, s16
	s_mov_b64 s[34:35], 0
	s_lshl_b32 s29, s26, 1
	s_mov_b32 s31, s18
.LBB83_29:                              ;   Parent Loop BB83_5 Depth=1
                                        ;     Parent Loop BB83_14 Depth=2
                                        ;       Parent Loop BB83_17 Depth=3
                                        ;         Parent Loop BB83_27 Depth=4
                                        ; =>        This Inner Loop Header: Depth=5
	s_wait_xcnt 0x0
	v_mov_b32_e32 v76, s31
	s_lshl_b32 m0, s34, 1
	s_add_nc_u64 s[34:35], s[34:35], 1
	v_movrels_b32_e32 v79, v35
	v_movrels_b32_e32 v78, v34
	ds_load_b64 v[76:77], v76
	s_mov_b32 m0, s29
	s_add_co_i32 s31, s31, 8
	v_movrels_b32_e32 v81, v35
	v_movrels_b32_e32 v80, v34
	s_cmp_eq_u32 s26, s34
	s_wait_dscnt 0x0
	s_delay_alu instid0(VALU_DEP_1) | instskip(NEXT) | instid1(VALU_DEP_1)
	v_fma_f64 v[76:77], -v[78:79], v[76:77], v[80:81]
	v_movreld_b32_e32 v34, v76
	s_delay_alu instid0(VALU_DEP_2)
	v_movreld_b32_e32 v35, v77
	s_cbranch_scc0 .LBB83_29
	s_branch .LBB83_26
.LBB83_30:                              ;   in Loop: Header=BB83_14 Depth=2
	s_cmp_lt_i32 s16, s36
	s_cselect_b32 s18, -1, 0
	s_add_co_i32 s17, s3, 1
	s_cmp_lt_u32 s3, 2
	s_wait_xcnt 0x0
	s_cselect_b32 s3, -1, 0
	s_delay_alu instid0(SALU_CYCLE_1) | instskip(NEXT) | instid1(SALU_CYCLE_1)
	s_and_b32 s3, s18, s3
	s_and_b32 vcc_lo, exec_lo, s3
	s_cbranch_vccz .LBB83_32
; %bb.31:                               ;   in Loop: Header=BB83_14 Depth=2
	s_mov_b32 s3, s17
	s_branch .LBB83_14
.LBB83_32:                              ;   in Loop: Header=BB83_5 Depth=1
	s_mov_b32 s3, 0
.LBB83_33:                              ;   in Loop: Header=BB83_5 Depth=1
	s_delay_alu instid0(SALU_CYCLE_1)
	s_and_b32 vcc_lo, exec_lo, s3
	s_cbranch_vccz .LBB83_3
; %bb.34:                               ;   in Loop: Header=BB83_5 Depth=1
	v_add_nc_u64_e32 v[34:35], s[14:15], v[68:69]
	s_mov_b32 s3, 0
	s_mov_b32 s14, s37
	s_load_b32 s18, s[6:7], s3 offset:0x0 scale_offset
	s_wait_kmcnt 0x0
	s_add_co_i32 s28, s18, -1
	s_delay_alu instid0(SALU_CYCLE_1)
	s_cmp_lt_i32 s14, s28
	s_cbranch_scc1 .LBB83_50
.LBB83_35:                              ;   in Loop: Header=BB83_5 Depth=1
	s_lshl_b32 s15, s14, 3
	s_lshl_b32 s16, s18, 3
	s_max_i32 s29, s18, 1
	s_add_co_i32 s30, s40, s15
	s_sub_co_i32 s31, 0, s16
	s_mul_i32 s34, s14, 0x88
	s_mul_i32 s35, s18, 0xffffff78
	s_branch .LBB83_37
.LBB83_36:                              ;   in Loop: Header=BB83_37 Depth=2
	s_sub_co_i32 s14, s14, s18
	s_add_co_i32 s30, s30, s31
	s_add_co_i32 s34, s34, s35
	s_cmp_lt_i32 s14, s28
	s_cbranch_scc1 .LBB83_50
.LBB83_37:                              ;   Parent Loop BB83_5 Depth=1
                                        ; =>  This Loop Header: Depth=2
                                        ;       Child Loop BB83_38 Depth 3
                                        ;       Child Loop BB83_40 Depth 3
                                        ;         Child Loop BB83_41 Depth 4
                                        ;       Child Loop BB83_46 Depth 3
                                        ;         Child Loop BB83_48 Depth 4
	s_ashr_i32 s15, s14, 31
	s_mov_b64 s[16:17], 0
	s_wait_xcnt 0x0
	v_lshl_add_u64 v[36:37], s[14:15], 3, v[34:35]
.LBB83_38:                              ;   Parent Loop BB83_5 Depth=1
                                        ;     Parent Loop BB83_37 Depth=2
                                        ; =>    This Inner Loop Header: Depth=3
	global_load_b64 v[38:39], v[36:37], off
	s_wait_xcnt 0x0
	v_add_nc_u64_e32 v[36:37], -8, v[36:37]
	s_lshl_b32 m0, s16, 1
	s_add_nc_u64 s[16:17], s[16:17], 1
	s_delay_alu instid0(SALU_CYCLE_1) | instskip(SKIP_2) | instid1(VALU_DEP_1)
	s_cmp_eq_u32 s29, s16
	s_wait_loadcnt 0x0
	v_mul_f64_e32 v[38:39], s[4:5], v[38:39]
	v_movreld_b32_e32 v2, v38
	s_delay_alu instid0(VALU_DEP_2)
	v_movreld_b32_e32 v3, v39
	s_cbranch_scc0 .LBB83_38
; %bb.39:                               ;   in Loop: Header=BB83_37 Depth=2
	s_cmp_le_i32 s37, s14
	s_mov_b32 s22, s30
	s_mov_b32 s16, s37
	s_cbranch_scc1 .LBB83_43
.LBB83_40:                              ;   Parent Loop BB83_5 Depth=1
                                        ;     Parent Loop BB83_37 Depth=2
                                        ; =>    This Loop Header: Depth=3
                                        ;         Child Loop BB83_41 Depth 4
	s_ashr_i32 s17, s16, 31
	s_mov_b64 s[20:21], 0
	s_wait_xcnt 0x0
	v_lshl_add_u64 v[36:37], s[16:17], 3, v[70:71]
	s_mov_b32 s17, s22
	global_load_b64 v[36:37], v[36:37], off
.LBB83_41:                              ;   Parent Loop BB83_5 Depth=1
                                        ;     Parent Loop BB83_37 Depth=2
                                        ;       Parent Loop BB83_40 Depth=3
                                        ; =>      This Inner Loop Header: Depth=4
	v_mov_b32_e32 v38, s17
	s_lshl_b32 m0, s20, 1
	s_add_nc_u64 s[20:21], s[20:21], 1
	v_movrels_b32_e32 v41, v3
	v_movrels_b32_e32 v40, v2
	ds_load_b64 v[38:39], v38
	s_add_co_i32 s17, s17, -8
	s_cmp_eq_u32 s29, s20
	s_wait_loadcnt_dscnt 0x0
	v_fma_f64 v[38:39], -v[36:37], v[38:39], v[40:41]
	s_delay_alu instid0(VALU_DEP_1) | instskip(NEXT) | instid1(VALU_DEP_2)
	v_movreld_b32_e32 v2, v38
	v_movreld_b32_e32 v3, v39
	s_cbranch_scc0 .LBB83_41
; %bb.42:                               ;   in Loop: Header=BB83_40 Depth=3
	s_add_co_i32 s16, s16, -1
	s_addk_co_i32 s22, 0xff80
	s_cmp_le_i32 s16, s14
	s_cbranch_scc0 .LBB83_40
.LBB83_43:                              ;   in Loop: Header=BB83_37 Depth=2
	s_mov_b64 s[16:17], 0
	s_mov_b32 s43, s34
	s_branch .LBB83_46
.LBB83_44:                              ;   in Loop: Header=BB83_46 Depth=3
	s_mov_b32 s26, s14
	s_mov_b64 s[20:21], 0
	s_mov_b64 s[22:23], s[14:15]
.LBB83_45:                              ;   in Loop: Header=BB83_46 Depth=3
	s_mul_i32 s21, s26, 0x88
	s_lshl_b32 m0, s20, 1
	s_wait_xcnt 0x0
	v_mov_b32_e32 v36, s21
	v_movrels_b32_e32 v39, v3
	v_movrels_b32_e32 v38, v2
	s_add_nc_u64 s[16:17], s[16:17], 1
	s_add_co_i32 s43, s43, -8
	ds_load_b64 v[36:37], v36
	s_cmp_eq_u32 s16, s29
	s_wait_dscnt 0x0
	v_mul_f64_e32 v[36:37], v[38:39], v[36:37]
	v_lshl_add_u64 v[38:39], s[22:23], 3, v[70:71]
	s_delay_alu instid0(VALU_DEP_2) | instskip(NEXT) | instid1(VALU_DEP_3)
	v_movreld_b32_e32 v2, v36
	v_movreld_b32_e32 v3, v37
	global_store_b64 v[38:39], v[36:37], off
	s_cbranch_scc1 .LBB83_36
.LBB83_46:                              ;   Parent Loop BB83_5 Depth=1
                                        ;     Parent Loop BB83_37 Depth=2
                                        ; =>    This Loop Header: Depth=3
                                        ;         Child Loop BB83_48 Depth 4
	s_cmp_eq_u32 s16, 0
	s_cbranch_scc1 .LBB83_44
; %bb.47:                               ;   in Loop: Header=BB83_46 Depth=3
	s_mov_b64 s[20:21], s[16:17]
	s_mov_b64 s[22:23], 0
	s_lshl_b32 s21, s16, 1
	s_mov_b32 s26, s43
.LBB83_48:                              ;   Parent Loop BB83_5 Depth=1
                                        ;     Parent Loop BB83_37 Depth=2
                                        ;       Parent Loop BB83_46 Depth=3
                                        ; =>      This Inner Loop Header: Depth=4
	s_wait_xcnt 0x0
	v_mov_b32_e32 v36, s26
	s_lshl_b32 m0, s22, 1
	s_add_nc_u64 s[22:23], s[22:23], 1
	v_movrels_b32_e32 v39, v3
	v_movrels_b32_e32 v38, v2
	ds_load_b64 v[36:37], v36
	s_mov_b32 m0, s21
	s_addk_co_i32 s26, 0xff80
	v_movrels_b32_e32 v41, v3
	v_movrels_b32_e32 v40, v2
	s_cmp_eq_u32 s16, s22
	s_wait_dscnt 0x0
	s_delay_alu instid0(VALU_DEP_1) | instskip(NEXT) | instid1(VALU_DEP_1)
	v_fma_f64 v[36:37], -v[38:39], v[36:37], v[40:41]
	v_movreld_b32_e32 v2, v36
	s_delay_alu instid0(VALU_DEP_2)
	v_movreld_b32_e32 v3, v37
	s_cbranch_scc0 .LBB83_48
; %bb.49:                               ;   in Loop: Header=BB83_46 Depth=3
	s_sub_co_i32 s26, s14, s16
	s_delay_alu instid0(SALU_CYCLE_1) | instskip(NEXT) | instid1(SALU_CYCLE_1)
	s_ashr_i32 s27, s26, 31
	s_mov_b64 s[22:23], s[26:27]
	s_branch .LBB83_45
.LBB83_50:                              ;   Parent Loop BB83_5 Depth=1
                                        ; =>  This Inner Loop Header: Depth=2
	s_cmp_gt_i32 s14, -1
	s_cselect_b32 s16, -1, 0
	s_add_co_i32 s15, s3, 1
	s_cmp_lt_u32 s3, 2
	s_cselect_b32 s3, -1, 0
	s_delay_alu instid0(SALU_CYCLE_1) | instskip(NEXT) | instid1(SALU_CYCLE_1)
	s_and_b32 s3, s16, s3
	s_and_not1_b32 vcc_lo, exec_lo, s3
	s_cbranch_vccnz .LBB83_2
; %bb.51:                               ;   in Loop: Header=BB83_50 Depth=2
	s_mov_b32 s3, s15
	s_load_b32 s18, s[6:7], s3 offset:0x0 scale_offset
	s_wait_kmcnt 0x0
	s_add_co_i32 s28, s18, -1
	s_delay_alu instid0(SALU_CYCLE_1)
	s_cmp_lt_i32 s14, s28
	s_cbranch_scc0 .LBB83_35
	s_branch .LBB83_50
.LBB83_52:
	s_sendmsg sendmsg(MSG_DEALLOC_VGPRS)
	s_endpgm
	.section	.rodata,"a",@progbits
	.p2align	6, 0x0
	.amdhsa_kernel _ZL30rocblas_trsm_small_left_deviceILi16ELi16ELb0EddPKdPdEv13rocblas_fill_18rocblas_operation_17rocblas_diagonal_iiT3_T4_lilT5_lili
		.amdhsa_group_segment_fixed_size 2048
		.amdhsa_private_segment_fixed_size 0
		.amdhsa_kernarg_size 360
		.amdhsa_user_sgpr_count 2
		.amdhsa_user_sgpr_dispatch_ptr 0
		.amdhsa_user_sgpr_queue_ptr 0
		.amdhsa_user_sgpr_kernarg_segment_ptr 1
		.amdhsa_user_sgpr_dispatch_id 0
		.amdhsa_user_sgpr_kernarg_preload_length 0
		.amdhsa_user_sgpr_kernarg_preload_offset 0
		.amdhsa_user_sgpr_private_segment_size 0
		.amdhsa_wavefront_size32 1
		.amdhsa_uses_dynamic_stack 0
		.amdhsa_enable_private_segment 0
		.amdhsa_system_sgpr_workgroup_id_x 1
		.amdhsa_system_sgpr_workgroup_id_y 0
		.amdhsa_system_sgpr_workgroup_id_z 1
		.amdhsa_system_sgpr_workgroup_info 0
		.amdhsa_system_vgpr_workitem_id 0
		.amdhsa_next_free_vgpr 82
		.amdhsa_next_free_sgpr 47
		.amdhsa_named_barrier_count 0
		.amdhsa_reserve_vcc 1
		.amdhsa_float_round_mode_32 0
		.amdhsa_float_round_mode_16_64 0
		.amdhsa_float_denorm_mode_32 3
		.amdhsa_float_denorm_mode_16_64 3
		.amdhsa_fp16_overflow 0
		.amdhsa_memory_ordered 1
		.amdhsa_forward_progress 1
		.amdhsa_inst_pref_size 18
		.amdhsa_round_robin_scheduling 0
		.amdhsa_exception_fp_ieee_invalid_op 0
		.amdhsa_exception_fp_denorm_src 0
		.amdhsa_exception_fp_ieee_div_zero 0
		.amdhsa_exception_fp_ieee_overflow 0
		.amdhsa_exception_fp_ieee_underflow 0
		.amdhsa_exception_fp_ieee_inexact 0
		.amdhsa_exception_int_div_zero 0
	.end_amdhsa_kernel
	.section	.text._ZL30rocblas_trsm_small_left_deviceILi16ELi16ELb0EddPKdPdEv13rocblas_fill_18rocblas_operation_17rocblas_diagonal_iiT3_T4_lilT5_lili,"axG",@progbits,_ZL30rocblas_trsm_small_left_deviceILi16ELi16ELb0EddPKdPdEv13rocblas_fill_18rocblas_operation_17rocblas_diagonal_iiT3_T4_lilT5_lili,comdat
.Lfunc_end83:
	.size	_ZL30rocblas_trsm_small_left_deviceILi16ELi16ELb0EddPKdPdEv13rocblas_fill_18rocblas_operation_17rocblas_diagonal_iiT3_T4_lilT5_lili, .Lfunc_end83-_ZL30rocblas_trsm_small_left_deviceILi16ELi16ELb0EddPKdPdEv13rocblas_fill_18rocblas_operation_17rocblas_diagonal_iiT3_T4_lilT5_lili
                                        ; -- End function
	.set _ZL30rocblas_trsm_small_left_deviceILi16ELi16ELb0EddPKdPdEv13rocblas_fill_18rocblas_operation_17rocblas_diagonal_iiT3_T4_lilT5_lili.num_vgpr, 82
	.set _ZL30rocblas_trsm_small_left_deviceILi16ELi16ELb0EddPKdPdEv13rocblas_fill_18rocblas_operation_17rocblas_diagonal_iiT3_T4_lilT5_lili.num_agpr, 0
	.set _ZL30rocblas_trsm_small_left_deviceILi16ELi16ELb0EddPKdPdEv13rocblas_fill_18rocblas_operation_17rocblas_diagonal_iiT3_T4_lilT5_lili.numbered_sgpr, 47
	.set _ZL30rocblas_trsm_small_left_deviceILi16ELi16ELb0EddPKdPdEv13rocblas_fill_18rocblas_operation_17rocblas_diagonal_iiT3_T4_lilT5_lili.num_named_barrier, 0
	.set _ZL30rocblas_trsm_small_left_deviceILi16ELi16ELb0EddPKdPdEv13rocblas_fill_18rocblas_operation_17rocblas_diagonal_iiT3_T4_lilT5_lili.private_seg_size, 0
	.set _ZL30rocblas_trsm_small_left_deviceILi16ELi16ELb0EddPKdPdEv13rocblas_fill_18rocblas_operation_17rocblas_diagonal_iiT3_T4_lilT5_lili.uses_vcc, 1
	.set _ZL30rocblas_trsm_small_left_deviceILi16ELi16ELb0EddPKdPdEv13rocblas_fill_18rocblas_operation_17rocblas_diagonal_iiT3_T4_lilT5_lili.uses_flat_scratch, 0
	.set _ZL30rocblas_trsm_small_left_deviceILi16ELi16ELb0EddPKdPdEv13rocblas_fill_18rocblas_operation_17rocblas_diagonal_iiT3_T4_lilT5_lili.has_dyn_sized_stack, 0
	.set _ZL30rocblas_trsm_small_left_deviceILi16ELi16ELb0EddPKdPdEv13rocblas_fill_18rocblas_operation_17rocblas_diagonal_iiT3_T4_lilT5_lili.has_recursion, 0
	.set _ZL30rocblas_trsm_small_left_deviceILi16ELi16ELb0EddPKdPdEv13rocblas_fill_18rocblas_operation_17rocblas_diagonal_iiT3_T4_lilT5_lili.has_indirect_call, 0
	.section	.AMDGPU.csdata,"",@progbits
; Kernel info:
; codeLenInByte = 2292
; TotalNumSgprs: 49
; NumVgprs: 82
; ScratchSize: 0
; MemoryBound: 0
; FloatMode: 240
; IeeeMode: 1
; LDSByteSize: 2048 bytes/workgroup (compile time only)
; SGPRBlocks: 0
; VGPRBlocks: 5
; NumSGPRsForWavesPerEU: 49
; NumVGPRsForWavesPerEU: 82
; NamedBarCnt: 0
; Occupancy: 10
; WaveLimiterHint : 0
; COMPUTE_PGM_RSRC2:SCRATCH_EN: 0
; COMPUTE_PGM_RSRC2:USER_SGPR: 2
; COMPUTE_PGM_RSRC2:TRAP_HANDLER: 0
; COMPUTE_PGM_RSRC2:TGID_X_EN: 1
; COMPUTE_PGM_RSRC2:TGID_Y_EN: 0
; COMPUTE_PGM_RSRC2:TGID_Z_EN: 1
; COMPUTE_PGM_RSRC2:TIDIG_COMP_CNT: 0
	.section	.text._ZL38rocblas_trsm_small_left_device_sharedBILi16ELi16ELb1EddPKdPdEv13rocblas_fill_18rocblas_operation_17rocblas_diagonal_iiT3_T4_lilT5_lili,"axG",@progbits,_ZL38rocblas_trsm_small_left_device_sharedBILi16ELi16ELb1EddPKdPdEv13rocblas_fill_18rocblas_operation_17rocblas_diagonal_iiT3_T4_lilT5_lili,comdat
	.globl	_ZL38rocblas_trsm_small_left_device_sharedBILi16ELi16ELb1EddPKdPdEv13rocblas_fill_18rocblas_operation_17rocblas_diagonal_iiT3_T4_lilT5_lili ; -- Begin function _ZL38rocblas_trsm_small_left_device_sharedBILi16ELi16ELb1EddPKdPdEv13rocblas_fill_18rocblas_operation_17rocblas_diagonal_iiT3_T4_lilT5_lili
	.p2align	8
	.type	_ZL38rocblas_trsm_small_left_device_sharedBILi16ELi16ELb1EddPKdPdEv13rocblas_fill_18rocblas_operation_17rocblas_diagonal_iiT3_T4_lilT5_lili,@function
_ZL38rocblas_trsm_small_left_device_sharedBILi16ELi16ELb1EddPKdPdEv13rocblas_fill_18rocblas_operation_17rocblas_diagonal_iiT3_T4_lilT5_lili: ; @_ZL38rocblas_trsm_small_left_device_sharedBILi16ELi16ELb1EddPKdPdEv13rocblas_fill_18rocblas_operation_17rocblas_diagonal_iiT3_T4_lilT5_lili
; %bb.0:
	s_load_b32 s19, s[0:1], 0x60
	s_bfe_u32 s2, ttmp6, 0x40014
	s_lshr_b32 s3, ttmp7, 16
	s_add_co_i32 s2, s2, 1
	s_bfe_u32 s5, ttmp6, 0x40008
	s_mul_i32 s4, s3, s2
	s_getreg_b32 s2, hwreg(HW_REG_IB_STS2, 6, 4)
	s_add_co_i32 s5, s5, s4
	s_cmp_eq_u32 s2, 0
	s_cselect_b32 s23, s3, s5
	s_wait_kmcnt 0x0
	s_cmp_ge_u32 s23, s19
	s_cbranch_scc1 .LBB84_55
; %bb.1:
	s_clause 0x6
	s_load_b96 s[16:18], s[0:1], 0x28
	s_load_b96 s[20:22], s[0:1], 0x48
	s_load_b128 s[12:15], s[0:1], 0x4
	s_load_b32 s3, s[0:1], 0x68
	s_load_b64 s[24:25], s[0:1], 0x58
	s_load_b128 s[4:7], s[0:1], 0x18
	s_load_b128 s[8:11], s[0:1], 0x38
	s_wait_xcnt 0x0
	s_bfe_u32 s0, ttmp6, 0x4000c
	s_and_b32 s1, ttmp6, 15
	s_add_co_i32 s0, s0, 1
	v_dual_mov_b32 v67, 0 :: v_dual_lshlrev_b32 v66, 3, v0
	s_mul_i32 s0, ttmp9, s0
	v_lshlrev_b32_e32 v34, 7, v0
	s_add_co_i32 s0, s1, s0
	s_delay_alu instid0(VALU_DEP_2)
	v_or_b32_e32 v74, 0x800, v66
	v_dual_mov_b32 v2, v67 :: v_dual_mov_b32 v3, v67
	v_dual_mov_b32 v4, v67 :: v_dual_mov_b32 v5, v67
	v_mov_b32_e32 v6, v67
	s_wait_kmcnt 0x0
	s_ashr_i32 s31, s18, 31
	s_min_i32 s1, s14, 16
	s_ashr_i32 s29, s22, 31
	s_add_co_i32 s3, s3, -1
	s_add_co_i32 s26, s1, -1
	s_cmp_eq_u32 s2, 0
	v_dual_mov_b32 v8, v67 :: v_dual_mov_b32 v9, v67
	s_cselect_b32 s0, ttmp9, s0
	v_dual_mov_b32 v10, v67 :: v_dual_mov_b32 v11, v67
	s_lshl_b32 s2, s0, 4
	v_dual_mov_b32 v12, v67 :: v_dual_mov_b32 v13, v67
	s_sub_co_i32 s15, s15, s2
	s_cmp_ge_u32 s0, s3
	v_dual_mov_b32 v14, v67 :: v_dual_mov_b32 v15, v67
	s_cselect_b32 s0, s15, 16
	s_ashr_i32 s3, s2, 31
	s_cmp_lg_u32 s13, 0x84
	v_cmp_gt_i32_e32 vcc_lo, s0, v0
	s_cselect_b32 s27, -1, 0
	s_cmp_gt_i32 s14, 0
	v_cmp_gt_i32_e64 s0, s1, v0
	s_cselect_b32 s14, -1, 0
	s_cmp_lg_u32 s12, 0x6f
	v_dual_mov_b32 v16, v67 :: v_dual_mov_b32 v17, v67
	s_cselect_b32 s28, -1, 0
	s_lshl_b64 s[2:3], s[2:3], 3
	s_delay_alu instid0(SALU_CYCLE_1)
	v_dual_mov_b32 v7, v67 :: v_dual_bitop2_b32 v21, s2, v66 bitop3:0x54
	s_lshl_b64 s[12:13], s[20:21], 3
	v_dual_mov_b32 v18, v67 :: v_dual_mov_b32 v19, v67
	s_add_nc_u64 s[10:11], s[10:11], s[12:13]
	v_mov_b32_e32 v20, v67
	v_mad_nc_u64_u32 v[68:69], v21, s22, s[10:11]
	s_lshl_b64 s[10:11], s[16:17], 3
	v_dual_mov_b32 v24, v67 :: v_dual_mov_b32 v25, v67
	v_dual_mov_b32 v26, v67 :: v_dual_mov_b32 v27, v67
	;; [unrolled: 1-line block ×5, first 2 shown]
	v_mad_u32 v22, s3, s22, v69
	s_lshl_b64 s[2:3], s[8:9], 3
	s_add_nc_u64 s[8:9], s[6:7], s[10:11]
	v_mov_b32_e32 v23, v67
	v_add_nc_u64_e32 v[0:1], s[8:9], v[66:67]
	s_mov_b32 s30, s18
	s_lshl_b32 s20, s1, 3
	s_and_b32 s18, vcc_lo, s14
	s_lshl_b64 s[6:7], s[30:31], 3
	s_lshl_b64 s[10:11], s[24:25], 3
	s_add_co_i32 s20, s20, -8
	v_mad_u32 v69, v21, s29, v22
	v_dual_mov_b32 v21, v67 :: v_dual_mov_b32 v22, v67
	v_add_nc_u32_e32 v67, v66, v34
	s_get_pc_i64 s[8:9]
	s_add_nc_u64 s[8:9], s[8:9], __const._ZL38rocblas_trsm_small_left_device_sharedBILi16ELi16ELb1EddPKdPdEv13rocblas_fill_18rocblas_operation_17rocblas_diagonal_iiT3_T4_lilT5_lili.step_sizes@rel64+4
	s_branch .LBB84_3
.LBB84_2:                               ;   in Loop: Header=BB84_3 Depth=1
	s_or_b32 exec_lo, exec_lo, s12
	s_delay_alu instid0(VALU_DEP_1)
	v_mov_b64_e32 v[2:3], v[34:35]
	v_mov_b64_e32 v[4:5], v[36:37]
	;; [unrolled: 1-line block ×16, first 2 shown]
	s_add_co_i32 s23, s23, 0x10000
	s_delay_alu instid0(SALU_CYCLE_1)
	s_cmp_lt_u32 s23, s19
	s_cbranch_scc0 .LBB84_55
.LBB84_3:                               ; =>This Loop Header: Depth=1
                                        ;     Child Loop BB84_5 Depth 2
                                        ;     Child Loop BB84_11 Depth 2
	;; [unrolled: 1-line block ×3, first 2 shown]
                                        ;       Child Loop BB84_17 Depth 3
                                        ;       Child Loop BB84_19 Depth 3
                                        ;         Child Loop BB84_20 Depth 4
                                        ;       Child Loop BB84_25 Depth 3
                                        ;         Child Loop BB84_27 Depth 4
                                        ;     Child Loop BB84_28 Depth 2
                                        ;     Child Loop BB84_33 Depth 2
                                        ;       Child Loop BB84_36 Depth 3
                                        ;         Child Loop BB84_37 Depth 4
                                        ;         Child Loop BB84_40 Depth 4
                                        ;           Child Loop BB84_41 Depth 5
                                        ;         Child Loop BB84_46 Depth 4
                                        ;           Child Loop BB84_48 Depth 5
                                        ;     Child Loop BB84_54 Depth 2
	s_and_saveexec_b32 s12, s0
	s_cbranch_execz .LBB84_9
; %bb.4:                                ;   in Loop: Header=BB84_3 Depth=1
	v_mad_nc_u64_u32 v[34:35], s2, s23, v[0:1]
	v_mov_b32_e32 v36, v66
	s_mov_b32 s13, s1
	s_delay_alu instid0(VALU_DEP_2)
	v_mad_u32 v35, s3, s23, v35
.LBB84_5:                               ;   Parent Loop BB84_3 Depth=1
                                        ; =>  This Inner Loop Header: Depth=2
	global_load_b64 v[38:39], v[34:35], off
	s_wait_xcnt 0x0
	v_add_nc_u64_e32 v[34:35], s[6:7], v[34:35]
	s_add_co_i32 s13, s13, -1
	s_delay_alu instid0(SALU_CYCLE_1)
	s_cmp_eq_u32 s13, 0
	s_wait_loadcnt 0x0
	ds_store_b64 v36, v[38:39]
	v_add_nc_u32_e32 v36, 0x80, v36
	s_cbranch_scc0 .LBB84_5
; %bb.6:                                ;   in Loop: Header=BB84_3 Depth=1
	v_mov_b64_e32 v[34:35], 1.0
	s_and_b32 vcc_lo, exec_lo, s27
	s_cbranch_vccz .LBB84_8
; %bb.7:                                ;   in Loop: Header=BB84_3 Depth=1
	ds_load_b64 v[34:35], v67
	s_wait_dscnt 0x0
	v_div_scale_f64 v[36:37], null, v[34:35], v[34:35], 1.0
	s_delay_alu instid0(VALU_DEP_1) | instskip(SKIP_1) | instid1(TRANS32_DEP_1)
	v_rcp_f64_e32 v[38:39], v[36:37]
	v_nop
	v_fma_f64 v[40:41], -v[36:37], v[38:39], 1.0
	s_delay_alu instid0(VALU_DEP_1) | instskip(NEXT) | instid1(VALU_DEP_1)
	v_fmac_f64_e32 v[38:39], v[38:39], v[40:41]
	v_fma_f64 v[40:41], -v[36:37], v[38:39], 1.0
	s_delay_alu instid0(VALU_DEP_1) | instskip(SKIP_1) | instid1(VALU_DEP_1)
	v_fmac_f64_e32 v[38:39], v[38:39], v[40:41]
	v_div_scale_f64 v[40:41], vcc_lo, 1.0, v[34:35], 1.0
	v_mul_f64_e32 v[42:43], v[40:41], v[38:39]
	s_delay_alu instid0(VALU_DEP_1) | instskip(NEXT) | instid1(VALU_DEP_1)
	v_fma_f64 v[36:37], -v[36:37], v[42:43], v[40:41]
	v_div_fmas_f64 v[36:37], v[36:37], v[38:39], v[42:43]
	s_delay_alu instid0(VALU_DEP_1)
	v_div_fixup_f64 v[34:35], v[36:37], v[34:35], 1.0
.LBB84_8:                               ;   in Loop: Header=BB84_3 Depth=1
	ds_store_b64 v67, v[34:35]
.LBB84_9:                               ;   in Loop: Header=BB84_3 Depth=1
	s_or_b32 exec_lo, exec_lo, s12
	s_delay_alu instid0(VALU_DEP_3) | instskip(NEXT) | instid1(VALU_DEP_1)
	v_mad_nc_u64_u32 v[70:71], s10, s23, v[68:69]
	v_mad_u32 v71, s11, s23, v71
	s_and_saveexec_b32 s12, s18
	s_cbranch_execz .LBB84_12
; %bb.10:                               ;   in Loop: Header=BB84_3 Depth=1
	s_delay_alu instid0(VALU_DEP_1)
	v_mov_b64_e32 v[34:35], v[70:71]
	v_mov_b32_e32 v36, v74
	s_mov_b32 s13, s1
.LBB84_11:                              ;   Parent Loop BB84_3 Depth=1
                                        ; =>  This Inner Loop Header: Depth=2
	global_load_b64 v[38:39], v[34:35], off
	s_wait_xcnt 0x0
	v_add_nc_u64_e32 v[34:35], 8, v[34:35]
	s_add_co_i32 s13, s13, -1
	s_delay_alu instid0(SALU_CYCLE_1)
	s_cmp_lg_u32 s13, 0
	s_wait_loadcnt 0x0
	v_mul_f64_e32 v[38:39], s[4:5], v[38:39]
	ds_store_b64 v36, v[38:39]
	v_add_nc_u32_e32 v36, 0x80, v36
	s_cbranch_scc1 .LBB84_11
.LBB84_12:                              ;   in Loop: Header=BB84_3 Depth=1
	s_or_b32 exec_lo, exec_lo, s12
	s_delay_alu instid0(SALU_CYCLE_1)
	s_and_not1_b32 vcc_lo, exec_lo, s28
	s_mov_b32 s12, -1
	s_wait_dscnt 0x0
	; wave barrier
                                        ; implicit-def: $vgpr34_vgpr35_vgpr36_vgpr37_vgpr38_vgpr39_vgpr40_vgpr41_vgpr42_vgpr43_vgpr44_vgpr45_vgpr46_vgpr47_vgpr48_vgpr49_vgpr50_vgpr51_vgpr52_vgpr53_vgpr54_vgpr55_vgpr56_vgpr57_vgpr58_vgpr59_vgpr60_vgpr61_vgpr62_vgpr63_vgpr64_vgpr65
	s_cbranch_vccnz .LBB84_31
; %bb.13:                               ;   in Loop: Header=BB84_3 Depth=1
	v_mov_b64_e32 v[64:65], v[32:33]
	v_mov_b64_e32 v[62:63], v[30:31]
	;; [unrolled: 1-line block ×16, first 2 shown]
	s_wait_xcnt 0x0
	s_mov_b32 s22, 0
	s_mov_b32 s21, s26
	s_load_b32 s24, s[8:9], s22 offset:0x0 scale_offset
	s_wait_kmcnt 0x0
	s_add_co_i32 s25, s24, -1
	s_delay_alu instid0(SALU_CYCLE_1)
	s_cmp_lt_i32 s21, s25
	s_cbranch_scc1 .LBB84_28
.LBB84_14:                              ;   in Loop: Header=BB84_3 Depth=1
	s_lshl_b32 s12, s21, 7
	s_lshl_b32 s13, s24, 7
	v_add_nc_u32_e32 v75, s12, v74
	s_max_i32 s29, s24, 1
	s_sub_co_i32 s30, 0, s13
	s_add_co_i32 s31, s20, s12
	s_mul_i32 s33, s21, 0x88
	s_mul_i32 s34, s24, 0xffffff78
	s_branch .LBB84_16
.LBB84_15:                              ;   in Loop: Header=BB84_16 Depth=2
	v_add_nc_u32_e32 v75, s30, v75
	s_sub_co_i32 s21, s21, s24
	s_add_co_i32 s31, s31, s30
	s_add_co_i32 s33, s33, s34
	s_cmp_lt_i32 s21, s25
	s_cbranch_scc1 .LBB84_28
.LBB84_16:                              ;   Parent Loop BB84_3 Depth=1
                                        ; =>  This Loop Header: Depth=2
                                        ;       Child Loop BB84_17 Depth 3
                                        ;       Child Loop BB84_19 Depth 3
                                        ;         Child Loop BB84_20 Depth 4
                                        ;       Child Loop BB84_25 Depth 3
                                        ;         Child Loop BB84_27 Depth 4
	v_mov_b32_e32 v72, v75
	s_mov_b64 s[12:13], 0
.LBB84_17:                              ;   Parent Loop BB84_3 Depth=1
                                        ;     Parent Loop BB84_16 Depth=2
                                        ; =>    This Inner Loop Header: Depth=3
	ds_load_b64 v[76:77], v72
	v_add_nc_u32_e32 v72, 0xffffff80, v72
	s_lshl_b32 m0, s12, 1
	s_add_nc_u64 s[12:13], s[12:13], 1
	s_delay_alu instid0(SALU_CYCLE_1)
	s_cmp_eq_u32 s29, s12
	s_wait_dscnt 0x0
	v_movreld_b32_e32 v34, v76
	v_movreld_b32_e32 v35, v77
	s_cbranch_scc0 .LBB84_17
; %bb.18:                               ;   in Loop: Header=BB84_16 Depth=2
	s_cmp_le_i32 s26, s21
	s_mov_b32 s14, s31
	s_mov_b32 s15, s26
	s_cbranch_scc1 .LBB84_22
.LBB84_19:                              ;   Parent Loop BB84_3 Depth=1
                                        ;     Parent Loop BB84_16 Depth=2
                                        ; =>    This Loop Header: Depth=3
                                        ;         Child Loop BB84_20 Depth 4
	v_lshl_add_u32 v72, s15, 7, v74
	s_mov_b64 s[12:13], 0
	s_mov_b32 s16, s14
	ds_load_b64 v[72:73], v72
.LBB84_20:                              ;   Parent Loop BB84_3 Depth=1
                                        ;     Parent Loop BB84_16 Depth=2
                                        ;       Parent Loop BB84_19 Depth=3
                                        ; =>      This Inner Loop Header: Depth=4
	v_mov_b32_e32 v76, s16
	s_lshl_b32 m0, s12, 1
	s_add_nc_u64 s[12:13], s[12:13], 1
	v_movrels_b32_e32 v79, v35
	v_movrels_b32_e32 v78, v34
	ds_load_b64 v[76:77], v76
	s_addk_co_i32 s16, 0xff80
	s_cmp_eq_u32 s29, s12
	s_wait_dscnt 0x0
	v_fma_f64 v[76:77], -v[72:73], v[76:77], v[78:79]
	s_delay_alu instid0(VALU_DEP_1) | instskip(NEXT) | instid1(VALU_DEP_2)
	v_movreld_b32_e32 v34, v76
	v_movreld_b32_e32 v35, v77
	s_cbranch_scc0 .LBB84_20
; %bb.21:                               ;   in Loop: Header=BB84_19 Depth=3
	s_add_co_i32 s15, s15, -1
	s_add_co_i32 s14, s14, -8
	s_cmp_le_i32 s15, s21
	s_cbranch_scc0 .LBB84_19
.LBB84_22:                              ;   in Loop: Header=BB84_16 Depth=2
	s_lshl_b32 s35, s21, 7
	s_mov_b64 s[12:13], 0
	s_mov_b32 s36, s33
	s_branch .LBB84_25
.LBB84_23:                              ;   in Loop: Header=BB84_25 Depth=3
	s_mov_b32 s38, s21
	s_mov_b64 s[14:15], 0
	s_mov_b32 s37, s35
.LBB84_24:                              ;   in Loop: Header=BB84_25 Depth=3
	s_mul_i32 s15, s38, 0x88
	s_lshl_b32 m0, s14, 1
	v_mov_b32_e32 v72, s15
	v_movrels_b32_e32 v77, v35
	v_movrels_b32_e32 v76, v34
	s_add_nc_u64 s[12:13], s[12:13], 1
	s_addk_co_i32 s36, 0xff80
	ds_load_b64 v[72:73], v72
	s_cmp_eq_u32 s12, s29
	s_wait_dscnt 0x0
	v_dual_mul_f64 v[72:73], v[76:77], v[72:73] :: v_dual_add_nc_u32 v76, s37, v74
	s_delay_alu instid0(VALU_DEP_1) | instskip(NEXT) | instid1(VALU_DEP_2)
	v_movreld_b32_e32 v34, v72
	v_movreld_b32_e32 v35, v73
	ds_store_b64 v76, v[72:73]
	s_cbranch_scc1 .LBB84_15
.LBB84_25:                              ;   Parent Loop BB84_3 Depth=1
                                        ;     Parent Loop BB84_16 Depth=2
                                        ; =>    This Loop Header: Depth=3
                                        ;         Child Loop BB84_27 Depth 4
	s_cmp_eq_u32 s12, 0
	s_cbranch_scc1 .LBB84_23
; %bb.26:                               ;   in Loop: Header=BB84_25 Depth=3
	s_sub_co_i32 s38, s21, s12
	s_mov_b64 s[14:15], s[12:13]
	s_mov_b64 s[16:17], 0
	s_lshl_b32 s37, s38, 7
	s_lshl_b32 s15, s12, 1
	s_mov_b32 s39, s36
.LBB84_27:                              ;   Parent Loop BB84_3 Depth=1
                                        ;     Parent Loop BB84_16 Depth=2
                                        ;       Parent Loop BB84_25 Depth=3
                                        ; =>      This Inner Loop Header: Depth=4
	s_delay_alu instid0(SALU_CYCLE_1)
	v_mov_b32_e32 v72, s39
	s_lshl_b32 m0, s16, 1
	s_add_nc_u64 s[16:17], s[16:17], 1
	v_movrels_b32_e32 v77, v35
	v_movrels_b32_e32 v76, v34
	ds_load_b64 v[72:73], v72
	s_mov_b32 m0, s15
	s_add_co_i32 s39, s39, -8
	v_movrels_b32_e32 v79, v35
	v_movrels_b32_e32 v78, v34
	s_cmp_eq_u32 s12, s16
	s_wait_dscnt 0x0
	s_delay_alu instid0(VALU_DEP_1) | instskip(NEXT) | instid1(VALU_DEP_1)
	v_fma_f64 v[72:73], -v[76:77], v[72:73], v[78:79]
	v_movreld_b32_e32 v34, v72
	s_delay_alu instid0(VALU_DEP_2)
	v_movreld_b32_e32 v35, v73
	s_cbranch_scc0 .LBB84_27
	s_branch .LBB84_24
.LBB84_28:                              ;   Parent Loop BB84_3 Depth=1
                                        ; =>  This Inner Loop Header: Depth=2
	s_cmp_gt_i32 s21, -1
	s_cselect_b32 s13, -1, 0
	s_add_co_i32 s12, s22, 1
	s_cmp_lt_u32 s22, 2
	s_cselect_b32 s14, -1, 0
	s_delay_alu instid0(SALU_CYCLE_1) | instskip(NEXT) | instid1(SALU_CYCLE_1)
	s_and_b32 s13, s13, s14
	s_and_b32 vcc_lo, exec_lo, s13
	s_cbranch_vccz .LBB84_30
; %bb.29:                               ;   in Loop: Header=BB84_28 Depth=2
	s_wait_xcnt 0x0
	s_mov_b32 s22, s12
	s_load_b32 s24, s[8:9], s22 offset:0x0 scale_offset
	s_wait_kmcnt 0x0
	s_add_co_i32 s25, s24, -1
	s_delay_alu instid0(SALU_CYCLE_1)
	s_cmp_lt_i32 s21, s25
	s_cbranch_scc0 .LBB84_14
	s_branch .LBB84_28
.LBB84_30:                              ;   in Loop: Header=BB84_3 Depth=1
	s_mov_b32 s12, 0
.LBB84_31:                              ;   in Loop: Header=BB84_3 Depth=1
	s_delay_alu instid0(SALU_CYCLE_1)
	s_and_b32 vcc_lo, exec_lo, s12
	s_cbranch_vccz .LBB84_52
; %bb.32:                               ;   in Loop: Header=BB84_3 Depth=1
	s_mov_b32 s21, 0
	s_wait_xcnt 0x0
	s_mov_b32 s22, 0
.LBB84_33:                              ;   Parent Loop BB84_3 Depth=1
                                        ; =>  This Loop Header: Depth=2
                                        ;       Child Loop BB84_36 Depth 3
                                        ;         Child Loop BB84_37 Depth 4
                                        ;         Child Loop BB84_40 Depth 4
                                        ;           Child Loop BB84_41 Depth 5
                                        ;         Child Loop BB84_46 Depth 4
                                        ;           Child Loop BB84_48 Depth 5
	s_load_b32 s24, s[8:9], s22 offset:0x0 scale_offset
	s_wait_kmcnt 0x0
	s_add_co_i32 s25, s24, -1
	s_delay_alu instid0(SALU_CYCLE_1) | instskip(NEXT) | instid1(SALU_CYCLE_1)
	s_add_co_i32 s12, s25, s21
	s_cmp_ge_i32 s12, s1
	s_cbranch_scc1 .LBB84_49
; %bb.34:                               ;   in Loop: Header=BB84_33 Depth=2
	v_lshl_add_u32 v36, s21, 7, v74
	s_max_i32 s29, s24, 1
	s_lshl_b32 s30, s24, 7
	s_lshl_b32 s31, s21, 3
	s_lshl_b32 s33, s24, 3
	s_mul_i32 s34, s21, 0x88
	s_mul_i32 s35, s24, 0x88
	s_branch .LBB84_36
.LBB84_35:                              ;   in Loop: Header=BB84_36 Depth=3
	s_add_co_i32 s21, s21, s24
	v_add_nc_u32_e32 v36, s30, v36
	s_add_co_i32 s12, s25, s21
	s_add_co_i32 s31, s31, s33
	;; [unrolled: 1-line block ×3, first 2 shown]
	s_cmp_ge_i32 s12, s1
	s_cbranch_scc1 .LBB84_49
.LBB84_36:                              ;   Parent Loop BB84_3 Depth=1
                                        ;     Parent Loop BB84_33 Depth=2
                                        ; =>    This Loop Header: Depth=3
                                        ;         Child Loop BB84_37 Depth 4
                                        ;         Child Loop BB84_40 Depth 4
                                        ;           Child Loop BB84_41 Depth 5
                                        ;         Child Loop BB84_46 Depth 4
                                        ;           Child Loop BB84_48 Depth 5
	v_mov_b32_e32 v34, v36
	s_mov_b64 s[12:13], 0
.LBB84_37:                              ;   Parent Loop BB84_3 Depth=1
                                        ;     Parent Loop BB84_33 Depth=2
                                        ;       Parent Loop BB84_36 Depth=3
                                        ; =>      This Inner Loop Header: Depth=4
	ds_load_b64 v[38:39], v34
	v_add_nc_u32_e32 v34, 0x80, v34
	s_lshl_b32 m0, s12, 1
	s_add_nc_u64 s[12:13], s[12:13], 1
	s_delay_alu instid0(SALU_CYCLE_1)
	s_cmp_eq_u32 s29, s12
	s_wait_dscnt 0x0
	v_movreld_b32_e32 v2, v38
	v_movreld_b32_e32 v3, v39
	s_cbranch_scc0 .LBB84_37
; %bb.38:                               ;   in Loop: Header=BB84_36 Depth=3
	s_cmp_lt_i32 s21, 1
	s_cbranch_scc1 .LBB84_43
; %bb.39:                               ;   in Loop: Header=BB84_36 Depth=3
	s_mov_b32 s14, 0
	s_mov_b32 s15, s31
.LBB84_40:                              ;   Parent Loop BB84_3 Depth=1
                                        ;     Parent Loop BB84_33 Depth=2
                                        ;       Parent Loop BB84_36 Depth=3
                                        ; =>      This Loop Header: Depth=4
                                        ;           Child Loop BB84_41 Depth 5
	v_lshl_add_u32 v34, s14, 7, v74
	s_mov_b64 s[12:13], 0
	s_mov_b32 s16, s15
	ds_load_b64 v[34:35], v34
.LBB84_41:                              ;   Parent Loop BB84_3 Depth=1
                                        ;     Parent Loop BB84_33 Depth=2
                                        ;       Parent Loop BB84_36 Depth=3
                                        ;         Parent Loop BB84_40 Depth=4
                                        ; =>        This Inner Loop Header: Depth=5
	s_lshl_b32 m0, s12, 1
	s_add_nc_u64 s[12:13], s[12:13], 1
	v_movrels_b32_e32 v41, v3
	v_movrels_b32_e32 v40, v2
	v_mov_b32_e32 v37, s16
	s_add_co_i32 s16, s16, 8
	s_cmp_eq_u32 s29, s12
	ds_load_b64 v[38:39], v37
	s_wait_dscnt 0x0
	v_fma_f64 v[38:39], -v[34:35], v[38:39], v[40:41]
	s_delay_alu instid0(VALU_DEP_1) | instskip(NEXT) | instid1(VALU_DEP_2)
	v_movreld_b32_e32 v2, v38
	v_movreld_b32_e32 v3, v39
	s_cbranch_scc0 .LBB84_41
; %bb.42:                               ;   in Loop: Header=BB84_40 Depth=4
	s_add_co_i32 s14, s14, 1
	s_addk_co_i32 s15, 0x80
	s_cmp_eq_u32 s14, s21
	s_cbranch_scc0 .LBB84_40
.LBB84_43:                              ;   in Loop: Header=BB84_36 Depth=3
	s_mov_b64 s[12:13], 0
	s_mov_b32 s36, s34
	s_branch .LBB84_46
.LBB84_44:                              ;   in Loop: Header=BB84_46 Depth=4
	s_mov_b64 s[14:15], 0
.LBB84_45:                              ;   in Loop: Header=BB84_46 Depth=4
	s_add_co_i32 s15, s12, s21
	s_lshl_b32 m0, s14, 1
	s_mul_i32 s16, s15, 0x88
	v_movrels_b32_e32 v39, v3
	v_mov_b32_e32 v34, s16
	v_movrels_b32_e32 v38, v2
	v_lshl_add_u32 v37, s15, 7, v74
	s_add_nc_u64 s[12:13], s[12:13], 1
	s_add_co_i32 s36, s36, 8
	ds_load_b64 v[34:35], v34
	s_cmp_eq_u32 s12, s29
	s_wait_dscnt 0x0
	v_mul_f64_e32 v[34:35], v[38:39], v[34:35]
	s_delay_alu instid0(VALU_DEP_1) | instskip(NEXT) | instid1(VALU_DEP_2)
	v_movreld_b32_e32 v2, v34
	v_movreld_b32_e32 v3, v35
	ds_store_b64 v37, v[34:35]
	s_cbranch_scc1 .LBB84_35
.LBB84_46:                              ;   Parent Loop BB84_3 Depth=1
                                        ;     Parent Loop BB84_33 Depth=2
                                        ;       Parent Loop BB84_36 Depth=3
                                        ; =>      This Loop Header: Depth=4
                                        ;           Child Loop BB84_48 Depth 5
	s_cmp_eq_u32 s12, 0
	s_cbranch_scc1 .LBB84_44
; %bb.47:                               ;   in Loop: Header=BB84_46 Depth=4
	s_mov_b64 s[14:15], s[12:13]
	s_mov_b64 s[16:17], 0
	s_lshl_b32 s15, s12, 1
	s_mov_b32 s37, s36
.LBB84_48:                              ;   Parent Loop BB84_3 Depth=1
                                        ;     Parent Loop BB84_33 Depth=2
                                        ;       Parent Loop BB84_36 Depth=3
                                        ;         Parent Loop BB84_46 Depth=4
                                        ; =>        This Inner Loop Header: Depth=5
	s_delay_alu instid0(SALU_CYCLE_1)
	v_mov_b32_e32 v34, s37
	s_lshl_b32 m0, s16, 1
	s_add_nc_u64 s[16:17], s[16:17], 1
	v_movrels_b32_e32 v39, v3
	v_movrels_b32_e32 v38, v2
	ds_load_b64 v[34:35], v34
	s_mov_b32 m0, s15
	s_addk_co_i32 s37, 0x80
	v_movrels_b32_e32 v41, v3
	v_movrels_b32_e32 v40, v2
	s_cmp_eq_u32 s12, s16
	s_wait_dscnt 0x0
	s_delay_alu instid0(VALU_DEP_1) | instskip(NEXT) | instid1(VALU_DEP_1)
	v_fma_f64 v[34:35], -v[38:39], v[34:35], v[40:41]
	v_movreld_b32_e32 v2, v34
	s_delay_alu instid0(VALU_DEP_2)
	v_movreld_b32_e32 v3, v35
	s_cbranch_scc0 .LBB84_48
	s_branch .LBB84_45
.LBB84_49:                              ;   in Loop: Header=BB84_33 Depth=2
	s_cmp_lt_i32 s21, s1
	s_cselect_b32 s13, -1, 0
	s_add_co_i32 s12, s22, 1
	s_cmp_lt_u32 s22, 2
	s_cselect_b32 s14, -1, 0
	s_delay_alu instid0(SALU_CYCLE_1) | instskip(NEXT) | instid1(SALU_CYCLE_1)
	s_and_b32 s13, s13, s14
	s_and_not1_b32 vcc_lo, exec_lo, s13
	s_cbranch_vccnz .LBB84_51
; %bb.50:                               ;   in Loop: Header=BB84_33 Depth=2
	s_wait_xcnt 0x0
	s_mov_b32 s22, s12
	s_branch .LBB84_33
.LBB84_51:                              ;   in Loop: Header=BB84_3 Depth=1
	v_mov_b64_e32 v[64:65], v[32:33]
	v_mov_b64_e32 v[62:63], v[30:31]
	;; [unrolled: 1-line block ×16, first 2 shown]
.LBB84_52:                              ;   in Loop: Header=BB84_3 Depth=1
	s_wait_dscnt 0x0
	; wave barrier
	s_and_saveexec_b32 s12, s18
	s_cbranch_execz .LBB84_2
; %bb.53:                               ;   in Loop: Header=BB84_3 Depth=1
	v_mov_b32_e32 v2, v74
	s_mov_b32 s13, s1
.LBB84_54:                              ;   Parent Loop BB84_3 Depth=1
                                        ; =>  This Inner Loop Header: Depth=2
	ds_load_b64 v[4:5], v2
	v_add_nc_u32_e32 v2, 0x80, v2
	s_add_co_i32 s13, s13, -1
	s_delay_alu instid0(SALU_CYCLE_1)
	s_cmp_lg_u32 s13, 0
	s_wait_dscnt 0x0
	global_store_b64 v[70:71], v[4:5], off
	s_wait_xcnt 0x0
	v_add_nc_u64_e32 v[70:71], 8, v[70:71]
	s_cbranch_scc1 .LBB84_54
	s_branch .LBB84_2
.LBB84_55:
	s_sendmsg sendmsg(MSG_DEALLOC_VGPRS)
	s_endpgm
	.section	.rodata,"a",@progbits
	.p2align	6, 0x0
	.amdhsa_kernel _ZL38rocblas_trsm_small_left_device_sharedBILi16ELi16ELb1EddPKdPdEv13rocblas_fill_18rocblas_operation_17rocblas_diagonal_iiT3_T4_lilT5_lili
		.amdhsa_group_segment_fixed_size 4096
		.amdhsa_private_segment_fixed_size 0
		.amdhsa_kernarg_size 360
		.amdhsa_user_sgpr_count 2
		.amdhsa_user_sgpr_dispatch_ptr 0
		.amdhsa_user_sgpr_queue_ptr 0
		.amdhsa_user_sgpr_kernarg_segment_ptr 1
		.amdhsa_user_sgpr_dispatch_id 0
		.amdhsa_user_sgpr_kernarg_preload_length 0
		.amdhsa_user_sgpr_kernarg_preload_offset 0
		.amdhsa_user_sgpr_private_segment_size 0
		.amdhsa_wavefront_size32 1
		.amdhsa_uses_dynamic_stack 0
		.amdhsa_enable_private_segment 0
		.amdhsa_system_sgpr_workgroup_id_x 1
		.amdhsa_system_sgpr_workgroup_id_y 0
		.amdhsa_system_sgpr_workgroup_id_z 1
		.amdhsa_system_sgpr_workgroup_info 0
		.amdhsa_system_vgpr_workitem_id 0
		.amdhsa_next_free_vgpr 80
		.amdhsa_next_free_sgpr 40
		.amdhsa_named_barrier_count 0
		.amdhsa_reserve_vcc 1
		.amdhsa_float_round_mode_32 0
		.amdhsa_float_round_mode_16_64 0
		.amdhsa_float_denorm_mode_32 3
		.amdhsa_float_denorm_mode_16_64 3
		.amdhsa_fp16_overflow 0
		.amdhsa_memory_ordered 1
		.amdhsa_forward_progress 1
		.amdhsa_inst_pref_size 19
		.amdhsa_round_robin_scheduling 0
		.amdhsa_exception_fp_ieee_invalid_op 0
		.amdhsa_exception_fp_denorm_src 0
		.amdhsa_exception_fp_ieee_div_zero 0
		.amdhsa_exception_fp_ieee_overflow 0
		.amdhsa_exception_fp_ieee_underflow 0
		.amdhsa_exception_fp_ieee_inexact 0
		.amdhsa_exception_int_div_zero 0
	.end_amdhsa_kernel
	.section	.text._ZL38rocblas_trsm_small_left_device_sharedBILi16ELi16ELb1EddPKdPdEv13rocblas_fill_18rocblas_operation_17rocblas_diagonal_iiT3_T4_lilT5_lili,"axG",@progbits,_ZL38rocblas_trsm_small_left_device_sharedBILi16ELi16ELb1EddPKdPdEv13rocblas_fill_18rocblas_operation_17rocblas_diagonal_iiT3_T4_lilT5_lili,comdat
.Lfunc_end84:
	.size	_ZL38rocblas_trsm_small_left_device_sharedBILi16ELi16ELb1EddPKdPdEv13rocblas_fill_18rocblas_operation_17rocblas_diagonal_iiT3_T4_lilT5_lili, .Lfunc_end84-_ZL38rocblas_trsm_small_left_device_sharedBILi16ELi16ELb1EddPKdPdEv13rocblas_fill_18rocblas_operation_17rocblas_diagonal_iiT3_T4_lilT5_lili
                                        ; -- End function
	.set _ZL38rocblas_trsm_small_left_device_sharedBILi16ELi16ELb1EddPKdPdEv13rocblas_fill_18rocblas_operation_17rocblas_diagonal_iiT3_T4_lilT5_lili.num_vgpr, 80
	.set _ZL38rocblas_trsm_small_left_device_sharedBILi16ELi16ELb1EddPKdPdEv13rocblas_fill_18rocblas_operation_17rocblas_diagonal_iiT3_T4_lilT5_lili.num_agpr, 0
	.set _ZL38rocblas_trsm_small_left_device_sharedBILi16ELi16ELb1EddPKdPdEv13rocblas_fill_18rocblas_operation_17rocblas_diagonal_iiT3_T4_lilT5_lili.numbered_sgpr, 40
	.set _ZL38rocblas_trsm_small_left_device_sharedBILi16ELi16ELb1EddPKdPdEv13rocblas_fill_18rocblas_operation_17rocblas_diagonal_iiT3_T4_lilT5_lili.num_named_barrier, 0
	.set _ZL38rocblas_trsm_small_left_device_sharedBILi16ELi16ELb1EddPKdPdEv13rocblas_fill_18rocblas_operation_17rocblas_diagonal_iiT3_T4_lilT5_lili.private_seg_size, 0
	.set _ZL38rocblas_trsm_small_left_device_sharedBILi16ELi16ELb1EddPKdPdEv13rocblas_fill_18rocblas_operation_17rocblas_diagonal_iiT3_T4_lilT5_lili.uses_vcc, 1
	.set _ZL38rocblas_trsm_small_left_device_sharedBILi16ELi16ELb1EddPKdPdEv13rocblas_fill_18rocblas_operation_17rocblas_diagonal_iiT3_T4_lilT5_lili.uses_flat_scratch, 0
	.set _ZL38rocblas_trsm_small_left_device_sharedBILi16ELi16ELb1EddPKdPdEv13rocblas_fill_18rocblas_operation_17rocblas_diagonal_iiT3_T4_lilT5_lili.has_dyn_sized_stack, 0
	.set _ZL38rocblas_trsm_small_left_device_sharedBILi16ELi16ELb1EddPKdPdEv13rocblas_fill_18rocblas_operation_17rocblas_diagonal_iiT3_T4_lilT5_lili.has_recursion, 0
	.set _ZL38rocblas_trsm_small_left_device_sharedBILi16ELi16ELb1EddPKdPdEv13rocblas_fill_18rocblas_operation_17rocblas_diagonal_iiT3_T4_lilT5_lili.has_indirect_call, 0
	.section	.AMDGPU.csdata,"",@progbits
; Kernel info:
; codeLenInByte = 2336
; TotalNumSgprs: 42
; NumVgprs: 80
; ScratchSize: 0
; MemoryBound: 0
; FloatMode: 240
; IeeeMode: 1
; LDSByteSize: 4096 bytes/workgroup (compile time only)
; SGPRBlocks: 0
; VGPRBlocks: 4
; NumSGPRsForWavesPerEU: 42
; NumVGPRsForWavesPerEU: 80
; NamedBarCnt: 0
; Occupancy: 12
; WaveLimiterHint : 0
; COMPUTE_PGM_RSRC2:SCRATCH_EN: 0
; COMPUTE_PGM_RSRC2:USER_SGPR: 2
; COMPUTE_PGM_RSRC2:TRAP_HANDLER: 0
; COMPUTE_PGM_RSRC2:TGID_X_EN: 1
; COMPUTE_PGM_RSRC2:TGID_Y_EN: 0
; COMPUTE_PGM_RSRC2:TGID_Z_EN: 1
; COMPUTE_PGM_RSRC2:TIDIG_COMP_CNT: 0
	.section	.text._ZL30rocblas_trsm_small_left_deviceILi16ELi16ELb1EddPKdPdEv13rocblas_fill_18rocblas_operation_17rocblas_diagonal_iiT3_T4_lilT5_lili,"axG",@progbits,_ZL30rocblas_trsm_small_left_deviceILi16ELi16ELb1EddPKdPdEv13rocblas_fill_18rocblas_operation_17rocblas_diagonal_iiT3_T4_lilT5_lili,comdat
	.globl	_ZL30rocblas_trsm_small_left_deviceILi16ELi16ELb1EddPKdPdEv13rocblas_fill_18rocblas_operation_17rocblas_diagonal_iiT3_T4_lilT5_lili ; -- Begin function _ZL30rocblas_trsm_small_left_deviceILi16ELi16ELb1EddPKdPdEv13rocblas_fill_18rocblas_operation_17rocblas_diagonal_iiT3_T4_lilT5_lili
	.p2align	8
	.type	_ZL30rocblas_trsm_small_left_deviceILi16ELi16ELb1EddPKdPdEv13rocblas_fill_18rocblas_operation_17rocblas_diagonal_iiT3_T4_lilT5_lili,@function
_ZL30rocblas_trsm_small_left_deviceILi16ELi16ELb1EddPKdPdEv13rocblas_fill_18rocblas_operation_17rocblas_diagonal_iiT3_T4_lilT5_lili: ; @_ZL30rocblas_trsm_small_left_deviceILi16ELi16ELb1EddPKdPdEv13rocblas_fill_18rocblas_operation_17rocblas_diagonal_iiT3_T4_lilT5_lili
; %bb.0:
	s_load_b32 s30, s[0:1], 0x60
	s_bfe_u32 s2, ttmp6, 0x40014
	s_lshr_b32 s4, ttmp7, 16
	s_add_co_i32 s2, s2, 1
	s_bfe_u32 s5, ttmp6, 0x40008
	s_mul_i32 s2, s4, s2
	s_getreg_b32 s3, hwreg(HW_REG_IB_STS2, 6, 4)
	s_add_co_i32 s5, s5, s2
	s_cmp_eq_u32 s3, 0
	s_mov_b32 s19, 0
	s_cselect_b32 s2, s4, s5
	s_wait_kmcnt 0x0
	s_cmp_ge_u32 s2, s30
	s_cbranch_scc1 .LBB85_52
; %bb.1:
	s_clause 0x6
	s_load_b96 s[16:18], s[0:1], 0x28
	s_load_b96 s[20:22], s[0:1], 0x48
	s_load_b128 s[8:11], s[0:1], 0x4
	s_load_b32 s26, s[0:1], 0x68
	s_load_b64 s[24:25], s[0:1], 0x58
	s_load_b128 s[4:7], s[0:1], 0x18
	s_load_b128 s[12:15], s[0:1], 0x38
	s_wait_xcnt 0x0
	s_bfe_u32 s1, ttmp6, 0x4000c
	s_and_b32 s0, ttmp6, 15
	s_add_co_i32 s1, s1, 1
	v_dual_mov_b32 v67, 0 :: v_dual_lshlrev_b32 v66, 3, v0
	s_mul_i32 s1, ttmp9, s1
	v_lshlrev_b32_e32 v34, 7, v0
	s_add_co_i32 s0, s0, s1
	s_delay_alu instid0(VALU_DEP_2)
	v_dual_mov_b32 v2, v67 :: v_dual_mov_b32 v3, v67
	v_dual_mov_b32 v4, v67 :: v_dual_mov_b32 v5, v67
	v_mov_b32_e32 v6, v67
	s_wait_kmcnt 0x0
	s_ashr_i32 s23, s18, 31
	s_ashr_i32 s1, s22, 31
	s_min_i32 s31, s10, 16
	s_lshl_b64 s[20:21], s[20:21], 3
	s_add_co_i32 s26, s26, -1
	s_add_co_i32 s33, s31, -1
	s_cmp_eq_u32 s3, 0
	s_add_nc_u64 s[14:15], s[14:15], s[20:21]
	s_cselect_b32 s3, ttmp9, s0
	s_mov_b32 s0, s22
	s_lshl_b32 s10, s3, 4
	s_delay_alu instid0(SALU_CYCLE_1) | instskip(SKIP_2) | instid1(VALU_DEP_3)
	v_dual_mov_b32 v7, v67 :: v_dual_bitop2_b32 v14, s10, v0 bitop3:0x54
	v_dual_mov_b32 v10, v67 :: v_dual_mov_b32 v8, v67
	v_dual_mov_b32 v9, v67 :: v_dual_mov_b32 v11, v67
	v_dual_mov_b32 v12, v67 :: v_dual_ashrrev_i32 v15, 31, v14
	v_dual_mov_b32 v13, v67 :: v_dual_mov_b32 v17, v67
	v_dual_mov_b32 v18, v67 :: v_dual_mov_b32 v16, v67
	s_delay_alu instid0(VALU_DEP_3)
	v_mul_u64_e32 v[28:29], s[0:1], v[14:15]
	s_sub_co_i32 s0, s11, s10
	s_cmp_ge_u32 s3, s26
	v_mov_b32_e32 v14, v67
	s_cselect_b32 s1, s0, 16
	s_cmp_lg_u32 s9, 0x84
	v_cmp_gt_i32_e64 s0, s31, v0
	s_cselect_b32 s34, -1, 0
	s_cmp_lg_u32 s8, 0x6f
	v_cmp_gt_i32_e64 s1, s1, v0
	s_cselect_b32 s35, -1, 0
	s_lshl_b64 s[16:17], s[16:17], 3
	v_mov_b32_e32 v15, v67
	s_add_nc_u64 s[6:7], s[6:7], s[16:17]
	v_dual_mov_b32 v19, v67 :: v_dual_mov_b32 v20, v67
	v_add_nc_u64_e32 v[0:1], s[6:7], v[66:67]
	v_dual_mov_b32 v21, v67 :: v_dual_mov_b32 v22, v67
	v_dual_mov_b32 v23, v67 :: v_dual_mov_b32 v24, v67
	;; [unrolled: 1-line block ×5, first 2 shown]
	s_mov_b32 s22, s18
	s_lshl_b32 s36, s31, 3
	s_lshl_b64 s[8:9], s[12:13], 3
	v_mov_b32_e32 v30, v67
	s_lshl_b64 s[10:11], s[22:23], 3
	v_lshl_add_u64 v[68:69], v[28:29], 3, s[14:15]
	v_dual_mov_b32 v28, v67 :: v_dual_mov_b32 v29, v67
	v_add_nc_u32_e32 v67, v66, v34
	s_lshl_b64 s[12:13], s[24:25], 3
	s_add_co_i32 s36, s36, -8
	s_mov_b32 s37, 0
	s_get_pc_i64 s[6:7]
	s_add_nc_u64 s[6:7], s[6:7], __const._ZL30rocblas_trsm_small_left_deviceILi16ELi16ELb1EddPKdPdEv13rocblas_fill_18rocblas_operation_17rocblas_diagonal_iiT3_T4_lilT5_lili.step_sizes@rel64+4
	s_branch .LBB85_5
.LBB85_2:                               ;   in Loop: Header=BB85_5 Depth=1
	s_wait_xcnt 0x0
	v_mov_b64_e32 v[64:65], v[32:33]
	v_mov_b64_e32 v[62:63], v[30:31]
	;; [unrolled: 1-line block ×16, first 2 shown]
.LBB85_3:                               ;   in Loop: Header=BB85_5 Depth=1
	s_add_co_i32 s2, s2, 0x10000
	s_delay_alu instid0(SALU_CYCLE_1) | instskip(SKIP_1) | instid1(SALU_CYCLE_1)
	s_cmp_ge_u32 s2, s30
	s_cselect_b32 s3, -1, 0
	s_or_not1_b32 s14, s3, exec_lo
.LBB85_4:                               ;   in Loop: Header=BB85_5 Depth=1
	s_wait_xcnt 0x0
	s_or_b32 exec_lo, exec_lo, s38
	v_mov_b64_e32 v[2:3], v[34:35]
	v_mov_b64_e32 v[4:5], v[36:37]
	;; [unrolled: 1-line block ×16, first 2 shown]
	s_and_b32 s3, exec_lo, s14
	s_delay_alu instid0(SALU_CYCLE_1) | instskip(NEXT) | instid1(SALU_CYCLE_1)
	s_or_b32 s37, s3, s37
	s_and_not1_b32 exec_lo, exec_lo, s37
	s_cbranch_execz .LBB85_52
.LBB85_5:                               ; =>This Loop Header: Depth=1
                                        ;     Child Loop BB85_7 Depth 2
                                        ;     Child Loop BB85_16 Depth 2
                                        ;       Child Loop BB85_17 Depth 3
                                        ;       Child Loop BB85_19 Depth 3
                                        ;         Child Loop BB85_20 Depth 4
                                        ;       Child Loop BB85_25 Depth 3
                                        ;         Child Loop BB85_27 Depth 4
                                        ;     Child Loop BB85_29 Depth 2
                                        ;     Child Loop BB85_34 Depth 2
                                        ;       Child Loop BB85_37 Depth 3
                                        ;         Child Loop BB85_38 Depth 4
                                        ;         Child Loop BB85_41 Depth 4
                                        ;           Child Loop BB85_42 Depth 5
                                        ;         Child Loop BB85_47 Depth 4
                                        ;           Child Loop BB85_49 Depth 5
	s_mov_b32 s3, s19
	s_and_saveexec_b32 s14, s0
	s_cbranch_execz .LBB85_11
; %bb.6:                                ;   in Loop: Header=BB85_5 Depth=1
	v_mad_nc_u64_u32 v[34:35], s8, s2, v[0:1]
	v_mov_b32_e32 v36, v66
	s_mov_b32 s15, s31
	s_delay_alu instid0(VALU_DEP_2)
	v_mad_u32 v35, s9, s2, v35
.LBB85_7:                               ;   Parent Loop BB85_5 Depth=1
                                        ; =>  This Inner Loop Header: Depth=2
	global_load_b64 v[38:39], v[34:35], off
	s_wait_xcnt 0x0
	v_add_nc_u64_e32 v[34:35], s[10:11], v[34:35]
	s_add_co_i32 s15, s15, -1
	s_delay_alu instid0(SALU_CYCLE_1)
	s_cmp_eq_u32 s15, 0
	s_wait_loadcnt 0x0
	ds_store_b64 v36, v[38:39]
	v_add_nc_u32_e32 v36, 0x80, v36
	s_cbranch_scc0 .LBB85_7
; %bb.8:                                ;   in Loop: Header=BB85_5 Depth=1
	v_mov_b64_e32 v[34:35], 1.0
	s_and_b32 vcc_lo, exec_lo, s34
	s_cbranch_vccz .LBB85_10
; %bb.9:                                ;   in Loop: Header=BB85_5 Depth=1
	ds_load_b64 v[34:35], v67
	s_wait_dscnt 0x0
	v_div_scale_f64 v[36:37], null, v[34:35], v[34:35], 1.0
	s_delay_alu instid0(VALU_DEP_1) | instskip(SKIP_1) | instid1(TRANS32_DEP_1)
	v_rcp_f64_e32 v[38:39], v[36:37]
	v_nop
	v_fma_f64 v[40:41], -v[36:37], v[38:39], 1.0
	s_delay_alu instid0(VALU_DEP_1) | instskip(NEXT) | instid1(VALU_DEP_1)
	v_fmac_f64_e32 v[38:39], v[38:39], v[40:41]
	v_fma_f64 v[40:41], -v[36:37], v[38:39], 1.0
	s_delay_alu instid0(VALU_DEP_1) | instskip(SKIP_1) | instid1(VALU_DEP_1)
	v_fmac_f64_e32 v[38:39], v[38:39], v[40:41]
	v_div_scale_f64 v[40:41], vcc_lo, 1.0, v[34:35], 1.0
	v_mul_f64_e32 v[42:43], v[40:41], v[38:39]
	s_delay_alu instid0(VALU_DEP_1) | instskip(NEXT) | instid1(VALU_DEP_1)
	v_fma_f64 v[36:37], -v[36:37], v[42:43], v[40:41]
	v_div_fmas_f64 v[36:37], v[36:37], v[38:39], v[42:43]
	s_delay_alu instid0(VALU_DEP_1)
	v_div_fixup_f64 v[34:35], v[36:37], v[34:35], 1.0
.LBB85_10:                              ;   in Loop: Header=BB85_5 Depth=1
	ds_store_b64 v67, v[34:35]
.LBB85_11:                              ;   in Loop: Header=BB85_5 Depth=1
	s_or_b32 exec_lo, exec_lo, s14
	s_mov_b32 s14, -1
	s_wait_dscnt 0x0
	; wave barrier
                                        ; implicit-def: $vgpr34_vgpr35_vgpr36_vgpr37_vgpr38_vgpr39_vgpr40_vgpr41_vgpr42_vgpr43_vgpr44_vgpr45_vgpr46_vgpr47_vgpr48_vgpr49_vgpr50_vgpr51_vgpr52_vgpr53_vgpr54_vgpr55_vgpr56_vgpr57_vgpr58_vgpr59_vgpr60_vgpr61_vgpr62_vgpr63_vgpr64_vgpr65
	s_and_saveexec_b32 s38, s1
	s_cbranch_execz .LBB85_4
; %bb.12:                               ;   in Loop: Header=BB85_5 Depth=1
	s_mul_u64 s[14:15], s[24:25], s[2:3]
	s_and_not1_b32 vcc_lo, exec_lo, s35
	v_lshl_add_u64 v[70:71], s[14:15], 3, v[68:69]
	s_mul_u64 s[14:15], s[12:13], s[2:3]
	s_mov_b32 s3, -1
                                        ; implicit-def: $vgpr34_vgpr35_vgpr36_vgpr37_vgpr38_vgpr39_vgpr40_vgpr41_vgpr42_vgpr43_vgpr44_vgpr45_vgpr46_vgpr47_vgpr48_vgpr49_vgpr50_vgpr51_vgpr52_vgpr53_vgpr54_vgpr55_vgpr56_vgpr57_vgpr58_vgpr59_vgpr60_vgpr61_vgpr62_vgpr63_vgpr64_vgpr65
	s_cbranch_vccnz .LBB85_32
; %bb.13:                               ;   in Loop: Header=BB85_5 Depth=1
	v_mov_b64_e32 v[64:65], v[32:33]
	v_mov_b64_e32 v[62:63], v[30:31]
	;; [unrolled: 1-line block ×16, first 2 shown]
	s_mov_b32 s3, 0
	s_mov_b32 s16, s33
	s_load_b32 s18, s[6:7], s3 offset:0x0 scale_offset
	s_wait_kmcnt 0x0
	s_add_co_i32 s39, s18, -1
	s_delay_alu instid0(SALU_CYCLE_1)
	s_cmp_lt_i32 s16, s39
	s_cbranch_scc1 .LBB85_29
.LBB85_14:                              ;   in Loop: Header=BB85_5 Depth=1
	s_lshl_b32 s17, s16, 7
	s_lshl_b32 s20, s18, 7
	s_max_i32 s40, s18, 1
	s_add_co_i32 s41, s36, s17
	s_sub_co_i32 s42, 0, s20
	s_mul_i32 s43, s16, 0x88
	s_mul_i32 s44, s18, 0xffffff78
	s_branch .LBB85_16
.LBB85_15:                              ;   in Loop: Header=BB85_16 Depth=2
	s_sub_co_i32 s16, s16, s18
	s_add_co_i32 s41, s41, s42
	s_add_co_i32 s43, s43, s44
	s_cmp_lt_i32 s16, s39
	s_cbranch_scc1 .LBB85_29
.LBB85_16:                              ;   Parent Loop BB85_5 Depth=1
                                        ; =>  This Loop Header: Depth=2
                                        ;       Child Loop BB85_17 Depth 3
                                        ;       Child Loop BB85_19 Depth 3
                                        ;         Child Loop BB85_20 Depth 4
                                        ;       Child Loop BB85_25 Depth 3
                                        ;         Child Loop BB85_27 Depth 4
	s_wait_xcnt 0x0
	v_add_nc_u64_e32 v[72:73], s[14:15], v[68:69]
	s_ashr_i32 s17, s16, 31
	s_mov_b64 s[20:21], 0
	s_delay_alu instid0(VALU_DEP_1)
	v_lshl_add_u64 v[72:73], s[16:17], 3, v[72:73]
.LBB85_17:                              ;   Parent Loop BB85_5 Depth=1
                                        ;     Parent Loop BB85_16 Depth=2
                                        ; =>    This Inner Loop Header: Depth=3
	global_load_b64 v[74:75], v[72:73], off
	s_wait_xcnt 0x0
	v_add_nc_u64_e32 v[72:73], -8, v[72:73]
	s_lshl_b32 m0, s20, 1
	s_add_nc_u64 s[20:21], s[20:21], 1
	s_delay_alu instid0(SALU_CYCLE_1) | instskip(SKIP_2) | instid1(VALU_DEP_1)
	s_cmp_eq_u32 s40, s20
	s_wait_loadcnt 0x0
	v_mul_f64_e32 v[74:75], s[4:5], v[74:75]
	v_movreld_b32_e32 v34, v74
	s_delay_alu instid0(VALU_DEP_2)
	v_movreld_b32_e32 v35, v75
	s_cbranch_scc0 .LBB85_17
; %bb.18:                               ;   in Loop: Header=BB85_16 Depth=2
	s_cmp_le_i32 s33, s16
	s_mov_b32 s26, s41
	s_mov_b32 s20, s33
	s_cbranch_scc1 .LBB85_22
.LBB85_19:                              ;   Parent Loop BB85_5 Depth=1
                                        ;     Parent Loop BB85_16 Depth=2
                                        ; =>    This Loop Header: Depth=3
                                        ;         Child Loop BB85_20 Depth 4
	s_ashr_i32 s21, s20, 31
	s_mov_b64 s[22:23], 0
	s_wait_xcnt 0x0
	v_lshl_add_u64 v[72:73], s[20:21], 3, v[70:71]
	s_mov_b32 s21, s26
	global_load_b64 v[72:73], v[72:73], off
.LBB85_20:                              ;   Parent Loop BB85_5 Depth=1
                                        ;     Parent Loop BB85_16 Depth=2
                                        ;       Parent Loop BB85_19 Depth=3
                                        ; =>      This Inner Loop Header: Depth=4
	v_mov_b32_e32 v74, s21
	s_lshl_b32 m0, s22, 1
	s_add_nc_u64 s[22:23], s[22:23], 1
	v_movrels_b32_e32 v77, v35
	v_movrels_b32_e32 v76, v34
	ds_load_b64 v[74:75], v74
	s_addk_co_i32 s21, 0xff80
	s_cmp_eq_u32 s40, s22
	s_wait_loadcnt_dscnt 0x0
	v_fma_f64 v[74:75], -v[72:73], v[74:75], v[76:77]
	s_delay_alu instid0(VALU_DEP_1) | instskip(NEXT) | instid1(VALU_DEP_2)
	v_movreld_b32_e32 v34, v74
	v_movreld_b32_e32 v35, v75
	s_cbranch_scc0 .LBB85_20
; %bb.21:                               ;   in Loop: Header=BB85_19 Depth=3
	s_add_co_i32 s20, s20, -1
	s_add_co_i32 s26, s26, -8
	s_cmp_le_i32 s20, s16
	s_cbranch_scc0 .LBB85_19
.LBB85_22:                              ;   in Loop: Header=BB85_16 Depth=2
	s_mov_b64 s[20:21], 0
	s_mov_b32 s45, s43
	s_branch .LBB85_25
.LBB85_23:                              ;   in Loop: Header=BB85_25 Depth=3
	s_mov_b32 s28, s16
	s_mov_b64 s[22:23], 0
	s_mov_b64 s[26:27], s[16:17]
.LBB85_24:                              ;   in Loop: Header=BB85_25 Depth=3
	s_mul_i32 s23, s28, 0x88
	s_lshl_b32 m0, s22, 1
	s_wait_xcnt 0x0
	v_mov_b32_e32 v72, s23
	v_movrels_b32_e32 v75, v35
	v_movrels_b32_e32 v74, v34
	s_add_nc_u64 s[20:21], s[20:21], 1
	s_addk_co_i32 s45, 0xff80
	ds_load_b64 v[72:73], v72
	s_cmp_eq_u32 s20, s40
	s_wait_dscnt 0x0
	v_mul_f64_e32 v[72:73], v[74:75], v[72:73]
	v_lshl_add_u64 v[74:75], s[26:27], 3, v[70:71]
	s_delay_alu instid0(VALU_DEP_2) | instskip(NEXT) | instid1(VALU_DEP_3)
	v_movreld_b32_e32 v34, v72
	v_movreld_b32_e32 v35, v73
	global_store_b64 v[74:75], v[72:73], off
	s_cbranch_scc1 .LBB85_15
.LBB85_25:                              ;   Parent Loop BB85_5 Depth=1
                                        ;     Parent Loop BB85_16 Depth=2
                                        ; =>    This Loop Header: Depth=3
                                        ;         Child Loop BB85_27 Depth 4
	s_cmp_eq_u32 s20, 0
	s_cbranch_scc1 .LBB85_23
; %bb.26:                               ;   in Loop: Header=BB85_25 Depth=3
	s_mov_b64 s[22:23], s[20:21]
	s_mov_b64 s[26:27], 0
	s_lshl_b32 s23, s20, 1
	s_mov_b32 s28, s45
.LBB85_27:                              ;   Parent Loop BB85_5 Depth=1
                                        ;     Parent Loop BB85_16 Depth=2
                                        ;       Parent Loop BB85_25 Depth=3
                                        ; =>      This Inner Loop Header: Depth=4
	s_wait_xcnt 0x0
	v_mov_b32_e32 v72, s28
	s_lshl_b32 m0, s26, 1
	s_add_nc_u64 s[26:27], s[26:27], 1
	v_movrels_b32_e32 v75, v35
	v_movrels_b32_e32 v74, v34
	ds_load_b64 v[72:73], v72
	s_mov_b32 m0, s23
	s_add_co_i32 s28, s28, -8
	v_movrels_b32_e32 v77, v35
	v_movrels_b32_e32 v76, v34
	s_cmp_eq_u32 s20, s26
	s_wait_dscnt 0x0
	s_delay_alu instid0(VALU_DEP_1) | instskip(NEXT) | instid1(VALU_DEP_1)
	v_fma_f64 v[72:73], -v[74:75], v[72:73], v[76:77]
	v_movreld_b32_e32 v34, v72
	s_delay_alu instid0(VALU_DEP_2)
	v_movreld_b32_e32 v35, v73
	s_cbranch_scc0 .LBB85_27
; %bb.28:                               ;   in Loop: Header=BB85_25 Depth=3
	s_sub_co_i32 s28, s16, s20
	s_delay_alu instid0(SALU_CYCLE_1) | instskip(NEXT) | instid1(SALU_CYCLE_1)
	s_ashr_i32 s29, s28, 31
	s_mov_b64 s[26:27], s[28:29]
	s_branch .LBB85_24
.LBB85_29:                              ;   Parent Loop BB85_5 Depth=1
                                        ; =>  This Inner Loop Header: Depth=2
	s_cmp_gt_i32 s16, -1
	s_cselect_b32 s18, -1, 0
	s_add_co_i32 s17, s3, 1
	s_cmp_lt_u32 s3, 2
	s_wait_xcnt 0x0
	s_cselect_b32 s3, -1, 0
	s_delay_alu instid0(SALU_CYCLE_1) | instskip(NEXT) | instid1(SALU_CYCLE_1)
	s_and_b32 s3, s18, s3
	s_and_b32 vcc_lo, exec_lo, s3
	s_cbranch_vccz .LBB85_31
; %bb.30:                               ;   in Loop: Header=BB85_29 Depth=2
	s_mov_b32 s3, s17
	s_load_b32 s18, s[6:7], s3 offset:0x0 scale_offset
	s_wait_kmcnt 0x0
	s_add_co_i32 s39, s18, -1
	s_delay_alu instid0(SALU_CYCLE_1)
	s_cmp_lt_i32 s16, s39
	s_cbranch_scc0 .LBB85_14
	s_branch .LBB85_29
.LBB85_31:                              ;   in Loop: Header=BB85_5 Depth=1
	s_mov_b32 s3, 0
.LBB85_32:                              ;   in Loop: Header=BB85_5 Depth=1
	s_delay_alu instid0(SALU_CYCLE_1)
	s_and_b32 vcc_lo, exec_lo, s3
	s_cbranch_vccz .LBB85_3
; %bb.33:                               ;   in Loop: Header=BB85_5 Depth=1
	v_add_nc_u64_e32 v[34:35], s[14:15], v[68:69]
	s_mov_b32 s14, 0
	s_mov_b32 s3, 0
.LBB85_34:                              ;   Parent Loop BB85_5 Depth=1
                                        ; =>  This Loop Header: Depth=2
                                        ;       Child Loop BB85_37 Depth 3
                                        ;         Child Loop BB85_38 Depth 4
                                        ;         Child Loop BB85_41 Depth 4
                                        ;           Child Loop BB85_42 Depth 5
                                        ;         Child Loop BB85_47 Depth 4
                                        ;           Child Loop BB85_49 Depth 5
	s_load_b32 s16, s[6:7], s3 offset:0x0 scale_offset
	s_wait_kmcnt 0x0
	s_add_co_i32 s39, s16, -1
	s_delay_alu instid0(SALU_CYCLE_1) | instskip(NEXT) | instid1(SALU_CYCLE_1)
	s_add_co_i32 s15, s39, s14
	s_cmp_ge_i32 s15, s31
	s_cbranch_scc1 .LBB85_50
; %bb.35:                               ;   in Loop: Header=BB85_34 Depth=2
	s_ashr_i32 s15, s14, 31
	s_ashr_i32 s17, s16, 31
	v_lshl_add_u64 v[36:37], s[14:15], 3, v[34:35]
	s_max_i32 s40, s16, 1
	s_lshl_b64 s[20:21], s[16:17], 3
	s_lshl_b32 s15, s14, 3
	s_lshl_b32 s17, s16, 3
	s_mul_i32 s41, s14, 0x88
	s_mul_i32 s42, s16, 0x88
	s_branch .LBB85_37
.LBB85_36:                              ;   in Loop: Header=BB85_37 Depth=3
	v_add_nc_u64_e32 v[36:37], s[20:21], v[36:37]
	s_add_co_i32 s14, s14, s16
	s_add_co_i32 s15, s15, s17
	s_add_co_i32 s18, s39, s14
	s_add_co_i32 s41, s41, s42
	s_cmp_ge_i32 s18, s31
	s_cbranch_scc1 .LBB85_50
.LBB85_37:                              ;   Parent Loop BB85_5 Depth=1
                                        ;     Parent Loop BB85_34 Depth=2
                                        ; =>    This Loop Header: Depth=3
                                        ;         Child Loop BB85_38 Depth 4
                                        ;         Child Loop BB85_41 Depth 4
                                        ;           Child Loop BB85_42 Depth 5
                                        ;         Child Loop BB85_47 Depth 4
                                        ;           Child Loop BB85_49 Depth 5
	s_wait_xcnt 0x0
	v_mov_b64_e32 v[38:39], v[36:37]
	s_mov_b64 s[22:23], 0
.LBB85_38:                              ;   Parent Loop BB85_5 Depth=1
                                        ;     Parent Loop BB85_34 Depth=2
                                        ;       Parent Loop BB85_37 Depth=3
                                        ; =>      This Inner Loop Header: Depth=4
	global_load_b64 v[40:41], v[38:39], off
	s_wait_xcnt 0x0
	v_add_nc_u64_e32 v[38:39], 8, v[38:39]
	s_lshl_b32 m0, s22, 1
	s_add_nc_u64 s[22:23], s[22:23], 1
	s_delay_alu instid0(SALU_CYCLE_1) | instskip(SKIP_2) | instid1(VALU_DEP_1)
	s_cmp_eq_u32 s40, s22
	s_wait_loadcnt 0x0
	v_mul_f64_e32 v[40:41], s[4:5], v[40:41]
	v_movreld_b32_e32 v2, v40
	s_delay_alu instid0(VALU_DEP_2)
	v_movreld_b32_e32 v3, v41
	s_cbranch_scc0 .LBB85_38
; %bb.39:                               ;   in Loop: Header=BB85_37 Depth=3
	s_cmp_lt_i32 s14, 1
	s_cbranch_scc1 .LBB85_44
; %bb.40:                               ;   in Loop: Header=BB85_37 Depth=3
	s_mov_b32 s18, 0
	s_mov_b32 s26, s15
.LBB85_41:                              ;   Parent Loop BB85_5 Depth=1
                                        ;     Parent Loop BB85_34 Depth=2
                                        ;       Parent Loop BB85_37 Depth=3
                                        ; =>      This Loop Header: Depth=4
                                        ;           Child Loop BB85_42 Depth 5
	s_wait_xcnt 0x0
	v_lshl_add_u64 v[38:39], s[18:19], 3, v[70:71]
	s_mov_b64 s[22:23], 0
	s_mov_b32 s27, s26
	global_load_b64 v[38:39], v[38:39], off
.LBB85_42:                              ;   Parent Loop BB85_5 Depth=1
                                        ;     Parent Loop BB85_34 Depth=2
                                        ;       Parent Loop BB85_37 Depth=3
                                        ;         Parent Loop BB85_41 Depth=4
                                        ; =>        This Inner Loop Header: Depth=5
	v_mov_b32_e32 v40, s27
	s_lshl_b32 m0, s22, 1
	s_add_nc_u64 s[22:23], s[22:23], 1
	v_movrels_b32_e32 v43, v3
	v_movrels_b32_e32 v42, v2
	ds_load_b64 v[40:41], v40
	s_add_co_i32 s27, s27, 8
	s_cmp_eq_u32 s40, s22
	s_wait_loadcnt_dscnt 0x0
	v_fma_f64 v[40:41], -v[38:39], v[40:41], v[42:43]
	s_delay_alu instid0(VALU_DEP_1) | instskip(NEXT) | instid1(VALU_DEP_2)
	v_movreld_b32_e32 v2, v40
	v_movreld_b32_e32 v3, v41
	s_cbranch_scc0 .LBB85_42
; %bb.43:                               ;   in Loop: Header=BB85_41 Depth=4
	s_add_co_i32 s18, s18, 1
	s_addk_co_i32 s26, 0x80
	s_cmp_eq_u32 s18, s14
	s_cbranch_scc0 .LBB85_41
.LBB85_44:                              ;   in Loop: Header=BB85_37 Depth=3
	s_mov_b64 s[22:23], 0
	s_mov_b32 s18, s41
	s_branch .LBB85_47
.LBB85_45:                              ;   in Loop: Header=BB85_47 Depth=4
	s_mov_b64 s[26:27], 0
.LBB85_46:                              ;   in Loop: Header=BB85_47 Depth=4
	s_add_co_i32 s28, s22, s14
	s_lshl_b32 m0, s26, 1
	s_mul_i32 s27, s28, 0x88
	s_wait_xcnt 0x0
	v_movrels_b32_e32 v41, v3
	s_wait_xcnt 0x0
	v_mov_b32_e32 v38, s27
	v_movrels_b32_e32 v40, v2
	s_ashr_i32 s29, s28, 31
	s_add_nc_u64 s[22:23], s[22:23], 1
	s_add_co_i32 s18, s18, 8
	ds_load_b64 v[38:39], v38
	s_cmp_eq_u32 s22, s40
	s_wait_dscnt 0x0
	v_mul_f64_e32 v[38:39], v[40:41], v[38:39]
	v_lshl_add_u64 v[40:41], s[28:29], 3, v[70:71]
	s_delay_alu instid0(VALU_DEP_2) | instskip(NEXT) | instid1(VALU_DEP_3)
	v_movreld_b32_e32 v2, v38
	v_movreld_b32_e32 v3, v39
	global_store_b64 v[40:41], v[38:39], off
	s_cbranch_scc1 .LBB85_36
.LBB85_47:                              ;   Parent Loop BB85_5 Depth=1
                                        ;     Parent Loop BB85_34 Depth=2
                                        ;       Parent Loop BB85_37 Depth=3
                                        ; =>      This Loop Header: Depth=4
                                        ;           Child Loop BB85_49 Depth 5
	s_cmp_eq_u32 s22, 0
	s_cbranch_scc1 .LBB85_45
; %bb.48:                               ;   in Loop: Header=BB85_47 Depth=4
	s_mov_b64 s[26:27], s[22:23]
	s_mov_b64 s[28:29], 0
	s_lshl_b32 s27, s22, 1
	s_mov_b32 s43, s18
.LBB85_49:                              ;   Parent Loop BB85_5 Depth=1
                                        ;     Parent Loop BB85_34 Depth=2
                                        ;       Parent Loop BB85_37 Depth=3
                                        ;         Parent Loop BB85_47 Depth=4
                                        ; =>        This Inner Loop Header: Depth=5
	s_wait_xcnt 0x0
	v_mov_b32_e32 v38, s43
	s_lshl_b32 m0, s28, 1
	s_add_nc_u64 s[28:29], s[28:29], 1
	v_movrels_b32_e32 v41, v3
	v_movrels_b32_e32 v40, v2
	ds_load_b64 v[38:39], v38
	s_mov_b32 m0, s27
	s_addk_co_i32 s43, 0x80
	v_movrels_b32_e32 v43, v3
	v_movrels_b32_e32 v42, v2
	s_cmp_eq_u32 s22, s28
	s_wait_dscnt 0x0
	s_delay_alu instid0(VALU_DEP_1) | instskip(NEXT) | instid1(VALU_DEP_1)
	v_fma_f64 v[38:39], -v[40:41], v[38:39], v[42:43]
	v_movreld_b32_e32 v2, v38
	s_delay_alu instid0(VALU_DEP_2)
	v_movreld_b32_e32 v3, v39
	s_cbranch_scc0 .LBB85_49
	s_branch .LBB85_46
.LBB85_50:                              ;   in Loop: Header=BB85_34 Depth=2
	s_cmp_lt_i32 s14, s31
	s_cselect_b32 s16, -1, 0
	s_add_co_i32 s15, s3, 1
	s_cmp_lt_u32 s3, 2
	s_wait_xcnt 0x0
	s_cselect_b32 s3, -1, 0
	s_delay_alu instid0(SALU_CYCLE_1) | instskip(NEXT) | instid1(SALU_CYCLE_1)
	s_and_b32 s3, s16, s3
	s_and_not1_b32 vcc_lo, exec_lo, s3
	s_cbranch_vccnz .LBB85_2
; %bb.51:                               ;   in Loop: Header=BB85_34 Depth=2
	s_mov_b32 s3, s15
	s_branch .LBB85_34
.LBB85_52:
	s_sendmsg sendmsg(MSG_DEALLOC_VGPRS)
	s_endpgm
	.section	.rodata,"a",@progbits
	.p2align	6, 0x0
	.amdhsa_kernel _ZL30rocblas_trsm_small_left_deviceILi16ELi16ELb1EddPKdPdEv13rocblas_fill_18rocblas_operation_17rocblas_diagonal_iiT3_T4_lilT5_lili
		.amdhsa_group_segment_fixed_size 2048
		.amdhsa_private_segment_fixed_size 0
		.amdhsa_kernarg_size 360
		.amdhsa_user_sgpr_count 2
		.amdhsa_user_sgpr_dispatch_ptr 0
		.amdhsa_user_sgpr_queue_ptr 0
		.amdhsa_user_sgpr_kernarg_segment_ptr 1
		.amdhsa_user_sgpr_dispatch_id 0
		.amdhsa_user_sgpr_kernarg_preload_length 0
		.amdhsa_user_sgpr_kernarg_preload_offset 0
		.amdhsa_user_sgpr_private_segment_size 0
		.amdhsa_wavefront_size32 1
		.amdhsa_uses_dynamic_stack 0
		.amdhsa_enable_private_segment 0
		.amdhsa_system_sgpr_workgroup_id_x 1
		.amdhsa_system_sgpr_workgroup_id_y 0
		.amdhsa_system_sgpr_workgroup_id_z 1
		.amdhsa_system_sgpr_workgroup_info 0
		.amdhsa_system_vgpr_workitem_id 0
		.amdhsa_next_free_vgpr 78
		.amdhsa_next_free_sgpr 46
		.amdhsa_named_barrier_count 0
		.amdhsa_reserve_vcc 1
		.amdhsa_float_round_mode_32 0
		.amdhsa_float_round_mode_16_64 0
		.amdhsa_float_denorm_mode_32 3
		.amdhsa_float_denorm_mode_16_64 3
		.amdhsa_fp16_overflow 0
		.amdhsa_memory_ordered 1
		.amdhsa_forward_progress 1
		.amdhsa_inst_pref_size 18
		.amdhsa_round_robin_scheduling 0
		.amdhsa_exception_fp_ieee_invalid_op 0
		.amdhsa_exception_fp_denorm_src 0
		.amdhsa_exception_fp_ieee_div_zero 0
		.amdhsa_exception_fp_ieee_overflow 0
		.amdhsa_exception_fp_ieee_underflow 0
		.amdhsa_exception_fp_ieee_inexact 0
		.amdhsa_exception_int_div_zero 0
	.end_amdhsa_kernel
	.section	.text._ZL30rocblas_trsm_small_left_deviceILi16ELi16ELb1EddPKdPdEv13rocblas_fill_18rocblas_operation_17rocblas_diagonal_iiT3_T4_lilT5_lili,"axG",@progbits,_ZL30rocblas_trsm_small_left_deviceILi16ELi16ELb1EddPKdPdEv13rocblas_fill_18rocblas_operation_17rocblas_diagonal_iiT3_T4_lilT5_lili,comdat
.Lfunc_end85:
	.size	_ZL30rocblas_trsm_small_left_deviceILi16ELi16ELb1EddPKdPdEv13rocblas_fill_18rocblas_operation_17rocblas_diagonal_iiT3_T4_lilT5_lili, .Lfunc_end85-_ZL30rocblas_trsm_small_left_deviceILi16ELi16ELb1EddPKdPdEv13rocblas_fill_18rocblas_operation_17rocblas_diagonal_iiT3_T4_lilT5_lili
                                        ; -- End function
	.set _ZL30rocblas_trsm_small_left_deviceILi16ELi16ELb1EddPKdPdEv13rocblas_fill_18rocblas_operation_17rocblas_diagonal_iiT3_T4_lilT5_lili.num_vgpr, 78
	.set _ZL30rocblas_trsm_small_left_deviceILi16ELi16ELb1EddPKdPdEv13rocblas_fill_18rocblas_operation_17rocblas_diagonal_iiT3_T4_lilT5_lili.num_agpr, 0
	.set _ZL30rocblas_trsm_small_left_deviceILi16ELi16ELb1EddPKdPdEv13rocblas_fill_18rocblas_operation_17rocblas_diagonal_iiT3_T4_lilT5_lili.numbered_sgpr, 46
	.set _ZL30rocblas_trsm_small_left_deviceILi16ELi16ELb1EddPKdPdEv13rocblas_fill_18rocblas_operation_17rocblas_diagonal_iiT3_T4_lilT5_lili.num_named_barrier, 0
	.set _ZL30rocblas_trsm_small_left_deviceILi16ELi16ELb1EddPKdPdEv13rocblas_fill_18rocblas_operation_17rocblas_diagonal_iiT3_T4_lilT5_lili.private_seg_size, 0
	.set _ZL30rocblas_trsm_small_left_deviceILi16ELi16ELb1EddPKdPdEv13rocblas_fill_18rocblas_operation_17rocblas_diagonal_iiT3_T4_lilT5_lili.uses_vcc, 1
	.set _ZL30rocblas_trsm_small_left_deviceILi16ELi16ELb1EddPKdPdEv13rocblas_fill_18rocblas_operation_17rocblas_diagonal_iiT3_T4_lilT5_lili.uses_flat_scratch, 0
	.set _ZL30rocblas_trsm_small_left_deviceILi16ELi16ELb1EddPKdPdEv13rocblas_fill_18rocblas_operation_17rocblas_diagonal_iiT3_T4_lilT5_lili.has_dyn_sized_stack, 0
	.set _ZL30rocblas_trsm_small_left_deviceILi16ELi16ELb1EddPKdPdEv13rocblas_fill_18rocblas_operation_17rocblas_diagonal_iiT3_T4_lilT5_lili.has_recursion, 0
	.set _ZL30rocblas_trsm_small_left_deviceILi16ELi16ELb1EddPKdPdEv13rocblas_fill_18rocblas_operation_17rocblas_diagonal_iiT3_T4_lilT5_lili.has_indirect_call, 0
	.section	.AMDGPU.csdata,"",@progbits
; Kernel info:
; codeLenInByte = 2300
; TotalNumSgprs: 48
; NumVgprs: 78
; ScratchSize: 0
; MemoryBound: 0
; FloatMode: 240
; IeeeMode: 1
; LDSByteSize: 2048 bytes/workgroup (compile time only)
; SGPRBlocks: 0
; VGPRBlocks: 4
; NumSGPRsForWavesPerEU: 48
; NumVGPRsForWavesPerEU: 78
; NamedBarCnt: 0
; Occupancy: 12
; WaveLimiterHint : 0
; COMPUTE_PGM_RSRC2:SCRATCH_EN: 0
; COMPUTE_PGM_RSRC2:USER_SGPR: 2
; COMPUTE_PGM_RSRC2:TRAP_HANDLER: 0
; COMPUTE_PGM_RSRC2:TGID_X_EN: 1
; COMPUTE_PGM_RSRC2:TGID_Y_EN: 0
; COMPUTE_PGM_RSRC2:TGID_Z_EN: 1
; COMPUTE_PGM_RSRC2:TIDIG_COMP_CNT: 0
	.section	.text._ZL31rocblas_trsm_small_right_deviceIddPKdPdLi16EEv13rocblas_fill_18rocblas_operation_17rocblas_diagonal_iiT0_T1_lilT2_lili,"axG",@progbits,_ZL31rocblas_trsm_small_right_deviceIddPKdPdLi16EEv13rocblas_fill_18rocblas_operation_17rocblas_diagonal_iiT0_T1_lilT2_lili,comdat
	.globl	_ZL31rocblas_trsm_small_right_deviceIddPKdPdLi16EEv13rocblas_fill_18rocblas_operation_17rocblas_diagonal_iiT0_T1_lilT2_lili ; -- Begin function _ZL31rocblas_trsm_small_right_deviceIddPKdPdLi16EEv13rocblas_fill_18rocblas_operation_17rocblas_diagonal_iiT0_T1_lilT2_lili
	.p2align	8
	.type	_ZL31rocblas_trsm_small_right_deviceIddPKdPdLi16EEv13rocblas_fill_18rocblas_operation_17rocblas_diagonal_iiT0_T1_lilT2_lili,@function
_ZL31rocblas_trsm_small_right_deviceIddPKdPdLi16EEv13rocblas_fill_18rocblas_operation_17rocblas_diagonal_iiT0_T1_lilT2_lili: ; @_ZL31rocblas_trsm_small_right_deviceIddPKdPdLi16EEv13rocblas_fill_18rocblas_operation_17rocblas_diagonal_iiT0_T1_lilT2_lili
; %bb.0:
	s_load_b32 s23, s[0:1], 0x60
	s_bfe_u32 s2, ttmp6, 0x40014
	s_lshr_b32 s3, ttmp7, 16
	s_add_co_i32 s2, s2, 1
	s_bfe_u32 s5, ttmp6, 0x40008
	s_mul_i32 s4, s3, s2
	s_getreg_b32 s2, hwreg(HW_REG_IB_STS2, 6, 4)
	s_add_co_i32 s5, s5, s4
	s_cmp_eq_u32 s2, 0
	s_cselect_b32 s24, s3, s5
	s_wait_kmcnt 0x0
	s_cmp_ge_u32 s24, s23
	s_cbranch_scc1 .LBB86_82
; %bb.1:
	s_clause 0x6
	s_load_b96 s[16:18], s[0:1], 0x28
	s_load_b96 s[20:22], s[0:1], 0x48
	s_load_b128 s[12:15], s[0:1], 0x0
	s_load_b32 s25, s[0:1], 0x10
	s_load_b32 s3, s[0:1], 0x68
	s_load_b128 s[4:7], s[0:1], 0x18
	s_load_b64 s[34:35], s[0:1], 0x58
	v_dual_lshlrev_b32 v4, 3, v0 :: v_dual_lshlrev_b32 v1, 7, v0
	v_mov_b64_e32 v[10:11], 1.0
	s_delay_alu instid0(VALU_DEP_2) | instskip(NEXT) | instid1(VALU_DEP_3)
	v_or_b32_e32 v18, 0x800, v4
	v_add_nc_u32_e32 v20, v4, v1
	s_wait_kmcnt 0x0
	s_ashr_i32 s31, s18, 31
	s_ashr_i32 s19, s22, 31
	s_cmp_lg_u32 s12, 0x7a
	s_mov_b32 s30, s18
	s_cselect_b32 s28, -1, 0
	s_bfe_u32 s8, ttmp6, 0x4000c
	s_min_i32 s26, s25, 16
	s_add_co_i32 s8, s8, 1
	s_and_b32 s9, ttmp6, 15
	s_mul_i32 s8, ttmp9, s8
	s_add_co_i32 s3, s3, -1
	s_add_co_i32 s27, s26, -1
	s_add_co_i32 s29, s9, s8
	s_cmp_eq_u32 s2, 0
	s_load_b128 s[8:11], s[0:1], 0x38
	s_cselect_b32 s2, ttmp9, s29
	s_mov_b32 s18, s22
	s_wait_xcnt 0x0
	s_lshl_b32 s0, s2, 4
	s_delay_alu instid0(SALU_CYCLE_1)
	s_sub_co_i32 s0, s15, s0
	s_cmp_ge_u32 s2, s3
	s_cselect_b32 s0, s0, 16
	s_ashr_i32 s3, s2, 31
	v_cmp_gt_i32_e32 vcc_lo, s0, v0
	s_lshl_b64 s[36:37], s[2:3], 7
	s_cmp_eq_u32 s14, 0x84
	s_cselect_b32 s1, -1, 0
	s_cmp_gt_i32 s25, 0
	s_cselect_b32 s2, -1, 0
	s_cmp_lg_u32 s13, 0x6f
	s_cselect_b32 s3, -1, 0
	s_cmp_lg_u32 s12, 0x79
	s_cselect_b32 s0, -1, 0
	s_or_b32 s14, s28, s3
	s_or_b32 s15, s0, s3
	s_cmp_gt_i32 s25, 3
	v_cndmask_b32_e64 v19, 0, 1, s0
	s_cselect_b32 s22, -1, 0
	s_lshl_b64 s[16:17], s[16:17], 3
	s_lshl_b64 s[20:21], s[20:21], 3
	s_lshl_b32 s29, s26, 7
	v_mov_b32_e32 v5, 0
	s_add_nc_u64 s[6:7], s[6:7], s[16:17]
	s_add_nc_u64 s[16:17], s[36:37], s[20:21]
	v_cmp_gt_i32_e64 s0, s26, v0
	v_or_b32_e32 v0, s29, v4
	s_wait_kmcnt 0x0
	s_add_nc_u64 s[10:11], s[10:11], s[16:17]
	v_add_nc_u64_e32 v[6:7], s[6:7], v[4:5]
	v_add_nc_u64_e32 v[8:9], s[10:11], v[4:5]
	s_mul_i32 s17, s26, 0x88
	v_add_nc_u32_e32 v5, 0x780, v0
	s_lshl_b64 s[6:7], s[18:19], 3
	s_lshl_b32 s19, s26, 3
	s_and_b32 s28, vcc_lo, s2
	s_lshl_b64 s[2:3], s[8:9], 3
	s_lshl_b64 s[8:9], s[30:31], 3
	;; [unrolled: 1-line block ×3, first 2 shown]
	s_add_co_i32 s10, s17, 0xffffff60
	s_add_co_i32 s11, s29, 0xffffff80
	;; [unrolled: 1-line block ×3, first 2 shown]
	s_addk_co_i32 s17, 0xfdf8
	s_add_co_i32 s18, s19, -8
	s_addk_co_i32 s19, 0xff78
	s_branch .LBB86_3
.LBB86_2:                               ;   in Loop: Header=BB86_3 Depth=1
	s_or_b32 exec_lo, exec_lo, s20
	s_add_co_i32 s24, s24, 0x10000
	s_delay_alu instid0(SALU_CYCLE_1)
	s_cmp_lt_u32 s24, s23
	s_cbranch_scc0 .LBB86_82
.LBB86_3:                               ; =>This Loop Header: Depth=1
                                        ;     Child Loop BB86_5 Depth 2
                                        ;     Child Loop BB86_10 Depth 2
	;; [unrolled: 1-line block ×3, first 2 shown]
                                        ;       Child Loop BB86_17 Depth 3
                                        ;     Child Loop BB86_23 Depth 2
                                        ;       Child Loop BB86_24 Depth 3
                                        ;     Child Loop BB86_28 Depth 2
	;; [unrolled: 2-line block ×3, first 2 shown]
                                        ;     Child Loop BB86_41 Depth 2
                                        ;       Child Loop BB86_42 Depth 3
                                        ;       Child Loop BB86_44 Depth 3
                                        ;     Child Loop BB86_48 Depth 2
                                        ;       Child Loop BB86_49 Depth 3
                                        ;     Child Loop BB86_57 Depth 2
                                        ;     Child Loop BB86_62 Depth 2
                                        ;       Child Loop BB86_63 Depth 3
                                        ;       Child Loop BB86_65 Depth 3
                                        ;     Child Loop BB86_70 Depth 2
                                        ;       Child Loop BB86_71 Depth 3
                                        ;     Child Loop BB86_77 Depth 2
	;; [unrolled: 2-line block ×3, first 2 shown]
	s_and_saveexec_b32 s20, s0
	s_cbranch_execz .LBB86_8
; %bb.4:                                ;   in Loop: Header=BB86_3 Depth=1
	v_mad_nc_u64_u32 v[0:1], s2, s24, v[6:7]
	v_mov_b32_e32 v2, v4
	s_mov_b32 s21, s26
	s_delay_alu instid0(VALU_DEP_2)
	v_mad_u32 v1, s3, s24, v1
.LBB86_5:                               ;   Parent Loop BB86_3 Depth=1
                                        ; =>  This Inner Loop Header: Depth=2
	global_load_b64 v[12:13], v[0:1], off
	s_wait_xcnt 0x0
	v_add_nc_u64_e32 v[0:1], s[8:9], v[0:1]
	s_add_co_i32 s21, s21, -1
	s_delay_alu instid0(SALU_CYCLE_1)
	s_cmp_eq_u32 s21, 0
	s_wait_loadcnt 0x0
	ds_store_b64 v2, v[12:13]
	v_add_nc_u32_e32 v2, 0x80, v2
	s_cbranch_scc0 .LBB86_5
; %bb.6:                                ;   in Loop: Header=BB86_3 Depth=1
	s_and_b32 vcc_lo, exec_lo, s1
	s_cbranch_vccz .LBB86_8
; %bb.7:                                ;   in Loop: Header=BB86_3 Depth=1
	ds_store_b64 v20, v[10:11]
.LBB86_8:                               ;   in Loop: Header=BB86_3 Depth=1
	s_or_b32 exec_lo, exec_lo, s20
	v_mad_nc_u64_u32 v[12:13], s12, s24, v[8:9]
	s_delay_alu instid0(VALU_DEP_1)
	v_mad_u32 v13, s13, s24, v13
	s_and_saveexec_b32 s20, s28
	s_cbranch_execz .LBB86_11
; %bb.9:                                ;   in Loop: Header=BB86_3 Depth=1
	s_delay_alu instid0(VALU_DEP_1)
	v_mov_b64_e32 v[0:1], v[12:13]
	v_mov_b32_e32 v2, v18
	s_mov_b32 s21, s25
.LBB86_10:                              ;   Parent Loop BB86_3 Depth=1
                                        ; =>  This Inner Loop Header: Depth=2
	global_load_b64 v[14:15], v[0:1], off
	s_wait_xcnt 0x0
	v_add_nc_u64_e32 v[0:1], s[6:7], v[0:1]
	s_add_co_i32 s21, s21, -1
	s_delay_alu instid0(SALU_CYCLE_1)
	s_cmp_lg_u32 s21, 0
	s_wait_loadcnt 0x0
	v_mul_f64_e32 v[14:15], s[4:5], v[14:15]
	ds_store_b64 v2, v[14:15]
	v_add_nc_u32_e32 v2, 0x80, v2
	s_cbranch_scc1 .LBB86_10
.LBB86_11:                              ;   in Loop: Header=BB86_3 Depth=1
	s_or_b32 exec_lo, exec_lo, s20
	s_delay_alu instid0(SALU_CYCLE_1)
	s_and_b32 vcc_lo, exec_lo, s15
	s_mov_b32 s20, -1
	s_wait_dscnt 0x0
	; wave barrier
	s_cbranch_vccz .LBB86_67
; %bb.12:                               ;   in Loop: Header=BB86_3 Depth=1
	s_and_b32 vcc_lo, exec_lo, s14
	s_cbranch_vccz .LBB86_46
; %bb.13:                               ;   in Loop: Header=BB86_3 Depth=1
	v_cmp_ne_u32_e32 vcc_lo, 1, v19
	s_cbranch_vccnz .LBB86_26
; %bb.14:                               ;   in Loop: Header=BB86_3 Depth=1
	s_and_not1_b32 vcc_lo, exec_lo, s22
	s_mov_b32 s29, 0
	s_cbranch_vccnz .LBB86_20
; %bb.15:                               ;   in Loop: Header=BB86_3 Depth=1
	s_mov_b32 s20, 0
	s_mov_b32 s21, 0
.LBB86_16:                              ;   Parent Loop BB86_3 Depth=1
                                        ; =>  This Loop Header: Depth=2
                                        ;       Child Loop BB86_17 Depth 3
	s_delay_alu instid0(SALU_CYCLE_1) | instskip(SKIP_2) | instid1(SALU_CYCLE_1)
	s_lshl_b32 s30, s21, 7
	s_or_b32 s29, s21, 1
	s_or_b32 s31, s30, 0x180
	v_dual_add_nc_u32 v21, s30, v18 :: v_dual_add_nc_u32 v22, s31, v18
	v_lshl_add_u32 v23, s29, 7, v18
	v_mov_b32_e32 v24, v18
	ds_load_2addr_b64 v[0:3], v21 offset1:32
	ds_load_b64 v[16:17], v23
	ds_load_b64 v[14:15], v22
	s_cmp_eq_u32 s21, 0
	s_mov_b32 s31, s20
	s_mov_b32 s33, s21
	s_cbranch_scc1 .LBB86_18
.LBB86_17:                              ;   Parent Loop BB86_3 Depth=1
                                        ;     Parent Loop BB86_16 Depth=2
                                        ; =>    This Inner Loop Header: Depth=3
	v_mov_b32_e32 v25, s31
	s_add_co_i32 s33, s33, -1
	s_addk_co_i32 s31, 0x80
	s_cmp_eq_u32 s33, 0
	ds_load_b64 v[34:35], v24
	ds_load_b128 v[26:29], v25
	ds_load_b128 v[30:33], v25 offset:16
	v_add_nc_u32_e32 v24, 0x80, v24
	s_wait_dscnt 0x1
	v_fma_f64 v[0:1], -v[34:35], v[26:27], v[0:1]
	v_fma_f64 v[16:17], -v[34:35], v[28:29], v[16:17]
	s_wait_dscnt 0x0
	v_fma_f64 v[2:3], -v[34:35], v[30:31], v[2:3]
	v_fma_f64 v[14:15], -v[34:35], v[32:33], v[14:15]
	s_cbranch_scc0 .LBB86_17
.LBB86_18:                              ;   in Loop: Header=BB86_16 Depth=2
	s_lshl_b32 s31, s21, 3
	s_lshl_b32 s29, s29, 3
	s_add_co_i32 s30, s31, s30
	s_delay_alu instid0(SALU_CYCLE_1)
	v_dual_mov_b32 v25, s30 :: v_dual_add_nc_u32 v24, 0x100, v21
	s_addk_co_i32 s30, 0x88
	s_add_co_i32 s20, s20, 32
	s_sub_co_i32 s29, s30, s29
	ds_load_b128 v[26:29], v25
	ds_load_b128 v[30:33], v25 offset:16
	s_add_co_i32 s29, s29, s31
	s_wait_dscnt 0x1
	v_div_scale_f64 v[34:35], null, v[26:27], v[26:27], v[0:1]
	v_div_scale_f64 v[40:41], vcc_lo, v[0:1], v[26:27], v[0:1]
	s_delay_alu instid0(VALU_DEP_2) | instskip(SKIP_1) | instid1(TRANS32_DEP_1)
	v_rcp_f64_e32 v[36:37], v[34:35]
	v_nop
	v_fma_f64 v[38:39], -v[34:35], v[36:37], 1.0
	s_delay_alu instid0(VALU_DEP_1) | instskip(NEXT) | instid1(VALU_DEP_1)
	v_fmac_f64_e32 v[36:37], v[36:37], v[38:39]
	v_fma_f64 v[38:39], -v[34:35], v[36:37], 1.0
	s_delay_alu instid0(VALU_DEP_1) | instskip(NEXT) | instid1(VALU_DEP_1)
	v_fmac_f64_e32 v[36:37], v[36:37], v[38:39]
	v_mul_f64_e32 v[38:39], v[40:41], v[36:37]
	s_delay_alu instid0(VALU_DEP_1) | instskip(NEXT) | instid1(VALU_DEP_1)
	v_fma_f64 v[34:35], -v[34:35], v[38:39], v[40:41]
	v_div_fmas_f64 v[34:35], v[34:35], v[36:37], v[38:39]
	s_delay_alu instid0(VALU_DEP_1) | instskip(NEXT) | instid1(VALU_DEP_1)
	v_div_fixup_f64 v[0:1], v[34:35], v[26:27], v[0:1]
	v_fma_f64 v[16:17], -v[0:1], v[28:29], v[16:17]
	ds_load_2addr_b64 v[26:29], v25 offset0:17 offset1:18
	ds_load_b128 v[34:37], v25 offset:272
	s_wait_dscnt 0x2
	v_fma_f64 v[2:3], -v[0:1], v[30:31], v[2:3]
	v_fma_f64 v[14:15], -v[0:1], v[32:33], v[14:15]
	s_wait_dscnt 0x1
	v_div_scale_f64 v[38:39], null, v[26:27], v[26:27], v[16:17]
	v_div_scale_f64 v[44:45], vcc_lo, v[16:17], v[26:27], v[16:17]
	s_delay_alu instid0(VALU_DEP_2) | instskip(SKIP_1) | instid1(TRANS32_DEP_1)
	v_rcp_f64_e32 v[40:41], v[38:39]
	v_nop
	v_fma_f64 v[42:43], -v[38:39], v[40:41], 1.0
	s_delay_alu instid0(VALU_DEP_1) | instskip(NEXT) | instid1(VALU_DEP_1)
	v_fmac_f64_e32 v[40:41], v[40:41], v[42:43]
	v_fma_f64 v[42:43], -v[38:39], v[40:41], 1.0
	s_delay_alu instid0(VALU_DEP_1) | instskip(NEXT) | instid1(VALU_DEP_1)
	v_fmac_f64_e32 v[40:41], v[40:41], v[42:43]
	v_mul_f64_e32 v[42:43], v[44:45], v[40:41]
	s_delay_alu instid0(VALU_DEP_1) | instskip(NEXT) | instid1(VALU_DEP_1)
	v_fma_f64 v[38:39], -v[38:39], v[42:43], v[44:45]
	v_div_fmas_f64 v[38:39], v[38:39], v[40:41], v[42:43]
	s_delay_alu instid0(VALU_DEP_1) | instskip(NEXT) | instid1(VALU_DEP_1)
	v_div_fixup_f64 v[16:17], v[38:39], v[26:27], v[16:17]
	v_fma_f64 v[2:3], -v[16:17], v[28:29], v[2:3]
	s_wait_dscnt 0x0
	s_delay_alu instid0(VALU_DEP_1) | instskip(SKIP_1) | instid1(VALU_DEP_2)
	v_div_scale_f64 v[26:27], null, v[34:35], v[34:35], v[2:3]
	v_div_scale_f64 v[38:39], vcc_lo, v[2:3], v[34:35], v[2:3]
	v_rcp_f64_e32 v[28:29], v[26:27]
	v_nop
	s_delay_alu instid0(TRANS32_DEP_1) | instskip(NEXT) | instid1(VALU_DEP_1)
	v_fma_f64 v[30:31], -v[26:27], v[28:29], 1.0
	v_fmac_f64_e32 v[28:29], v[28:29], v[30:31]
	s_delay_alu instid0(VALU_DEP_1) | instskip(NEXT) | instid1(VALU_DEP_1)
	v_fma_f64 v[30:31], -v[26:27], v[28:29], 1.0
	v_fmac_f64_e32 v[28:29], v[28:29], v[30:31]
	s_delay_alu instid0(VALU_DEP_1) | instskip(NEXT) | instid1(VALU_DEP_1)
	v_mul_f64_e32 v[30:31], v[38:39], v[28:29]
	v_fma_f64 v[26:27], -v[26:27], v[30:31], v[38:39]
	s_delay_alu instid0(VALU_DEP_1)
	v_div_fmas_f64 v[26:27], v[26:27], v[28:29], v[30:31]
	v_mov_b32_e32 v28, s29
	s_add_co_i32 s29, s21, 4
	s_add_co_i32 s21, s21, 7
	ds_load_b64 v[28:29], v28 offset:24
	ds_load_b64 v[30:31], v25 offset:408
	s_cmp_ge_i32 s21, s26
	s_wait_dscnt 0x1
	v_fma_f64 v[14:15], -v[16:17], v[28:29], v[14:15]
	v_div_fixup_f64 v[2:3], v[26:27], v[34:35], v[2:3]
	s_delay_alu instid0(VALU_DEP_1) | instskip(SKIP_1) | instid1(VALU_DEP_1)
	v_fma_f64 v[14:15], -v[2:3], v[36:37], v[14:15]
	s_wait_dscnt 0x0
	v_div_scale_f64 v[26:27], null, v[30:31], v[30:31], v[14:15]
	s_delay_alu instid0(VALU_DEP_1) | instskip(SKIP_1) | instid1(TRANS32_DEP_1)
	v_rcp_f64_e32 v[28:29], v[26:27]
	v_nop
	v_fma_f64 v[32:33], -v[26:27], v[28:29], 1.0
	s_delay_alu instid0(VALU_DEP_1) | instskip(NEXT) | instid1(VALU_DEP_1)
	v_fmac_f64_e32 v[28:29], v[28:29], v[32:33]
	v_fma_f64 v[32:33], -v[26:27], v[28:29], 1.0
	s_delay_alu instid0(VALU_DEP_1) | instskip(SKIP_1) | instid1(VALU_DEP_1)
	v_fmac_f64_e32 v[28:29], v[28:29], v[32:33]
	v_div_scale_f64 v[32:33], vcc_lo, v[14:15], v[30:31], v[14:15]
	v_mul_f64_e32 v[34:35], v[32:33], v[28:29]
	s_delay_alu instid0(VALU_DEP_1) | instskip(NEXT) | instid1(VALU_DEP_1)
	v_fma_f64 v[26:27], -v[26:27], v[34:35], v[32:33]
	v_div_fmas_f64 v[26:27], v[26:27], v[28:29], v[34:35]
	s_delay_alu instid0(VALU_DEP_1)
	v_div_fixup_f64 v[14:15], v[26:27], v[30:31], v[14:15]
	ds_store_b64 v21, v[0:1]
	ds_store_b64 v23, v[16:17]
	;; [unrolled: 1-line block ×4, first 2 shown]
	s_cbranch_scc1 .LBB86_20
; %bb.19:                               ;   in Loop: Header=BB86_16 Depth=2
	s_mov_b32 s21, s29
	s_branch .LBB86_16
.LBB86_20:                              ;   in Loop: Header=BB86_3 Depth=1
	s_cmp_ge_i32 s29, s26
	s_cbranch_scc1 .LBB86_25
; %bb.21:                               ;   in Loop: Header=BB86_3 Depth=1
	s_lshl_b32 s20, s29, 3
	s_branch .LBB86_23
.LBB86_22:                              ;   in Loop: Header=BB86_23 Depth=2
	s_lshl_b32 s30, s29, 3
	s_add_co_i32 s29, s29, 1
	s_add_co_i32 s21, s30, s21
	;; [unrolled: 1-line block ×3, first 2 shown]
	v_mov_b32_e32 v3, s21
	s_cmp_ge_i32 s29, s26
	ds_load_b64 v[14:15], v3
	s_wait_dscnt 0x0
	v_div_scale_f64 v[16:17], null, v[14:15], v[14:15], v[0:1]
	s_delay_alu instid0(VALU_DEP_1) | instskip(SKIP_1) | instid1(TRANS32_DEP_1)
	v_rcp_f64_e32 v[22:23], v[16:17]
	v_nop
	v_fma_f64 v[24:25], -v[16:17], v[22:23], 1.0
	s_delay_alu instid0(VALU_DEP_1) | instskip(NEXT) | instid1(VALU_DEP_1)
	v_fmac_f64_e32 v[22:23], v[22:23], v[24:25]
	v_fma_f64 v[24:25], -v[16:17], v[22:23], 1.0
	s_delay_alu instid0(VALU_DEP_1) | instskip(SKIP_1) | instid1(VALU_DEP_1)
	v_fmac_f64_e32 v[22:23], v[22:23], v[24:25]
	v_div_scale_f64 v[24:25], vcc_lo, v[0:1], v[14:15], v[0:1]
	v_mul_f64_e32 v[26:27], v[24:25], v[22:23]
	s_delay_alu instid0(VALU_DEP_1) | instskip(NEXT) | instid1(VALU_DEP_1)
	v_fma_f64 v[16:17], -v[16:17], v[26:27], v[24:25]
	v_div_fmas_f64 v[16:17], v[16:17], v[22:23], v[26:27]
	s_delay_alu instid0(VALU_DEP_1)
	v_div_fixup_f64 v[0:1], v[16:17], v[14:15], v[0:1]
	ds_store_b64 v2, v[0:1]
	s_cbranch_scc1 .LBB86_25
.LBB86_23:                              ;   Parent Loop BB86_3 Depth=1
                                        ; =>  This Loop Header: Depth=2
                                        ;       Child Loop BB86_24 Depth 3
	s_lshl_b32 s21, s29, 7
	s_cmp_eq_u32 s29, 0
	v_dual_mov_b32 v3, v18 :: v_dual_add_nc_u32 v2, s21, v18
	s_mov_b32 s30, s20
	s_mov_b32 s31, s29
	ds_load_b64 v[0:1], v2
	s_cbranch_scc1 .LBB86_22
.LBB86_24:                              ;   Parent Loop BB86_3 Depth=1
                                        ;     Parent Loop BB86_23 Depth=2
                                        ; =>    This Inner Loop Header: Depth=3
	v_mov_b32_e32 v16, s30
	s_add_co_i32 s31, s31, -1
	s_addk_co_i32 s30, 0x80
	s_cmp_eq_u32 s31, 0
	ds_load_b64 v[14:15], v3
	ds_load_b64 v[16:17], v16
	v_add_nc_u32_e32 v3, 0x80, v3
	s_wait_dscnt 0x0
	v_fma_f64 v[0:1], -v[14:15], v[16:17], v[0:1]
	s_cbranch_scc0 .LBB86_24
	s_branch .LBB86_22
.LBB86_25:                              ;   in Loop: Header=BB86_3 Depth=1
	s_mov_b32 s20, 0
.LBB86_26:                              ;   in Loop: Header=BB86_3 Depth=1
	s_delay_alu instid0(SALU_CYCLE_1)
	s_and_b32 vcc_lo, exec_lo, s20
	s_cbranch_vccz .LBB86_45
; %bb.27:                               ;   in Loop: Header=BB86_3 Depth=1
	s_mov_b32 s29, s27
	s_and_not1_b32 vcc_lo, exec_lo, s22
	s_mov_b32 s20, s10
	s_mov_b32 s21, s27
	s_cbranch_vccnz .LBB86_32
.LBB86_28:                              ;   Parent Loop BB86_3 Depth=1
                                        ; =>  This Loop Header: Depth=2
                                        ;       Child Loop BB86_29 Depth 3
	s_add_co_i32 s31, s21, -1
	s_add_co_i32 s33, s21, -3
	v_lshl_add_u32 v21, s21, 7, v18
	s_add_co_i32 s30, s21, -2
	v_lshl_add_u32 v22, s31, 7, v18
	s_lshl_b32 s29, s33, 7
	v_lshl_add_u32 v23, s30, 7, v18
	v_dual_mov_b32 v25, v5 :: v_dual_add_nc_u32 v24, s29, v18
	ds_load_b64 v[16:17], v21
	ds_load_b64 v[14:15], v22
	;; [unrolled: 1-line block ×4, first 2 shown]
	s_cmp_le_i32 s27, s21
	s_mov_b32 s34, s20
	s_mov_b32 s35, s27
	s_cbranch_scc1 .LBB86_30
.LBB86_29:                              ;   Parent Loop BB86_3 Depth=1
                                        ;     Parent Loop BB86_28 Depth=2
                                        ; =>    This Inner Loop Header: Depth=3
	v_mov_b32_e32 v30, s34
	s_add_co_i32 s35, s35, -1
	s_addk_co_i32 s34, 0xff80
	s_cmp_le_i32 s35, s21
	ds_load_b64 v[34:35], v25
	ds_load_2addr_b64 v[26:29], v30 offset0:2 offset1:3
	ds_load_2addr_b64 v[30:33], v30 offset1:1
	v_add_nc_u32_e32 v25, 0xffffff80, v25
	s_wait_dscnt 0x1
	v_fma_f64 v[16:17], -v[34:35], v[28:29], v[16:17]
	v_fma_f64 v[14:15], -v[34:35], v[26:27], v[14:15]
	s_wait_dscnt 0x0
	v_fma_f64 v[2:3], -v[34:35], v[32:33], v[2:3]
	v_fma_f64 v[0:1], -v[34:35], v[30:31], v[0:1]
	s_cbranch_scc0 .LBB86_29
.LBB86_30:                              ;   in Loop: Header=BB86_28 Depth=2
	s_lshl_b32 s34, s21, 3
	s_lshl_b32 s35, s21, 7
	;; [unrolled: 1-line block ×3, first 2 shown]
	s_add_co_i32 s35, s34, s35
	s_sub_co_i32 s20, s20, 32
	s_add_co_i32 s36, s35, -8
	s_sub_co_i32 s35, s35, 24
	v_mov_b32_e32 v25, s36
	s_lshl_b32 s36, s31, 7
	s_lshl_b32 s31, s31, 3
	s_add_co_i32 s36, s34, s36
	ds_load_2addr_b64 v[26:29], v25 offset1:1
	s_add_co_i32 s36, s36, -8
	s_delay_alu instid0(SALU_CYCLE_1) | instskip(NEXT) | instid1(SALU_CYCLE_1)
	s_sub_co_i32 s31, s36, s31
	s_add_co_i32 s31, s31, s33
	s_wait_dscnt 0x0
	v_div_scale_f64 v[32:33], null, v[28:29], v[28:29], v[16:17]
	v_div_scale_f64 v[38:39], vcc_lo, v[16:17], v[28:29], v[16:17]
	s_delay_alu instid0(VALU_DEP_2) | instskip(SKIP_1) | instid1(TRANS32_DEP_1)
	v_rcp_f64_e32 v[34:35], v[32:33]
	v_nop
	v_fma_f64 v[36:37], -v[32:33], v[34:35], 1.0
	s_delay_alu instid0(VALU_DEP_1) | instskip(NEXT) | instid1(VALU_DEP_1)
	v_fmac_f64_e32 v[34:35], v[34:35], v[36:37]
	v_fma_f64 v[36:37], -v[32:33], v[34:35], 1.0
	s_delay_alu instid0(VALU_DEP_1) | instskip(NEXT) | instid1(VALU_DEP_1)
	v_fmac_f64_e32 v[34:35], v[34:35], v[36:37]
	v_dual_mul_f64 v[36:37], v[38:39], v[34:35] :: v_dual_mov_b32 v25, s36
	s_delay_alu instid0(VALU_DEP_1)
	v_fma_f64 v[32:33], -v[32:33], v[36:37], v[38:39]
	ds_load_b64 v[30:31], v25
	v_mov_b32_e32 v25, s31
	s_lshl_b32 s31, s30, 7
	s_lshl_b32 s30, s30, 3
	s_add_co_i32 s31, s34, s31
	s_add_co_i32 s34, s34, s29
	s_sub_co_i32 s30, s31, s30
	s_sub_co_i32 s29, s34, 24
	s_add_co_i32 s30, s30, s33
	s_delay_alu instid0(SALU_CYCLE_1) | instskip(SKIP_1) | instid1(VALU_DEP_1)
	s_add_co_i32 s30, s30, -16
	v_div_fmas_f64 v[32:33], v[32:33], v[34:35], v[36:37]
	v_div_fixup_f64 v[32:33], v[32:33], v[28:29], v[16:17]
	s_delay_alu instid0(VALU_DEP_1) | instskip(SKIP_1) | instid1(VALU_DEP_1)
	v_fma_f64 v[34:35], -v[32:33], v[26:27], v[14:15]
	s_wait_dscnt 0x0
	v_div_scale_f64 v[14:15], null, v[30:31], v[30:31], v[34:35]
	v_div_scale_f64 v[28:29], vcc_lo, v[34:35], v[30:31], v[34:35]
	s_delay_alu instid0(VALU_DEP_2) | instskip(SKIP_1) | instid1(TRANS32_DEP_1)
	v_rcp_f64_e32 v[16:17], v[14:15]
	v_nop
	v_fma_f64 v[26:27], -v[14:15], v[16:17], 1.0
	s_delay_alu instid0(VALU_DEP_1) | instskip(NEXT) | instid1(VALU_DEP_1)
	v_fmac_f64_e32 v[16:17], v[16:17], v[26:27]
	v_fma_f64 v[26:27], -v[14:15], v[16:17], 1.0
	s_delay_alu instid0(VALU_DEP_1) | instskip(NEXT) | instid1(VALU_DEP_1)
	v_fmac_f64_e32 v[16:17], v[16:17], v[26:27]
	v_mul_f64_e32 v[26:27], v[28:29], v[16:17]
	s_delay_alu instid0(VALU_DEP_1) | instskip(NEXT) | instid1(VALU_DEP_1)
	v_fma_f64 v[14:15], -v[14:15], v[26:27], v[28:29]
	v_div_fmas_f64 v[36:37], v[14:15], v[16:17], v[26:27]
	v_mov_b32_e32 v14, s35
	ds_load_2addr_b64 v[26:29], v25 offset1:1
	v_mov_b32_e32 v25, s30
	ds_load_2addr_b64 v[14:17], v14 offset1:1
	s_wait_dscnt 0x0
	v_fma_f64 v[2:3], -v[32:33], v[16:17], v[2:3]
	v_fma_f64 v[0:1], -v[32:33], v[14:15], v[0:1]
	v_div_fixup_f64 v[16:17], v[36:37], v[30:31], v[34:35]
	s_delay_alu instid0(VALU_DEP_1)
	v_fma_f64 v[2:3], -v[16:17], v[28:29], v[2:3]
	ds_load_2addr_b64 v[28:31], v25 offset1:1
	v_dual_fma_f64 v[0:1], -v[16:17], v[26:27], v[0:1] :: v_dual_mov_b32 v25, s29
	s_add_co_i32 s29, s21, -4
	s_cmp_lt_i32 s21, 7
	ds_load_b64 v[34:35], v25
	s_wait_dscnt 0x1
	v_div_scale_f64 v[36:37], null, v[30:31], v[30:31], v[2:3]
	v_div_scale_f64 v[42:43], vcc_lo, v[2:3], v[30:31], v[2:3]
	s_delay_alu instid0(VALU_DEP_2) | instskip(SKIP_1) | instid1(TRANS32_DEP_1)
	v_rcp_f64_e32 v[38:39], v[36:37]
	v_nop
	v_fma_f64 v[40:41], -v[36:37], v[38:39], 1.0
	s_delay_alu instid0(VALU_DEP_1) | instskip(NEXT) | instid1(VALU_DEP_1)
	v_fmac_f64_e32 v[38:39], v[38:39], v[40:41]
	v_fma_f64 v[40:41], -v[36:37], v[38:39], 1.0
	s_delay_alu instid0(VALU_DEP_1) | instskip(NEXT) | instid1(VALU_DEP_1)
	v_fmac_f64_e32 v[38:39], v[38:39], v[40:41]
	v_mul_f64_e32 v[40:41], v[42:43], v[38:39]
	s_delay_alu instid0(VALU_DEP_1) | instskip(NEXT) | instid1(VALU_DEP_1)
	v_fma_f64 v[36:37], -v[36:37], v[40:41], v[42:43]
	v_div_fmas_f64 v[14:15], v[36:37], v[38:39], v[40:41]
	s_delay_alu instid0(VALU_DEP_1) | instskip(NEXT) | instid1(VALU_DEP_1)
	v_div_fixup_f64 v[2:3], v[14:15], v[30:31], v[2:3]
	v_fma_f64 v[0:1], -v[2:3], v[28:29], v[0:1]
	s_wait_dscnt 0x0
	s_delay_alu instid0(VALU_DEP_1) | instskip(NEXT) | instid1(VALU_DEP_1)
	v_div_scale_f64 v[14:15], null, v[34:35], v[34:35], v[0:1]
	v_rcp_f64_e32 v[26:27], v[14:15]
	v_nop
	s_delay_alu instid0(TRANS32_DEP_1) | instskip(NEXT) | instid1(VALU_DEP_1)
	v_fma_f64 v[28:29], -v[14:15], v[26:27], 1.0
	v_fmac_f64_e32 v[26:27], v[26:27], v[28:29]
	s_delay_alu instid0(VALU_DEP_1) | instskip(NEXT) | instid1(VALU_DEP_1)
	v_fma_f64 v[28:29], -v[14:15], v[26:27], 1.0
	v_fmac_f64_e32 v[26:27], v[26:27], v[28:29]
	v_div_scale_f64 v[28:29], vcc_lo, v[0:1], v[34:35], v[0:1]
	s_delay_alu instid0(VALU_DEP_1) | instskip(NEXT) | instid1(VALU_DEP_1)
	v_mul_f64_e32 v[30:31], v[28:29], v[26:27]
	v_fma_f64 v[14:15], -v[14:15], v[30:31], v[28:29]
	s_delay_alu instid0(VALU_DEP_1) | instskip(NEXT) | instid1(VALU_DEP_1)
	v_div_fmas_f64 v[14:15], v[14:15], v[26:27], v[30:31]
	v_div_fixup_f64 v[0:1], v[14:15], v[34:35], v[0:1]
	ds_store_b64 v21, v[32:33]
	ds_store_b64 v22, v[16:17]
	;; [unrolled: 1-line block ×4, first 2 shown]
	s_cbranch_scc1 .LBB86_32
; %bb.31:                               ;   in Loop: Header=BB86_28 Depth=2
	s_mov_b32 s21, s29
	s_branch .LBB86_28
.LBB86_32:                              ;   in Loop: Header=BB86_3 Depth=1
	s_cmp_lt_i32 s29, 0
	s_cbranch_scc1 .LBB86_45
; %bb.33:                               ;   in Loop: Header=BB86_3 Depth=1
	s_bitcmp1_b32 s29, 0
	s_cselect_b32 s20, -1, 0
	s_delay_alu instid0(SALU_CYCLE_1)
	s_and_b32 vcc_lo, exec_lo, s20
	s_mov_b32 s20, s29
	s_cbranch_vccnz .LBB86_38
; %bb.34:                               ;   in Loop: Header=BB86_3 Depth=1
	s_lshl_b32 s20, s29, 7
	s_cmp_le_i32 s27, s29
	v_add_nc_u32_e32 v2, s20, v18
	ds_load_b64 v[0:1], v2
	s_cbranch_scc1 .LBB86_37
; %bb.35:                               ;   in Loop: Header=BB86_3 Depth=1
	v_mov_b32_e32 v3, v5
	s_lshl_b32 s21, s29, 3
	s_mov_b32 s30, s27
	s_add_co_i32 s21, s11, s21
.LBB86_36:                              ;   Parent Loop BB86_3 Depth=1
                                        ; =>  This Inner Loop Header: Depth=2
	s_delay_alu instid0(SALU_CYCLE_1)
	v_mov_b32_e32 v16, s21
	s_add_co_i32 s30, s30, -1
	s_addk_co_i32 s21, 0xff80
	s_cmp_gt_i32 s30, s29
	ds_load_b64 v[14:15], v3
	ds_load_b64 v[16:17], v16
	v_add_nc_u32_e32 v3, 0xffffff80, v3
	s_wait_dscnt 0x0
	v_fma_f64 v[0:1], -v[14:15], v[16:17], v[0:1]
	s_cbranch_scc1 .LBB86_36
.LBB86_37:                              ;   in Loop: Header=BB86_3 Depth=1
	s_lshl_b32 s21, s29, 3
	s_delay_alu instid0(SALU_CYCLE_1) | instskip(NEXT) | instid1(SALU_CYCLE_1)
	s_add_co_i32 s20, s21, s20
	v_mov_b32_e32 v3, s20
	s_add_co_i32 s20, s29, -1
	ds_load_b64 v[14:15], v3
	s_wait_dscnt 0x0
	v_div_scale_f64 v[16:17], null, v[14:15], v[14:15], v[0:1]
	s_delay_alu instid0(VALU_DEP_1) | instskip(SKIP_1) | instid1(TRANS32_DEP_1)
	v_rcp_f64_e32 v[22:23], v[16:17]
	v_nop
	v_fma_f64 v[24:25], -v[16:17], v[22:23], 1.0
	s_delay_alu instid0(VALU_DEP_1) | instskip(NEXT) | instid1(VALU_DEP_1)
	v_fmac_f64_e32 v[22:23], v[22:23], v[24:25]
	v_fma_f64 v[24:25], -v[16:17], v[22:23], 1.0
	s_delay_alu instid0(VALU_DEP_1) | instskip(SKIP_1) | instid1(VALU_DEP_1)
	v_fmac_f64_e32 v[22:23], v[22:23], v[24:25]
	v_div_scale_f64 v[24:25], vcc_lo, v[0:1], v[14:15], v[0:1]
	v_mul_f64_e32 v[26:27], v[24:25], v[22:23]
	s_delay_alu instid0(VALU_DEP_1) | instskip(NEXT) | instid1(VALU_DEP_1)
	v_fma_f64 v[16:17], -v[16:17], v[26:27], v[24:25]
	v_div_fmas_f64 v[16:17], v[16:17], v[22:23], v[26:27]
	s_delay_alu instid0(VALU_DEP_1)
	v_div_fixup_f64 v[0:1], v[16:17], v[14:15], v[0:1]
	ds_store_b64 v2, v[0:1]
.LBB86_38:                              ;   in Loop: Header=BB86_3 Depth=1
	s_cmp_eq_u32 s29, 0
	s_cbranch_scc1 .LBB86_45
; %bb.39:                               ;   in Loop: Header=BB86_3 Depth=1
	s_lshl_b32 s29, s20, 3
	s_delay_alu instid0(SALU_CYCLE_1)
	s_add_co_i32 s21, s11, s29
	s_add_co_i32 s29, s16, s29
	s_branch .LBB86_41
.LBB86_40:                              ;   in Loop: Header=BB86_41 Depth=2
	s_add_co_i32 s30, s30, s31
	s_add_co_i32 s21, s21, -16
	s_add_co_i32 s30, s30, -8
	;; [unrolled: 1-line block ×3, first 2 shown]
	v_mov_b32_e32 v0, s30
	s_add_co_i32 s30, s20, -2
	s_cmp_lt_i32 s20, 2
	s_mov_b32 s20, s30
	ds_load_b64 v[0:1], v0
	s_wait_dscnt 0x0
	v_div_scale_f64 v[16:17], null, v[0:1], v[0:1], v[2:3]
	s_delay_alu instid0(VALU_DEP_1) | instskip(SKIP_1) | instid1(TRANS32_DEP_1)
	v_rcp_f64_e32 v[22:23], v[16:17]
	v_nop
	v_fma_f64 v[24:25], -v[16:17], v[22:23], 1.0
	s_delay_alu instid0(VALU_DEP_1) | instskip(NEXT) | instid1(VALU_DEP_1)
	v_fmac_f64_e32 v[22:23], v[22:23], v[24:25]
	v_fma_f64 v[24:25], -v[16:17], v[22:23], 1.0
	s_delay_alu instid0(VALU_DEP_1) | instskip(SKIP_1) | instid1(VALU_DEP_1)
	v_fmac_f64_e32 v[22:23], v[22:23], v[24:25]
	v_div_scale_f64 v[24:25], vcc_lo, v[2:3], v[0:1], v[2:3]
	v_mul_f64_e32 v[26:27], v[24:25], v[22:23]
	s_delay_alu instid0(VALU_DEP_1) | instskip(NEXT) | instid1(VALU_DEP_1)
	v_fma_f64 v[16:17], -v[16:17], v[26:27], v[24:25]
	v_div_fmas_f64 v[16:17], v[16:17], v[22:23], v[26:27]
	s_delay_alu instid0(VALU_DEP_1)
	v_div_fixup_f64 v[0:1], v[16:17], v[0:1], v[2:3]
	ds_store_b64 v15, v[0:1]
	s_cbranch_scc1 .LBB86_45
.LBB86_41:                              ;   Parent Loop BB86_3 Depth=1
                                        ; =>  This Loop Header: Depth=2
                                        ;       Child Loop BB86_42 Depth 3
                                        ;       Child Loop BB86_44 Depth 3
	s_lshl_b32 s31, s20, 7
	s_cmp_le_i32 s27, s20
	v_dual_add_nc_u32 v14, s31, v18 :: v_dual_mov_b32 v2, v5
	s_mov_b32 s30, s21
	s_mov_b32 s33, s27
	ds_load_b64 v[0:1], v14
	s_cbranch_scc1 .LBB86_43
.LBB86_42:                              ;   Parent Loop BB86_3 Depth=1
                                        ;     Parent Loop BB86_41 Depth=2
                                        ; =>    This Inner Loop Header: Depth=3
	v_mov_b32_e32 v3, s30
	s_add_co_i32 s33, s33, -1
	s_addk_co_i32 s30, 0xff80
	s_cmp_le_i32 s33, s20
	ds_load_b64 v[16:17], v2
	ds_load_b64 v[22:23], v3
	v_add_nc_u32_e32 v2, 0xffffff80, v2
	s_wait_dscnt 0x0
	v_fma_f64 v[0:1], -v[16:17], v[22:23], v[0:1]
	s_cbranch_scc0 .LBB86_42
.LBB86_43:                              ;   in Loop: Header=BB86_41 Depth=2
	s_lshl_b32 s30, s20, 3
	s_mov_b32 s34, s26
	s_add_co_i32 s33, s30, s31
	s_addk_co_i32 s31, 0xff80
	s_delay_alu instid0(SALU_CYCLE_1)
	v_dual_mov_b32 v2, s33 :: v_dual_add_nc_u32 v15, s31, v18
	s_cmp_le_i32 s26, s20
	s_mov_b32 s33, s29
	ds_load_b64 v[16:17], v2
	ds_load_b64 v[2:3], v15
	s_wait_dscnt 0x1
	v_div_scale_f64 v[22:23], null, v[16:17], v[16:17], v[0:1]
	s_delay_alu instid0(VALU_DEP_1) | instskip(SKIP_1) | instid1(TRANS32_DEP_1)
	v_rcp_f64_e32 v[24:25], v[22:23]
	v_nop
	v_fma_f64 v[26:27], -v[22:23], v[24:25], 1.0
	s_delay_alu instid0(VALU_DEP_1) | instskip(NEXT) | instid1(VALU_DEP_1)
	v_fmac_f64_e32 v[24:25], v[24:25], v[26:27]
	v_fma_f64 v[26:27], -v[22:23], v[24:25], 1.0
	s_delay_alu instid0(VALU_DEP_1) | instskip(SKIP_1) | instid1(VALU_DEP_1)
	v_fmac_f64_e32 v[24:25], v[24:25], v[26:27]
	v_div_scale_f64 v[26:27], vcc_lo, v[0:1], v[16:17], v[0:1]
	v_mul_f64_e32 v[28:29], v[26:27], v[24:25]
	s_delay_alu instid0(VALU_DEP_1) | instskip(NEXT) | instid1(VALU_DEP_1)
	v_fma_f64 v[22:23], -v[22:23], v[28:29], v[26:27]
	v_div_fmas_f64 v[22:23], v[22:23], v[24:25], v[28:29]
	s_delay_alu instid0(VALU_DEP_1)
	v_div_fixup_f64 v[16:17], v[22:23], v[16:17], v[0:1]
	v_mov_b32_e32 v0, v5
	ds_store_b64 v14, v[16:17]
	s_cbranch_scc1 .LBB86_40
.LBB86_44:                              ;   Parent Loop BB86_3 Depth=1
                                        ;     Parent Loop BB86_41 Depth=2
                                        ; =>    This Inner Loop Header: Depth=3
	v_mov_b32_e32 v1, s33
	s_add_co_i32 s34, s34, -1
	s_addk_co_i32 s33, 0xff80
	s_cmp_gt_i32 s34, s20
	ds_load_b64 v[16:17], v0
	ds_load_b64 v[22:23], v1
	v_add_nc_u32_e32 v0, 0xffffff80, v0
	s_wait_dscnt 0x0
	v_fma_f64 v[2:3], -v[16:17], v[22:23], v[2:3]
	s_cbranch_scc1 .LBB86_44
	s_branch .LBB86_40
.LBB86_45:                              ;   in Loop: Header=BB86_3 Depth=1
	s_mov_b32 s20, 0
.LBB86_46:                              ;   in Loop: Header=BB86_3 Depth=1
	s_delay_alu instid0(SALU_CYCLE_1)
	s_and_not1_b32 vcc_lo, exec_lo, s20
	s_cbranch_vccnz .LBB86_66
; %bb.47:                               ;   in Loop: Header=BB86_3 Depth=1
	s_mov_b32 s29, s27
	s_and_not1_b32 vcc_lo, exec_lo, s22
	s_mov_b32 s20, s17
	s_mov_b32 s21, s27
	s_cbranch_vccnz .LBB86_53
.LBB86_48:                              ;   Parent Loop BB86_3 Depth=1
                                        ; =>  This Loop Header: Depth=2
                                        ;       Child Loop BB86_49 Depth 3
	s_add_co_i32 s31, s21, -1
	v_lshl_add_u32 v21, s21, 7, v18
	s_add_co_i32 s30, s21, -2
	v_lshl_add_u32 v22, s31, 7, v18
	s_add_co_i32 s29, s21, -3
	v_lshl_add_u32 v23, s30, 7, v18
	v_lshl_add_u32 v24, s29, 7, v18
	ds_load_b64 v[16:17], v21
	ds_load_b64 v[14:15], v22
	;; [unrolled: 1-line block ×4, first 2 shown]
	v_mov_b32_e32 v25, v5
	s_cmp_le_i32 s27, s21
	s_mov_b32 s33, s20
	s_mov_b32 s34, s27
	s_cbranch_scc1 .LBB86_50
.LBB86_49:                              ;   Parent Loop BB86_3 Depth=1
                                        ;     Parent Loop BB86_48 Depth=2
                                        ; =>    This Inner Loop Header: Depth=3
	v_mov_b32_e32 v30, s33
	s_add_co_i32 s34, s34, -1
	s_add_co_i32 s33, s33, -8
	s_cmp_le_i32 s34, s21
	ds_load_b64 v[34:35], v25
	ds_load_2addr_b64 v[26:29], v30 offset0:32 offset1:48
	ds_load_2addr_b64 v[30:33], v30 offset1:16
	v_add_nc_u32_e32 v25, 0xffffff80, v25
	s_wait_dscnt 0x1
	v_fma_f64 v[16:17], -v[34:35], v[28:29], v[16:17]
	v_fma_f64 v[14:15], -v[34:35], v[26:27], v[14:15]
	s_wait_dscnt 0x0
	v_fma_f64 v[2:3], -v[34:35], v[32:33], v[2:3]
	v_fma_f64 v[0:1], -v[34:35], v[30:31], v[0:1]
	s_cbranch_scc0 .LBB86_49
.LBB86_50:                              ;   in Loop: Header=BB86_48 Depth=2
	s_lshl_b32 s35, s31, 4
	s_lshl_b32 s34, s30, 4
	;; [unrolled: 1-line block ×3, first 2 shown]
; %bb.51:                               ;   in Loop: Header=BB86_48 Depth=2
	s_mul_i32 s36, s21, 0x88
	s_lshl_b32 s35, s35, 3
	v_mov_b32_e32 v25, s36
	s_lshl_b32 s31, s31, 3
	s_lshl_b32 s30, s30, 3
	s_add_co_i32 s31, s35, s31
	s_lshl_b32 s29, s29, 3
	ds_load_b64 v[30:31], v25
	s_addk_co_i32 s20, 0xfe00
	s_wait_dscnt 0x0
	v_div_scale_f64 v[32:33], null, v[30:31], v[30:31], v[16:17]
	v_div_scale_f64 v[38:39], vcc_lo, v[16:17], v[30:31], v[16:17]
	s_delay_alu instid0(VALU_DEP_2) | instskip(SKIP_1) | instid1(TRANS32_DEP_1)
	v_rcp_f64_e32 v[34:35], v[32:33]
	v_nop
	v_fma_f64 v[36:37], -v[32:33], v[34:35], 1.0
	s_delay_alu instid0(VALU_DEP_1) | instskip(NEXT) | instid1(VALU_DEP_1)
	v_fmac_f64_e32 v[34:35], v[34:35], v[36:37]
	v_fma_f64 v[36:37], -v[32:33], v[34:35], 1.0
	s_delay_alu instid0(VALU_DEP_1) | instskip(NEXT) | instid1(VALU_DEP_1)
	v_fmac_f64_e32 v[34:35], v[34:35], v[36:37]
	v_dual_mul_f64 v[36:37], v[38:39], v[34:35] :: v_dual_mov_b32 v25, s31
	s_lshl_b32 s31, s34, 3
	s_lshl_b32 s34, s21, 3
	s_add_co_i32 s30, s31, s30
	s_add_co_i32 s35, s31, s34
	s_delay_alu instid0(VALU_DEP_1) | instskip(SKIP_2) | instid1(VALU_DEP_1)
	v_fma_f64 v[32:33], -v[32:33], v[36:37], v[38:39]
	ds_load_2addr_b64 v[26:29], v25 offset1:1
	v_div_fmas_f64 v[32:33], v[32:33], v[34:35], v[36:37]
	v_div_fixup_f64 v[34:35], v[32:33], v[30:31], v[16:17]
	s_wait_dscnt 0x0
	s_delay_alu instid0(VALU_DEP_1) | instskip(NEXT) | instid1(VALU_DEP_1)
	v_fma_f64 v[28:29], -v[34:35], v[28:29], v[14:15]
	v_div_scale_f64 v[14:15], null, v[26:27], v[26:27], v[28:29]
	v_div_scale_f64 v[32:33], vcc_lo, v[28:29], v[26:27], v[28:29]
	s_delay_alu instid0(VALU_DEP_2) | instskip(SKIP_1) | instid1(TRANS32_DEP_1)
	v_rcp_f64_e32 v[16:17], v[14:15]
	v_nop
	v_fma_f64 v[30:31], -v[14:15], v[16:17], 1.0
	s_delay_alu instid0(VALU_DEP_1) | instskip(NEXT) | instid1(VALU_DEP_1)
	v_fmac_f64_e32 v[16:17], v[16:17], v[30:31]
	v_fma_f64 v[30:31], -v[14:15], v[16:17], 1.0
	s_delay_alu instid0(VALU_DEP_1) | instskip(NEXT) | instid1(VALU_DEP_1)
	v_fmac_f64_e32 v[16:17], v[16:17], v[30:31]
	v_mul_f64_e32 v[30:31], v[32:33], v[16:17]
	s_delay_alu instid0(VALU_DEP_1) | instskip(NEXT) | instid1(VALU_DEP_1)
	v_fma_f64 v[14:15], -v[14:15], v[30:31], v[32:33]
	v_div_fmas_f64 v[30:31], v[14:15], v[16:17], v[30:31]
	v_mov_b32_e32 v14, s35
	ds_load_b64 v[32:33], v14
	v_mov_b32_e32 v14, s30
	s_lshl_b32 s30, s33, 3
	s_delay_alu instid0(SALU_CYCLE_1)
	s_add_co_i32 s29, s30, s29
	s_add_co_i32 s31, s30, s34
	ds_load_2addr_b64 v[14:17], v14 offset1:1
	s_add_co_i32 s31, s31, -8
	s_wait_dscnt 0x1
	v_dual_fma_f64 v[2:3], -v[34:35], v[32:33], v[2:3] :: v_dual_mov_b32 v25, s31
	v_div_fixup_f64 v[36:37], v[30:31], v[26:27], v[28:29]
	s_wait_dscnt 0x0
	s_delay_alu instid0(VALU_DEP_1) | instskip(NEXT) | instid1(VALU_DEP_1)
	v_fma_f64 v[2:3], -v[36:37], v[16:17], v[2:3]
	v_div_scale_f64 v[16:17], null, v[14:15], v[14:15], v[2:3]
	v_div_scale_f64 v[28:29], vcc_lo, v[2:3], v[14:15], v[2:3]
	s_delay_alu instid0(VALU_DEP_2) | instskip(SKIP_1) | instid1(TRANS32_DEP_1)
	v_rcp_f64_e32 v[38:39], v[16:17]
	v_nop
	v_fma_f64 v[26:27], -v[16:17], v[38:39], 1.0
	s_delay_alu instid0(VALU_DEP_1) | instskip(NEXT) | instid1(VALU_DEP_1)
	v_fmac_f64_e32 v[38:39], v[38:39], v[26:27]
	v_fma_f64 v[26:27], -v[16:17], v[38:39], 1.0
	s_delay_alu instid0(VALU_DEP_1) | instskip(NEXT) | instid1(VALU_DEP_1)
	v_fmac_f64_e32 v[38:39], v[38:39], v[26:27]
	v_mul_f64_e32 v[40:41], v[28:29], v[38:39]
	s_delay_alu instid0(VALU_DEP_1)
	v_fma_f64 v[16:17], -v[16:17], v[40:41], v[28:29]
	ds_load_2addr_b64 v[26:29], v25 offset1:1
	v_mov_b32_e32 v25, s29
	s_add_co_i32 s29, s21, -4
	s_cmp_lt_i32 s21, 7
	ds_load_2addr_b64 v[30:33], v25 offset1:1
	s_wait_dscnt 0x1
	v_fma_f64 v[0:1], -v[34:35], v[28:29], v[0:1]
	v_div_fmas_f64 v[16:17], v[16:17], v[38:39], v[40:41]
	s_delay_alu instid0(VALU_DEP_2) | instskip(NEXT) | instid1(VALU_DEP_2)
	v_fma_f64 v[0:1], -v[36:37], v[26:27], v[0:1]
	v_div_fixup_f64 v[2:3], v[16:17], v[14:15], v[2:3]
	s_wait_dscnt 0x0
	s_delay_alu instid0(VALU_DEP_1) | instskip(NEXT) | instid1(VALU_DEP_1)
	v_fma_f64 v[0:1], -v[2:3], v[32:33], v[0:1]
	v_div_scale_f64 v[14:15], null, v[30:31], v[30:31], v[0:1]
	s_delay_alu instid0(VALU_DEP_1) | instskip(SKIP_1) | instid1(TRANS32_DEP_1)
	v_rcp_f64_e32 v[16:17], v[14:15]
	v_nop
	v_fma_f64 v[26:27], -v[14:15], v[16:17], 1.0
	s_delay_alu instid0(VALU_DEP_1) | instskip(NEXT) | instid1(VALU_DEP_1)
	v_fmac_f64_e32 v[16:17], v[16:17], v[26:27]
	v_fma_f64 v[26:27], -v[14:15], v[16:17], 1.0
	s_delay_alu instid0(VALU_DEP_1) | instskip(SKIP_1) | instid1(VALU_DEP_1)
	v_fmac_f64_e32 v[16:17], v[16:17], v[26:27]
	v_div_scale_f64 v[26:27], vcc_lo, v[0:1], v[30:31], v[0:1]
	v_mul_f64_e32 v[28:29], v[26:27], v[16:17]
	s_delay_alu instid0(VALU_DEP_1) | instskip(NEXT) | instid1(VALU_DEP_1)
	v_fma_f64 v[14:15], -v[14:15], v[28:29], v[26:27]
	v_div_fmas_f64 v[14:15], v[14:15], v[16:17], v[28:29]
	s_delay_alu instid0(VALU_DEP_1)
	v_div_fixup_f64 v[0:1], v[14:15], v[30:31], v[0:1]
	ds_store_b64 v21, v[34:35]
	ds_store_b64 v22, v[36:37]
	;; [unrolled: 1-line block ×4, first 2 shown]
	s_cbranch_scc1 .LBB86_53
; %bb.52:                               ;   in Loop: Header=BB86_48 Depth=2
	s_mov_b32 s21, s29
	s_branch .LBB86_48
.LBB86_53:                              ;   in Loop: Header=BB86_3 Depth=1
	s_cmp_lt_i32 s29, 0
	s_cbranch_scc1 .LBB86_66
; %bb.54:                               ;   in Loop: Header=BB86_3 Depth=1
	s_bitcmp1_b32 s29, 0
	s_cselect_b32 s20, -1, 0
	s_delay_alu instid0(SALU_CYCLE_1)
	s_and_b32 vcc_lo, exec_lo, s20
	s_mov_b32 s20, s29
	s_cbranch_vccnz .LBB86_59
; %bb.55:                               ;   in Loop: Header=BB86_3 Depth=1
	v_lshl_add_u32 v2, s29, 7, v18
	s_cmp_le_i32 s27, s29
	ds_load_b64 v[0:1], v2
	s_cbranch_scc1 .LBB86_58
; %bb.56:                               ;   in Loop: Header=BB86_3 Depth=1
	v_mov_b32_e32 v3, v5
	s_lshl_b32 s20, s29, 7
	s_mov_b32 s21, s27
	s_add_co_i32 s20, s18, s20
.LBB86_57:                              ;   Parent Loop BB86_3 Depth=1
                                        ; =>  This Inner Loop Header: Depth=2
	s_delay_alu instid0(SALU_CYCLE_1)
	v_mov_b32_e32 v16, s20
	s_add_co_i32 s21, s21, -1
	s_add_co_i32 s20, s20, -8
	s_cmp_gt_u32 s21, s29
	ds_load_b64 v[14:15], v3
	ds_load_b64 v[16:17], v16
	v_add_nc_u32_e32 v3, 0xffffff80, v3
	s_wait_dscnt 0x0
	v_fma_f64 v[0:1], -v[14:15], v[16:17], v[0:1]
	s_cbranch_scc1 .LBB86_57
.LBB86_58:                              ;   in Loop: Header=BB86_3 Depth=1
	s_mul_i32 s20, s29, 0x88
	s_delay_alu instid0(SALU_CYCLE_1) | instskip(SKIP_4) | instid1(VALU_DEP_1)
	v_mov_b32_e32 v3, s20
	s_add_co_i32 s20, s29, -1
	ds_load_b64 v[14:15], v3
	s_wait_dscnt 0x0
	v_div_scale_f64 v[16:17], null, v[14:15], v[14:15], v[0:1]
	v_rcp_f64_e32 v[22:23], v[16:17]
	v_nop
	s_delay_alu instid0(TRANS32_DEP_1) | instskip(NEXT) | instid1(VALU_DEP_1)
	v_fma_f64 v[24:25], -v[16:17], v[22:23], 1.0
	v_fmac_f64_e32 v[22:23], v[22:23], v[24:25]
	s_delay_alu instid0(VALU_DEP_1) | instskip(NEXT) | instid1(VALU_DEP_1)
	v_fma_f64 v[24:25], -v[16:17], v[22:23], 1.0
	v_fmac_f64_e32 v[22:23], v[22:23], v[24:25]
	v_div_scale_f64 v[24:25], vcc_lo, v[0:1], v[14:15], v[0:1]
	s_delay_alu instid0(VALU_DEP_1) | instskip(NEXT) | instid1(VALU_DEP_1)
	v_mul_f64_e32 v[26:27], v[24:25], v[22:23]
	v_fma_f64 v[16:17], -v[16:17], v[26:27], v[24:25]
	s_delay_alu instid0(VALU_DEP_1) | instskip(NEXT) | instid1(VALU_DEP_1)
	v_div_fmas_f64 v[16:17], v[16:17], v[22:23], v[26:27]
	v_div_fixup_f64 v[0:1], v[16:17], v[14:15], v[0:1]
	ds_store_b64 v2, v[0:1]
.LBB86_59:                              ;   in Loop: Header=BB86_3 Depth=1
	s_cmp_eq_u32 s29, 0
	s_cbranch_scc1 .LBB86_66
; %bb.60:                               ;   in Loop: Header=BB86_3 Depth=1
	s_lshl_b32 s29, s20, 7
	s_delay_alu instid0(SALU_CYCLE_1)
	s_add_co_i32 s21, s18, s29
	s_add_co_i32 s29, s19, s29
	s_branch .LBB86_62
.LBB86_61:                              ;   in Loop: Header=BB86_62 Depth=2
	s_addk_co_i32 s31, 0xff78
	s_add_co_i32 s20, s20, -2
	v_mov_b32_e32 v0, s31
	s_addk_co_i32 s21, 0xff00
	s_addk_co_i32 s29, 0xff00
	s_cmp_eq_u32 s30, 0
	ds_load_b64 v[0:1], v0
	s_wait_dscnt 0x0
	v_div_scale_f64 v[16:17], null, v[0:1], v[0:1], v[2:3]
	s_delay_alu instid0(VALU_DEP_1) | instskip(SKIP_1) | instid1(TRANS32_DEP_1)
	v_rcp_f64_e32 v[22:23], v[16:17]
	v_nop
	v_fma_f64 v[24:25], -v[16:17], v[22:23], 1.0
	s_delay_alu instid0(VALU_DEP_1) | instskip(NEXT) | instid1(VALU_DEP_1)
	v_fmac_f64_e32 v[22:23], v[22:23], v[24:25]
	v_fma_f64 v[24:25], -v[16:17], v[22:23], 1.0
	s_delay_alu instid0(VALU_DEP_1) | instskip(SKIP_1) | instid1(VALU_DEP_1)
	v_fmac_f64_e32 v[22:23], v[22:23], v[24:25]
	v_div_scale_f64 v[24:25], vcc_lo, v[2:3], v[0:1], v[2:3]
	v_mul_f64_e32 v[26:27], v[24:25], v[22:23]
	s_delay_alu instid0(VALU_DEP_1) | instskip(NEXT) | instid1(VALU_DEP_1)
	v_fma_f64 v[16:17], -v[16:17], v[26:27], v[24:25]
	v_div_fmas_f64 v[16:17], v[16:17], v[22:23], v[26:27]
	s_delay_alu instid0(VALU_DEP_1)
	v_div_fixup_f64 v[0:1], v[16:17], v[0:1], v[2:3]
	ds_store_b64 v15, v[0:1]
	s_cbranch_scc1 .LBB86_66
.LBB86_62:                              ;   Parent Loop BB86_3 Depth=1
                                        ; =>  This Loop Header: Depth=2
                                        ;       Child Loop BB86_63 Depth 3
                                        ;       Child Loop BB86_65 Depth 3
	v_lshl_add_u32 v14, s20, 7, v18
	v_mov_b32_e32 v2, v5
	s_cmp_le_i32 s27, s20
	s_mov_b32 s30, s21
	s_mov_b32 s31, s27
	ds_load_b64 v[0:1], v14
	s_cbranch_scc1 .LBB86_64
.LBB86_63:                              ;   Parent Loop BB86_3 Depth=1
                                        ;     Parent Loop BB86_62 Depth=2
                                        ; =>    This Inner Loop Header: Depth=3
	v_mov_b32_e32 v3, s30
	s_add_co_i32 s31, s31, -1
	s_add_co_i32 s30, s30, -8
	s_cmp_le_u32 s31, s20
	ds_load_b64 v[16:17], v2
	ds_load_b64 v[22:23], v3
	v_add_nc_u32_e32 v2, 0xffffff80, v2
	s_wait_dscnt 0x0
	v_fma_f64 v[0:1], -v[16:17], v[22:23], v[0:1]
	s_cbranch_scc0 .LBB86_63
.LBB86_64:                              ;   in Loop: Header=BB86_62 Depth=2
	s_mul_i32 s31, s20, 0x88
	s_add_co_i32 s30, s20, -1
	v_mov_b32_e32 v2, s31
	v_lshl_add_u32 v15, s30, 7, v18
	s_cmp_le_i32 s26, s20
	s_mov_b32 s33, s29
	s_mov_b32 s34, s27
	ds_load_b64 v[16:17], v2
	ds_load_b64 v[2:3], v15
	s_wait_dscnt 0x1
	v_div_scale_f64 v[22:23], null, v[16:17], v[16:17], v[0:1]
	s_delay_alu instid0(VALU_DEP_1) | instskip(SKIP_1) | instid1(TRANS32_DEP_1)
	v_rcp_f64_e32 v[24:25], v[22:23]
	v_nop
	v_fma_f64 v[26:27], -v[22:23], v[24:25], 1.0
	s_delay_alu instid0(VALU_DEP_1) | instskip(NEXT) | instid1(VALU_DEP_1)
	v_fmac_f64_e32 v[24:25], v[24:25], v[26:27]
	v_fma_f64 v[26:27], -v[22:23], v[24:25], 1.0
	s_delay_alu instid0(VALU_DEP_1) | instskip(SKIP_1) | instid1(VALU_DEP_1)
	v_fmac_f64_e32 v[24:25], v[24:25], v[26:27]
	v_div_scale_f64 v[26:27], vcc_lo, v[0:1], v[16:17], v[0:1]
	v_mul_f64_e32 v[28:29], v[26:27], v[24:25]
	s_delay_alu instid0(VALU_DEP_1) | instskip(NEXT) | instid1(VALU_DEP_1)
	v_fma_f64 v[22:23], -v[22:23], v[28:29], v[26:27]
	v_div_fmas_f64 v[22:23], v[22:23], v[24:25], v[28:29]
	s_delay_alu instid0(VALU_DEP_1)
	v_div_fixup_f64 v[16:17], v[22:23], v[16:17], v[0:1]
	v_mov_b32_e32 v0, v5
	ds_store_b64 v14, v[16:17]
	s_cbranch_scc1 .LBB86_61
.LBB86_65:                              ;   Parent Loop BB86_3 Depth=1
                                        ;     Parent Loop BB86_62 Depth=2
                                        ; =>    This Inner Loop Header: Depth=3
	v_mov_b32_e32 v1, s33
	s_add_co_i32 s34, s34, -1
	s_add_co_i32 s33, s33, -8
	s_cmp_gt_u32 s34, s30
	ds_load_b64 v[16:17], v0
	ds_load_b64 v[22:23], v1
	v_add_nc_u32_e32 v0, 0xffffff80, v0
	s_wait_dscnt 0x0
	v_fma_f64 v[2:3], -v[16:17], v[22:23], v[2:3]
	s_cbranch_scc1 .LBB86_65
	s_branch .LBB86_61
.LBB86_66:                              ;   in Loop: Header=BB86_3 Depth=1
	s_mov_b32 s20, 0
.LBB86_67:                              ;   in Loop: Header=BB86_3 Depth=1
	s_delay_alu instid0(SALU_CYCLE_1)
	s_and_not1_b32 vcc_lo, exec_lo, s20
	s_cbranch_vccnz .LBB86_79
; %bb.68:                               ;   in Loop: Header=BB86_3 Depth=1
	s_and_not1_b32 vcc_lo, exec_lo, s22
	s_mov_b32 s29, 0
	s_cbranch_vccnz .LBB86_74
; %bb.69:                               ;   in Loop: Header=BB86_3 Depth=1
	s_mov_b32 s20, 0
	s_mov_b32 s21, 0
.LBB86_70:                              ;   Parent Loop BB86_3 Depth=1
                                        ; =>  This Loop Header: Depth=2
                                        ;       Child Loop BB86_71 Depth 3
	s_delay_alu instid0(SALU_CYCLE_1)
	s_or_b32 s31, s21, 1
	v_lshl_add_u32 v21, s21, 7, v18
	s_or_b32 s29, s21, 2
	s_or_b32 s30, s21, 3
	v_lshl_add_u32 v22, s31, 7, v18
	v_lshl_add_u32 v23, s29, 7, v18
	;; [unrolled: 1-line block ×3, first 2 shown]
	ds_load_b64 v[16:17], v21
	ds_load_b64 v[14:15], v22
	;; [unrolled: 1-line block ×4, first 2 shown]
	v_mov_b32_e32 v25, v18
	s_cmp_eq_u32 s21, 0
	s_mov_b32 s33, s20
	s_mov_b32 s34, s21
	s_cbranch_scc1 .LBB86_72
.LBB86_71:                              ;   Parent Loop BB86_3 Depth=1
                                        ;     Parent Loop BB86_70 Depth=2
                                        ; =>    This Inner Loop Header: Depth=3
	v_mov_b32_e32 v30, s33
	s_add_co_i32 s34, s34, -1
	s_add_co_i32 s33, s33, 8
	s_cmp_eq_u32 s34, 0
	ds_load_b64 v[34:35], v25
	ds_load_2addr_b64 v[26:29], v30 offset1:16
	ds_load_2addr_b64 v[30:33], v30 offset0:32 offset1:48
	v_add_nc_u32_e32 v25, 0x80, v25
	s_wait_dscnt 0x1
	v_fma_f64 v[16:17], -v[34:35], v[26:27], v[16:17]
	v_fma_f64 v[14:15], -v[34:35], v[28:29], v[14:15]
	s_wait_dscnt 0x0
	v_fma_f64 v[2:3], -v[34:35], v[30:31], v[2:3]
	v_fma_f64 v[0:1], -v[34:35], v[32:33], v[0:1]
	s_cbranch_scc0 .LBB86_71
.LBB86_72:                              ;   in Loop: Header=BB86_70 Depth=2
	s_mul_i32 s34, s21, 0x88
	s_lshl_b32 s33, s31, 4
	v_mov_b32_e32 v25, s34
	s_lshl_b32 s33, s33, 3
	s_lshl_b32 s34, s21, 3
	;; [unrolled: 1-line block ×3, first 2 shown]
	s_add_co_i32 s33, s33, s34
	ds_load_b64 v[30:31], v25
	s_lshl_b32 s31, s31, 3
	s_lshl_b32 s29, s29, 3
	;; [unrolled: 1-line block ×3, first 2 shown]
	s_add_co_i32 s29, s31, s29
	s_addk_co_i32 s20, 0x200
	s_wait_dscnt 0x0
	v_div_scale_f64 v[32:33], null, v[30:31], v[30:31], v[16:17]
	v_div_scale_f64 v[38:39], vcc_lo, v[16:17], v[30:31], v[16:17]
	s_delay_alu instid0(VALU_DEP_2) | instskip(SKIP_1) | instid1(TRANS32_DEP_1)
	v_rcp_f64_e32 v[34:35], v[32:33]
	v_nop
	v_fma_f64 v[36:37], -v[32:33], v[34:35], 1.0
	s_delay_alu instid0(VALU_DEP_1) | instskip(NEXT) | instid1(VALU_DEP_1)
	v_fmac_f64_e32 v[34:35], v[34:35], v[36:37]
	v_fma_f64 v[36:37], -v[32:33], v[34:35], 1.0
	s_delay_alu instid0(VALU_DEP_1) | instskip(NEXT) | instid1(VALU_DEP_1)
	v_fmac_f64_e32 v[34:35], v[34:35], v[36:37]
	v_dual_mul_f64 v[36:37], v[38:39], v[34:35] :: v_dual_mov_b32 v25, s33
	s_add_co_i32 s33, s31, s34
	s_delay_alu instid0(VALU_DEP_1) | instskip(SKIP_3) | instid1(SALU_CYCLE_1)
	v_fma_f64 v[32:33], -v[32:33], v[36:37], v[38:39]
	ds_load_b128 v[26:29], v25
	v_mov_b32_e32 v25, s29
	s_lshl_b32 s29, s30, 3
	s_add_co_i32 s29, s29, s34
	v_div_fmas_f64 v[32:33], v[32:33], v[34:35], v[36:37]
	s_delay_alu instid0(VALU_DEP_1) | instskip(SKIP_1) | instid1(VALU_DEP_1)
	v_div_fixup_f64 v[30:31], v[32:33], v[30:31], v[16:17]
	s_wait_dscnt 0x0
	v_fma_f64 v[26:27], -v[30:31], v[26:27], v[14:15]
	s_delay_alu instid0(VALU_DEP_1) | instskip(SKIP_1) | instid1(VALU_DEP_2)
	v_div_scale_f64 v[14:15], null, v[28:29], v[28:29], v[26:27]
	v_div_scale_f64 v[34:35], vcc_lo, v[26:27], v[28:29], v[26:27]
	v_rcp_f64_e32 v[16:17], v[14:15]
	v_nop
	s_delay_alu instid0(TRANS32_DEP_1) | instskip(NEXT) | instid1(VALU_DEP_1)
	v_fma_f64 v[32:33], -v[14:15], v[16:17], 1.0
	v_fmac_f64_e32 v[16:17], v[16:17], v[32:33]
	s_delay_alu instid0(VALU_DEP_1) | instskip(NEXT) | instid1(VALU_DEP_1)
	v_fma_f64 v[32:33], -v[14:15], v[16:17], 1.0
	v_fmac_f64_e32 v[16:17], v[16:17], v[32:33]
	s_delay_alu instid0(VALU_DEP_1) | instskip(NEXT) | instid1(VALU_DEP_1)
	v_mul_f64_e32 v[32:33], v[34:35], v[16:17]
	v_fma_f64 v[14:15], -v[14:15], v[32:33], v[34:35]
	ds_load_b64 v[34:35], v25
	v_mov_b32_e32 v25, s29
	s_add_co_i32 s29, s21, 4
	s_add_co_i32 s21, s21, 7
	s_delay_alu instid0(SALU_CYCLE_1)
	s_cmp_ge_i32 s21, s26
	v_div_fmas_f64 v[32:33], v[14:15], v[16:17], v[32:33]
	v_mov_b32_e32 v14, s33
	ds_load_b128 v[14:17], v14
	s_wait_dscnt 0x0
	v_fma_f64 v[2:3], -v[30:31], v[14:15], v[2:3]
	v_div_fixup_f64 v[32:33], v[32:33], v[28:29], v[26:27]
	s_delay_alu instid0(VALU_DEP_1) | instskip(NEXT) | instid1(VALU_DEP_1)
	v_fma_f64 v[2:3], -v[32:33], v[16:17], v[2:3]
	v_div_scale_f64 v[14:15], null, v[34:35], v[34:35], v[2:3]
	v_div_scale_f64 v[26:27], vcc_lo, v[2:3], v[34:35], v[2:3]
	s_delay_alu instid0(VALU_DEP_2) | instskip(SKIP_1) | instid1(TRANS32_DEP_1)
	v_rcp_f64_e32 v[36:37], v[14:15]
	v_nop
	v_fma_f64 v[16:17], -v[14:15], v[36:37], 1.0
	s_delay_alu instid0(VALU_DEP_1) | instskip(NEXT) | instid1(VALU_DEP_1)
	v_fmac_f64_e32 v[36:37], v[36:37], v[16:17]
	v_fma_f64 v[16:17], -v[14:15], v[36:37], 1.0
	s_delay_alu instid0(VALU_DEP_1) | instskip(NEXT) | instid1(VALU_DEP_1)
	v_fmac_f64_e32 v[36:37], v[36:37], v[16:17]
	v_mul_f64_e32 v[38:39], v[26:27], v[36:37]
	s_delay_alu instid0(VALU_DEP_1)
	v_fma_f64 v[40:41], -v[14:15], v[38:39], v[26:27]
	ds_load_b128 v[14:17], v25
	ds_load_b128 v[26:29], v25 offset:16
	s_wait_dscnt 0x1
	v_fma_f64 v[0:1], -v[30:31], v[14:15], v[0:1]
	v_div_fmas_f64 v[14:15], v[40:41], v[36:37], v[38:39]
	s_delay_alu instid0(VALU_DEP_2) | instskip(NEXT) | instid1(VALU_DEP_2)
	v_fma_f64 v[0:1], -v[32:33], v[16:17], v[0:1]
	v_div_fixup_f64 v[2:3], v[14:15], v[34:35], v[2:3]
	s_wait_dscnt 0x0
	s_delay_alu instid0(VALU_DEP_1) | instskip(NEXT) | instid1(VALU_DEP_1)
	v_fma_f64 v[0:1], -v[2:3], v[26:27], v[0:1]
	v_div_scale_f64 v[14:15], null, v[28:29], v[28:29], v[0:1]
	s_delay_alu instid0(VALU_DEP_1) | instskip(SKIP_1) | instid1(TRANS32_DEP_1)
	v_rcp_f64_e32 v[16:17], v[14:15]
	v_nop
	v_fma_f64 v[26:27], -v[14:15], v[16:17], 1.0
	s_delay_alu instid0(VALU_DEP_1) | instskip(NEXT) | instid1(VALU_DEP_1)
	v_fmac_f64_e32 v[16:17], v[16:17], v[26:27]
	v_fma_f64 v[26:27], -v[14:15], v[16:17], 1.0
	s_delay_alu instid0(VALU_DEP_1) | instskip(SKIP_1) | instid1(VALU_DEP_1)
	v_fmac_f64_e32 v[16:17], v[16:17], v[26:27]
	v_div_scale_f64 v[26:27], vcc_lo, v[0:1], v[28:29], v[0:1]
	v_mul_f64_e32 v[34:35], v[26:27], v[16:17]
	s_delay_alu instid0(VALU_DEP_1) | instskip(NEXT) | instid1(VALU_DEP_1)
	v_fma_f64 v[14:15], -v[14:15], v[34:35], v[26:27]
	v_div_fmas_f64 v[14:15], v[14:15], v[16:17], v[34:35]
	s_delay_alu instid0(VALU_DEP_1)
	v_div_fixup_f64 v[0:1], v[14:15], v[28:29], v[0:1]
	ds_store_b64 v21, v[30:31]
	ds_store_b64 v22, v[32:33]
	;; [unrolled: 1-line block ×4, first 2 shown]
	s_cbranch_scc1 .LBB86_74
; %bb.73:                               ;   in Loop: Header=BB86_70 Depth=2
	s_mov_b32 s21, s29
	s_branch .LBB86_70
.LBB86_74:                              ;   in Loop: Header=BB86_3 Depth=1
	s_cmp_ge_i32 s29, s26
	s_cbranch_scc1 .LBB86_79
; %bb.75:                               ;   in Loop: Header=BB86_3 Depth=1
	s_lshl_b32 s20, s29, 7
	s_branch .LBB86_77
.LBB86_76:                              ;   in Loop: Header=BB86_77 Depth=2
	s_mul_i32 s21, s29, 0x88
	s_add_co_i32 s29, s29, 1
	v_mov_b32_e32 v3, s21
	s_addk_co_i32 s20, 0x80
	s_cmp_ge_i32 s29, s26
	ds_load_b64 v[14:15], v3
	s_wait_dscnt 0x0
	v_div_scale_f64 v[16:17], null, v[14:15], v[14:15], v[0:1]
	s_delay_alu instid0(VALU_DEP_1) | instskip(SKIP_1) | instid1(TRANS32_DEP_1)
	v_rcp_f64_e32 v[22:23], v[16:17]
	v_nop
	v_fma_f64 v[24:25], -v[16:17], v[22:23], 1.0
	s_delay_alu instid0(VALU_DEP_1) | instskip(NEXT) | instid1(VALU_DEP_1)
	v_fmac_f64_e32 v[22:23], v[22:23], v[24:25]
	v_fma_f64 v[24:25], -v[16:17], v[22:23], 1.0
	s_delay_alu instid0(VALU_DEP_1) | instskip(SKIP_1) | instid1(VALU_DEP_1)
	v_fmac_f64_e32 v[22:23], v[22:23], v[24:25]
	v_div_scale_f64 v[24:25], vcc_lo, v[0:1], v[14:15], v[0:1]
	v_mul_f64_e32 v[26:27], v[24:25], v[22:23]
	s_delay_alu instid0(VALU_DEP_1) | instskip(NEXT) | instid1(VALU_DEP_1)
	v_fma_f64 v[16:17], -v[16:17], v[26:27], v[24:25]
	v_div_fmas_f64 v[16:17], v[16:17], v[22:23], v[26:27]
	s_delay_alu instid0(VALU_DEP_1)
	v_div_fixup_f64 v[0:1], v[16:17], v[14:15], v[0:1]
	ds_store_b64 v2, v[0:1]
	s_cbranch_scc1 .LBB86_79
.LBB86_77:                              ;   Parent Loop BB86_3 Depth=1
                                        ; =>  This Loop Header: Depth=2
                                        ;       Child Loop BB86_78 Depth 3
	v_lshl_add_u32 v2, s29, 7, v18
	v_mov_b32_e32 v3, v18
	s_cmp_eq_u32 s29, 0
	s_mov_b32 s21, s20
	s_mov_b32 s30, s29
	ds_load_b64 v[0:1], v2
	s_cbranch_scc1 .LBB86_76
.LBB86_78:                              ;   Parent Loop BB86_3 Depth=1
                                        ;     Parent Loop BB86_77 Depth=2
                                        ; =>    This Inner Loop Header: Depth=3
	v_mov_b32_e32 v16, s21
	s_add_co_i32 s30, s30, -1
	s_add_co_i32 s21, s21, 8
	s_cmp_eq_u32 s30, 0
	ds_load_b64 v[14:15], v3
	ds_load_b64 v[16:17], v16
	v_add_nc_u32_e32 v3, 0x80, v3
	s_wait_dscnt 0x0
	v_fma_f64 v[0:1], -v[14:15], v[16:17], v[0:1]
	s_cbranch_scc0 .LBB86_78
	s_branch .LBB86_76
.LBB86_79:                              ;   in Loop: Header=BB86_3 Depth=1
	s_and_saveexec_b32 s20, s28
	s_cbranch_execz .LBB86_2
; %bb.80:                               ;   in Loop: Header=BB86_3 Depth=1
	v_mov_b32_e32 v0, v18
	s_mov_b32 s21, s25
.LBB86_81:                              ;   Parent Loop BB86_3 Depth=1
                                        ; =>  This Inner Loop Header: Depth=2
	ds_load_b64 v[2:3], v0
	v_add_nc_u32_e32 v0, 0x80, v0
	s_add_co_i32 s21, s21, -1
	s_delay_alu instid0(SALU_CYCLE_1)
	s_cmp_lg_u32 s21, 0
	s_wait_dscnt 0x0
	global_store_b64 v[12:13], v[2:3], off
	s_wait_xcnt 0x0
	v_add_nc_u64_e32 v[12:13], s[6:7], v[12:13]
	s_cbranch_scc1 .LBB86_81
	s_branch .LBB86_2
.LBB86_82:
	s_endpgm
	.section	.rodata,"a",@progbits
	.p2align	6, 0x0
	.amdhsa_kernel _ZL31rocblas_trsm_small_right_deviceIddPKdPdLi16EEv13rocblas_fill_18rocblas_operation_17rocblas_diagonal_iiT0_T1_lilT2_lili
		.amdhsa_group_segment_fixed_size 4096
		.amdhsa_private_segment_fixed_size 0
		.amdhsa_kernarg_size 360
		.amdhsa_user_sgpr_count 2
		.amdhsa_user_sgpr_dispatch_ptr 0
		.amdhsa_user_sgpr_queue_ptr 0
		.amdhsa_user_sgpr_kernarg_segment_ptr 1
		.amdhsa_user_sgpr_dispatch_id 0
		.amdhsa_user_sgpr_kernarg_preload_length 0
		.amdhsa_user_sgpr_kernarg_preload_offset 0
		.amdhsa_user_sgpr_private_segment_size 0
		.amdhsa_wavefront_size32 1
		.amdhsa_uses_dynamic_stack 0
		.amdhsa_enable_private_segment 0
		.amdhsa_system_sgpr_workgroup_id_x 1
		.amdhsa_system_sgpr_workgroup_id_y 0
		.amdhsa_system_sgpr_workgroup_id_z 1
		.amdhsa_system_sgpr_workgroup_info 0
		.amdhsa_system_vgpr_workitem_id 0
		.amdhsa_next_free_vgpr 46
		.amdhsa_next_free_sgpr 38
		.amdhsa_named_barrier_count 0
		.amdhsa_reserve_vcc 1
		.amdhsa_float_round_mode_32 0
		.amdhsa_float_round_mode_16_64 0
		.amdhsa_float_denorm_mode_32 3
		.amdhsa_float_denorm_mode_16_64 3
		.amdhsa_fp16_overflow 0
		.amdhsa_memory_ordered 1
		.amdhsa_forward_progress 1
		.amdhsa_inst_pref_size 50
		.amdhsa_round_robin_scheduling 0
		.amdhsa_exception_fp_ieee_invalid_op 0
		.amdhsa_exception_fp_denorm_src 0
		.amdhsa_exception_fp_ieee_div_zero 0
		.amdhsa_exception_fp_ieee_overflow 0
		.amdhsa_exception_fp_ieee_underflow 0
		.amdhsa_exception_fp_ieee_inexact 0
		.amdhsa_exception_int_div_zero 0
	.end_amdhsa_kernel
	.section	.text._ZL31rocblas_trsm_small_right_deviceIddPKdPdLi16EEv13rocblas_fill_18rocblas_operation_17rocblas_diagonal_iiT0_T1_lilT2_lili,"axG",@progbits,_ZL31rocblas_trsm_small_right_deviceIddPKdPdLi16EEv13rocblas_fill_18rocblas_operation_17rocblas_diagonal_iiT0_T1_lilT2_lili,comdat
.Lfunc_end86:
	.size	_ZL31rocblas_trsm_small_right_deviceIddPKdPdLi16EEv13rocblas_fill_18rocblas_operation_17rocblas_diagonal_iiT0_T1_lilT2_lili, .Lfunc_end86-_ZL31rocblas_trsm_small_right_deviceIddPKdPdLi16EEv13rocblas_fill_18rocblas_operation_17rocblas_diagonal_iiT0_T1_lilT2_lili
                                        ; -- End function
	.set _ZL31rocblas_trsm_small_right_deviceIddPKdPdLi16EEv13rocblas_fill_18rocblas_operation_17rocblas_diagonal_iiT0_T1_lilT2_lili.num_vgpr, 46
	.set _ZL31rocblas_trsm_small_right_deviceIddPKdPdLi16EEv13rocblas_fill_18rocblas_operation_17rocblas_diagonal_iiT0_T1_lilT2_lili.num_agpr, 0
	.set _ZL31rocblas_trsm_small_right_deviceIddPKdPdLi16EEv13rocblas_fill_18rocblas_operation_17rocblas_diagonal_iiT0_T1_lilT2_lili.numbered_sgpr, 38
	.set _ZL31rocblas_trsm_small_right_deviceIddPKdPdLi16EEv13rocblas_fill_18rocblas_operation_17rocblas_diagonal_iiT0_T1_lilT2_lili.num_named_barrier, 0
	.set _ZL31rocblas_trsm_small_right_deviceIddPKdPdLi16EEv13rocblas_fill_18rocblas_operation_17rocblas_diagonal_iiT0_T1_lilT2_lili.private_seg_size, 0
	.set _ZL31rocblas_trsm_small_right_deviceIddPKdPdLi16EEv13rocblas_fill_18rocblas_operation_17rocblas_diagonal_iiT0_T1_lilT2_lili.uses_vcc, 1
	.set _ZL31rocblas_trsm_small_right_deviceIddPKdPdLi16EEv13rocblas_fill_18rocblas_operation_17rocblas_diagonal_iiT0_T1_lilT2_lili.uses_flat_scratch, 0
	.set _ZL31rocblas_trsm_small_right_deviceIddPKdPdLi16EEv13rocblas_fill_18rocblas_operation_17rocblas_diagonal_iiT0_T1_lilT2_lili.has_dyn_sized_stack, 0
	.set _ZL31rocblas_trsm_small_right_deviceIddPKdPdLi16EEv13rocblas_fill_18rocblas_operation_17rocblas_diagonal_iiT0_T1_lilT2_lili.has_recursion, 0
	.set _ZL31rocblas_trsm_small_right_deviceIddPKdPdLi16EEv13rocblas_fill_18rocblas_operation_17rocblas_diagonal_iiT0_T1_lilT2_lili.has_indirect_call, 0
	.section	.AMDGPU.csdata,"",@progbits
; Kernel info:
; codeLenInByte = 6348
; TotalNumSgprs: 40
; NumVgprs: 46
; ScratchSize: 0
; MemoryBound: 0
; FloatMode: 240
; IeeeMode: 1
; LDSByteSize: 4096 bytes/workgroup (compile time only)
; SGPRBlocks: 0
; VGPRBlocks: 2
; NumSGPRsForWavesPerEU: 40
; NumVGPRsForWavesPerEU: 46
; NamedBarCnt: 0
; Occupancy: 16
; WaveLimiterHint : 0
; COMPUTE_PGM_RSRC2:SCRATCH_EN: 0
; COMPUTE_PGM_RSRC2:USER_SGPR: 2
; COMPUTE_PGM_RSRC2:TRAP_HANDLER: 0
; COMPUTE_PGM_RSRC2:TGID_X_EN: 1
; COMPUTE_PGM_RSRC2:TGID_Y_EN: 0
; COMPUTE_PGM_RSRC2:TGID_Z_EN: 1
; COMPUTE_PGM_RSRC2:TIDIG_COMP_CNT: 0
	.section	.text._ZL38rocblas_trsm_small_left_device_sharedBILi20ELi20ELb0EddPKdPdEv13rocblas_fill_18rocblas_operation_17rocblas_diagonal_iiT3_T4_lilT5_lili,"axG",@progbits,_ZL38rocblas_trsm_small_left_device_sharedBILi20ELi20ELb0EddPKdPdEv13rocblas_fill_18rocblas_operation_17rocblas_diagonal_iiT3_T4_lilT5_lili,comdat
	.globl	_ZL38rocblas_trsm_small_left_device_sharedBILi20ELi20ELb0EddPKdPdEv13rocblas_fill_18rocblas_operation_17rocblas_diagonal_iiT3_T4_lilT5_lili ; -- Begin function _ZL38rocblas_trsm_small_left_device_sharedBILi20ELi20ELb0EddPKdPdEv13rocblas_fill_18rocblas_operation_17rocblas_diagonal_iiT3_T4_lilT5_lili
	.p2align	8
	.type	_ZL38rocblas_trsm_small_left_device_sharedBILi20ELi20ELb0EddPKdPdEv13rocblas_fill_18rocblas_operation_17rocblas_diagonal_iiT3_T4_lilT5_lili,@function
_ZL38rocblas_trsm_small_left_device_sharedBILi20ELi20ELb0EddPKdPdEv13rocblas_fill_18rocblas_operation_17rocblas_diagonal_iiT3_T4_lilT5_lili: ; @_ZL38rocblas_trsm_small_left_device_sharedBILi20ELi20ELb0EddPKdPdEv13rocblas_fill_18rocblas_operation_17rocblas_diagonal_iiT3_T4_lilT5_lili
; %bb.0:
	s_load_b32 s19, s[0:1], 0x60
	s_bfe_u32 s2, ttmp6, 0x40014
	s_lshr_b32 s3, ttmp7, 16
	s_add_co_i32 s2, s2, 1
	s_bfe_u32 s5, ttmp6, 0x40008
	s_mul_i32 s4, s3, s2
	s_getreg_b32 s2, hwreg(HW_REG_IB_STS2, 6, 4)
	s_add_co_i32 s5, s5, s4
	s_cmp_eq_u32 s2, 0
	s_cselect_b32 s23, s3, s5
	s_wait_kmcnt 0x0
	s_cmp_ge_u32 s23, s19
	s_cbranch_scc1 .LBB87_57
; %bb.1:
	s_clause 0x4
	s_load_b96 s[16:18], s[0:1], 0x28
	s_load_b96 s[20:22], s[0:1], 0x48
	s_load_b128 s[12:15], s[0:1], 0x4
	s_load_b32 s3, s[0:1], 0x68
	s_load_b64 s[26:27], s[0:1], 0x58
	s_bfe_u32 s8, ttmp6, 0x4000c
	s_load_b128 s[4:7], s[0:1], 0x18
	s_add_co_i32 s8, s8, 1
	s_and_b32 s24, ttmp6, 15
	s_mul_i32 s25, ttmp9, s8
	s_load_b128 s[8:11], s[0:1], 0x38
	s_wait_xcnt 0x0
	s_add_co_i32 s0, s24, s25
	v_dual_mov_b32 v3, 0 :: v_dual_lshlrev_b32 v2, 3, v0
	s_delay_alu instid0(VALU_DEP_1)
	v_add_nc_u32_e32 v10, 0xc80, v2
	s_wait_kmcnt 0x0
	s_ashr_i32 s29, s18, 31
	s_ashr_i32 s25, s22, 31
	s_min_i32 s1, s14, 20
	s_add_co_i32 s3, s3, -1
	s_add_co_i32 s24, s1, -1
	s_cmp_eq_u32 s2, 0
	s_mov_b32 s28, s18
	s_cselect_b32 s0, ttmp9, s0
	s_delay_alu instid0(SALU_CYCLE_1) | instskip(NEXT) | instid1(SALU_CYCLE_1)
	s_mul_i32 s2, s0, 0xffffffec
	s_add_co_i32 s15, s15, s2
	s_cmp_ge_u32 s0, s3
	s_mul_i32 s2, s0, 20
	s_cselect_b32 s0, s15, 20
	s_ashr_i32 s3, s2, 31
	s_cmp_lg_u32 s13, 0x84
	v_lshl_add_u64 v[6:7], s[2:3], 3, v[2:3]
	s_cselect_b32 s13, -1, 0
	s_cmp_gt_i32 s14, 0
	v_cmp_gt_i32_e32 vcc_lo, s0, v0
	s_cselect_b32 s14, -1, 0
	s_cmp_lg_u32 s12, 0x6f
	v_cmp_gt_i32_e64 s0, s1, v0
	s_cselect_b32 s12, -1, 0
	s_lshl_b64 s[2:3], s[20:21], 3
	s_mul_i32 s15, s1, 0xa0
	s_add_nc_u64 s[2:3], s[10:11], s[2:3]
	s_and_b32 s14, vcc_lo, s14
	v_mad_nc_u64_u32 v[4:5], v6, s22, s[2:3]
	s_lshl_b64 s[2:3], s[16:17], 3
	s_lshl_b64 s[10:11], s[26:27], 3
	s_add_nc_u64 s[2:3], s[6:7], s[2:3]
	s_lshl_b64 s[6:7], s[28:29], 3
	s_addk_co_i32 s15, 0xff60
	s_delay_alu instid0(VALU_DEP_1) | instskip(SKIP_1) | instid1(VALU_DEP_2)
	v_mad_u32 v1, v7, s22, v5
	v_mul_u32_u24_e32 v7, 0xa0, v0
	v_mad_u32 v5, v6, s25, v1
	v_add_nc_u64_e32 v[0:1], s[2:3], v[2:3]
	s_delay_alu instid0(VALU_DEP_3)
	v_add_nc_u32_e32 v3, v2, v7
	s_lshl_b64 s[2:3], s[8:9], 3
	s_get_pc_i64 s[8:9]
	s_add_nc_u64 s[8:9], s[8:9], __const._ZL38rocblas_trsm_small_left_device_sharedBILi20ELi20ELb0EddPKdPdEv13rocblas_fill_18rocblas_operation_17rocblas_diagonal_iiT3_T4_lilT5_lili.step_sizes@rel64+4
	s_branch .LBB87_3
.LBB87_2:                               ;   in Loop: Header=BB87_3 Depth=1
	s_or_b32 exec_lo, exec_lo, s16
	s_add_co_i32 s23, s23, 0x10000
	s_delay_alu instid0(SALU_CYCLE_1)
	s_cmp_lt_u32 s23, s19
	s_cbranch_scc0 .LBB87_57
.LBB87_3:                               ; =>This Loop Header: Depth=1
                                        ;     Child Loop BB87_5 Depth 2
                                        ;     Child Loop BB87_11 Depth 2
	;; [unrolled: 1-line block ×3, first 2 shown]
                                        ;       Child Loop BB87_18 Depth 3
                                        ;         Child Loop BB87_19 Depth 4
                                        ;         Child Loop BB87_22 Depth 4
                                        ;           Child Loop BB87_23 Depth 5
                                        ;         Child Loop BB87_27 Depth 4
                                        ;           Child Loop BB87_29 Depth 5
                                        ;     Child Loop BB87_37 Depth 2
                                        ;       Child Loop BB87_40 Depth 3
                                        ;         Child Loop BB87_41 Depth 4
                                        ;         Child Loop BB87_43 Depth 4
                                        ;           Child Loop BB87_44 Depth 5
                                        ;         Child Loop BB87_48 Depth 4
                                        ;           Child Loop BB87_50 Depth 5
                                        ;     Child Loop BB87_56 Depth 2
	s_and_saveexec_b32 s16, s0
	s_cbranch_execz .LBB87_9
; %bb.4:                                ;   in Loop: Header=BB87_3 Depth=1
	v_mad_nc_u64_u32 v[6:7], s2, s23, v[0:1]
	v_mov_b32_e32 v8, v2
	s_mov_b32 s17, s1
	s_delay_alu instid0(VALU_DEP_2)
	v_mad_u32 v7, s3, s23, v7
.LBB87_5:                               ;   Parent Loop BB87_3 Depth=1
                                        ; =>  This Inner Loop Header: Depth=2
	global_load_b64 v[12:13], v[6:7], off
	s_wait_xcnt 0x0
	v_add_nc_u64_e32 v[6:7], s[6:7], v[6:7]
	s_add_co_i32 s17, s17, -1
	s_delay_alu instid0(SALU_CYCLE_1)
	s_cmp_eq_u32 s17, 0
	s_wait_loadcnt 0x0
	ds_store_b64 v8, v[12:13]
	v_add_nc_u32_e32 v8, 0xa0, v8
	s_cbranch_scc0 .LBB87_5
; %bb.6:                                ;   in Loop: Header=BB87_3 Depth=1
	v_mov_b64_e32 v[6:7], 1.0
	s_and_b32 vcc_lo, exec_lo, s13
	s_cbranch_vccz .LBB87_8
; %bb.7:                                ;   in Loop: Header=BB87_3 Depth=1
	ds_load_b64 v[6:7], v3
	s_wait_dscnt 0x0
	v_div_scale_f64 v[8:9], null, v[6:7], v[6:7], 1.0
	s_delay_alu instid0(VALU_DEP_1) | instskip(SKIP_1) | instid1(TRANS32_DEP_1)
	v_rcp_f64_e32 v[12:13], v[8:9]
	v_nop
	v_fma_f64 v[14:15], -v[8:9], v[12:13], 1.0
	s_delay_alu instid0(VALU_DEP_1) | instskip(NEXT) | instid1(VALU_DEP_1)
	v_fmac_f64_e32 v[12:13], v[12:13], v[14:15]
	v_fma_f64 v[14:15], -v[8:9], v[12:13], 1.0
	s_delay_alu instid0(VALU_DEP_1) | instskip(SKIP_1) | instid1(VALU_DEP_1)
	v_fmac_f64_e32 v[12:13], v[12:13], v[14:15]
	v_div_scale_f64 v[14:15], vcc_lo, 1.0, v[6:7], 1.0
	v_mul_f64_e32 v[16:17], v[14:15], v[12:13]
	s_delay_alu instid0(VALU_DEP_1) | instskip(NEXT) | instid1(VALU_DEP_1)
	v_fma_f64 v[8:9], -v[8:9], v[16:17], v[14:15]
	v_div_fmas_f64 v[8:9], v[8:9], v[12:13], v[16:17]
	s_delay_alu instid0(VALU_DEP_1)
	v_div_fixup_f64 v[6:7], v[8:9], v[6:7], 1.0
.LBB87_8:                               ;   in Loop: Header=BB87_3 Depth=1
	ds_store_b64 v3, v[6:7]
.LBB87_9:                               ;   in Loop: Header=BB87_3 Depth=1
	s_or_b32 exec_lo, exec_lo, s16
	s_delay_alu instid0(VALU_DEP_3) | instskip(NEXT) | instid1(VALU_DEP_1)
	v_mad_nc_u64_u32 v[6:7], s10, s23, v[4:5]
	v_mad_u32 v7, s11, s23, v7
	s_and_saveexec_b32 s16, s14
	s_cbranch_execz .LBB87_12
; %bb.10:                               ;   in Loop: Header=BB87_3 Depth=1
	s_delay_alu instid0(VALU_DEP_1)
	v_mov_b64_e32 v[8:9], v[6:7]
	v_mov_b32_e32 v11, v10
	s_mov_b32 s17, s1
.LBB87_11:                              ;   Parent Loop BB87_3 Depth=1
                                        ; =>  This Inner Loop Header: Depth=2
	global_load_b64 v[12:13], v[8:9], off
	s_wait_xcnt 0x0
	v_add_nc_u64_e32 v[8:9], 8, v[8:9]
	s_add_co_i32 s17, s17, -1
	s_delay_alu instid0(SALU_CYCLE_1)
	s_cmp_lg_u32 s17, 0
	s_wait_loadcnt 0x0
	v_mul_f64_e32 v[12:13], s[4:5], v[12:13]
	ds_store_b64 v11, v[12:13]
	v_add_nc_u32_e32 v11, 0xa0, v11
	s_cbranch_scc1 .LBB87_11
.LBB87_12:                              ;   in Loop: Header=BB87_3 Depth=1
	s_or_b32 exec_lo, exec_lo, s16
	s_delay_alu instid0(SALU_CYCLE_1)
	s_and_not1_b32 vcc_lo, exec_lo, s12
	s_mov_b32 s16, -1
	s_wait_dscnt 0x0
	; wave barrier
	s_cbranch_vccnz .LBB87_34
; %bb.13:                               ;   in Loop: Header=BB87_3 Depth=1
	s_mov_b32 s17, 0
	s_mov_b32 s16, 0
	s_branch .LBB87_15
.LBB87_14:                              ;   in Loop: Header=BB87_15 Depth=2
	s_cmp_lt_i32 s16, s1
	s_cselect_b32 s18, -1, 0
	s_add_co_i32 s20, s17, 1
	s_cmp_lt_u32 s17, 2
	s_wait_xcnt 0x0
	s_cselect_b32 s17, -1, 0
	s_delay_alu instid0(SALU_CYCLE_1) | instskip(NEXT) | instid1(SALU_CYCLE_1)
	s_and_b32 s17, s18, s17
	s_and_b32 vcc_lo, exec_lo, s17
	s_mov_b32 s17, s20
	s_cbranch_vccz .LBB87_33
.LBB87_15:                              ;   Parent Loop BB87_3 Depth=1
                                        ; =>  This Loop Header: Depth=2
                                        ;       Child Loop BB87_18 Depth 3
                                        ;         Child Loop BB87_19 Depth 4
                                        ;         Child Loop BB87_22 Depth 4
                                        ;           Child Loop BB87_23 Depth 5
                                        ;         Child Loop BB87_27 Depth 4
                                        ;           Child Loop BB87_29 Depth 5
	s_load_b32 s18, s[8:9], s17 offset:0x0 scale_offset
	s_wait_kmcnt 0x0
	s_add_co_i32 s20, s18, -1
	s_delay_alu instid0(SALU_CYCLE_1) | instskip(NEXT) | instid1(SALU_CYCLE_1)
	s_add_co_i32 s21, s20, s16
	s_cmp_ge_i32 s21, s1
	s_cbranch_scc1 .LBB87_14
; %bb.16:                               ;   in Loop: Header=BB87_15 Depth=2
	s_mul_i32 s21, s16, 0xa0
	s_max_i32 s22, s18, 1
	v_add_nc_u32_e32 v11, s21, v10
	s_mul_i32 s25, s18, 0xa0
	s_mul_i32 s26, s16, 0xa8
	;; [unrolled: 1-line block ×3, first 2 shown]
	s_branch .LBB87_18
.LBB87_17:                              ;   in Loop: Header=BB87_18 Depth=3
	s_add_co_i32 s16, s16, s18
	v_add_nc_u32_e32 v11, s25, v11
	s_add_co_i32 s28, s20, s16
	s_add_co_i32 s21, s21, s25
	;; [unrolled: 1-line block ×3, first 2 shown]
	s_cmp_ge_i32 s28, s1
	s_cbranch_scc1 .LBB87_14
.LBB87_18:                              ;   Parent Loop BB87_3 Depth=1
                                        ;     Parent Loop BB87_15 Depth=2
                                        ; =>    This Loop Header: Depth=3
                                        ;         Child Loop BB87_19 Depth 4
                                        ;         Child Loop BB87_22 Depth 4
                                        ;           Child Loop BB87_23 Depth 5
                                        ;         Child Loop BB87_27 Depth 4
                                        ;           Child Loop BB87_29 Depth 5
	s_wait_xcnt 0x0
	v_mov_b32_e32 v8, v11
	s_mov_b32 s28, 0
	s_mov_b32 s29, s22
.LBB87_19:                              ;   Parent Loop BB87_3 Depth=1
                                        ;     Parent Loop BB87_15 Depth=2
                                        ;       Parent Loop BB87_18 Depth=3
                                        ; =>      This Inner Loop Header: Depth=4
	ds_load_b64 v[12:13], v8
	v_add_nc_u32_e32 v8, 0xa0, v8
	s_add_co_i32 s29, s29, -1
	s_wait_dscnt 0x0
	scratch_store_b64 off, v[12:13], s28
	s_wait_xcnt 0x0
	s_add_co_i32 s28, s28, 8
	s_cmp_eq_u32 s29, 0
	s_cbranch_scc0 .LBB87_19
; %bb.20:                               ;   in Loop: Header=BB87_18 Depth=3
	s_cmp_lt_i32 s16, 1
	s_cbranch_scc1 .LBB87_25
; %bb.21:                               ;   in Loop: Header=BB87_18 Depth=3
	s_mov_b32 s28, 0
	s_mov_b32 s29, s21
.LBB87_22:                              ;   Parent Loop BB87_3 Depth=1
                                        ;     Parent Loop BB87_15 Depth=2
                                        ;       Parent Loop BB87_18 Depth=3
                                        ; =>      This Loop Header: Depth=4
                                        ;           Child Loop BB87_23 Depth 5
	v_mad_u32 v8, 0xa0, s28, v10
	s_mov_b32 s30, 0
	s_mov_b32 s31, s29
	;; [unrolled: 1-line block ×3, first 2 shown]
	ds_load_b64 v[8:9], v8
.LBB87_23:                              ;   Parent Loop BB87_3 Depth=1
                                        ;     Parent Loop BB87_15 Depth=2
                                        ;       Parent Loop BB87_18 Depth=3
                                        ;         Parent Loop BB87_22 Depth=4
                                        ; =>        This Inner Loop Header: Depth=5
	scratch_load_b64 v[12:13], off, s30
	v_mov_b32_e32 v14, s31
	s_add_co_i32 s33, s33, -1
	s_addk_co_i32 s31, 0xa0
	ds_load_b64 v[14:15], v14
	s_wait_loadcnt_dscnt 0x0
	v_fma_f64 v[12:13], -v[8:9], v[14:15], v[12:13]
	scratch_store_b64 off, v[12:13], s30
	s_wait_xcnt 0x0
	s_add_co_i32 s30, s30, 8
	s_cmp_eq_u32 s33, 0
	s_cbranch_scc0 .LBB87_23
; %bb.24:                               ;   in Loop: Header=BB87_22 Depth=4
	s_add_co_i32 s28, s28, 1
	s_add_co_i32 s29, s29, 8
	s_cmp_eq_u32 s28, s16
	s_cbranch_scc0 .LBB87_22
.LBB87_25:                              ;   in Loop: Header=BB87_18 Depth=3
	s_mul_i32 s28, s16, 0xa0
	s_mov_b32 s29, 0
	s_mov_b32 s30, s26
	s_branch .LBB87_27
.LBB87_26:                              ;   in Loop: Header=BB87_27 Depth=4
	s_wait_xcnt 0x0
	s_mulk_i32 s33, 0xa8
	s_addk_co_i32 s30, 0xa0
	v_mov_b32_e32 v12, s33
	s_lshl_b32 s33, s29, 3
	s_add_co_i32 s29, s29, 1
	s_delay_alu instid0(SALU_CYCLE_1)
	s_cmp_eq_u32 s29, s22
	ds_load_b64 v[12:13], v12
	s_wait_loadcnt_dscnt 0x0
	v_dual_mul_f64 v[8:9], v[12:13], v[8:9] :: v_dual_add_nc_u32 v12, s31, v10
	scratch_store_b64 off, v[8:9], s33
	ds_store_b64 v12, v[8:9]
	s_cbranch_scc1 .LBB87_17
.LBB87_27:                              ;   Parent Loop BB87_3 Depth=1
                                        ;     Parent Loop BB87_15 Depth=2
                                        ;       Parent Loop BB87_18 Depth=3
                                        ; =>      This Loop Header: Depth=4
                                        ;           Child Loop BB87_29 Depth 5
	s_cmp_lg_u32 s29, 0
	s_cbranch_scc0 .LBB87_31
; %bb.28:                               ;   in Loop: Header=BB87_27 Depth=4
	s_lshl_b32 s34, s29, 3
	s_wait_xcnt 0x0
	s_add_co_i32 s33, s29, s16
	scratch_load_b64 v[8:9], off, s34
	s_mul_i32 s31, s33, 0xa0
	s_mov_b32 s35, 0
	s_mov_b32 s36, s30
	;; [unrolled: 1-line block ×3, first 2 shown]
.LBB87_29:                              ;   Parent Loop BB87_3 Depth=1
                                        ;     Parent Loop BB87_15 Depth=2
                                        ;       Parent Loop BB87_18 Depth=3
                                        ;         Parent Loop BB87_27 Depth=4
                                        ; =>        This Inner Loop Header: Depth=5
	scratch_load_b64 v[12:13], off, s35
	v_mov_b32_e32 v14, s36
	s_add_co_i32 s37, s37, -1
	s_wait_xcnt 0x0
	s_add_co_i32 s35, s35, 8
	s_add_co_i32 s36, s36, 8
	s_cmp_eq_u32 s37, 0
	ds_load_b64 v[14:15], v14
	s_wait_loadcnt_dscnt 0x0
	v_fma_f64 v[8:9], -v[12:13], v[14:15], v[8:9]
	scratch_store_b64 off, v[8:9], s34
	s_cbranch_scc0 .LBB87_29
; %bb.30:                               ;   in Loop: Header=BB87_27 Depth=4
	s_wait_xcnt 0x0
	s_branch .LBB87_26
.LBB87_31:                              ;   in Loop: Header=BB87_27 Depth=4
                                        ; implicit-def: $vgpr8_vgpr9
                                        ; implicit-def: $sgpr33
                                        ; implicit-def: $sgpr31
	s_cbranch_execz .LBB87_26
; %bb.32:                               ;   in Loop: Header=BB87_27 Depth=4
	scratch_load_b64 v[8:9], off, off
	s_mov_b32 s31, s28
	s_mov_b32 s33, s16
	s_branch .LBB87_26
.LBB87_33:                              ;   in Loop: Header=BB87_3 Depth=1
	s_mov_b32 s16, 0
.LBB87_34:                              ;   in Loop: Header=BB87_3 Depth=1
	s_delay_alu instid0(SALU_CYCLE_1)
	s_and_b32 vcc_lo, exec_lo, s16
	s_cbranch_vccz .LBB87_54
; %bb.35:                               ;   in Loop: Header=BB87_3 Depth=1
	s_mov_b32 s17, 0
	s_mov_b32 s16, s24
	s_branch .LBB87_37
.LBB87_36:                              ;   in Loop: Header=BB87_37 Depth=2
	s_cmp_gt_i32 s16, -1
	s_cselect_b32 s18, -1, 0
	s_add_co_i32 s20, s17, 1
	s_cmp_lt_u32 s17, 2
	s_wait_xcnt 0x0
	s_cselect_b32 s17, -1, 0
	s_delay_alu instid0(SALU_CYCLE_1) | instskip(NEXT) | instid1(SALU_CYCLE_1)
	s_and_b32 s17, s18, s17
	s_and_not1_b32 vcc_lo, exec_lo, s17
	s_mov_b32 s17, s20
	s_cbranch_vccnz .LBB87_54
.LBB87_37:                              ;   Parent Loop BB87_3 Depth=1
                                        ; =>  This Loop Header: Depth=2
                                        ;       Child Loop BB87_40 Depth 3
                                        ;         Child Loop BB87_41 Depth 4
                                        ;         Child Loop BB87_43 Depth 4
                                        ;           Child Loop BB87_44 Depth 5
                                        ;         Child Loop BB87_48 Depth 4
                                        ;           Child Loop BB87_50 Depth 5
	s_load_b32 s18, s[8:9], s17 offset:0x0 scale_offset
	s_wait_kmcnt 0x0
	s_add_co_i32 s20, s18, -1
	s_delay_alu instid0(SALU_CYCLE_1)
	s_cmp_lt_i32 s16, s20
	s_cbranch_scc1 .LBB87_36
; %bb.38:                               ;   in Loop: Header=BB87_37 Depth=2
	v_mad_u32 v11, 0xa0, s16, v10
	s_lshl_b32 s25, s16, 3
	s_lshl_b32 s26, s18, 3
	s_max_i32 s21, s18, 1
	s_mul_i32 s22, s18, 0xffffff60
	s_add_co_i32 s25, s15, s25
	s_sub_co_i32 s26, 0, s26
	s_mul_i32 s27, s16, 0xa8
	s_mul_i32 s28, s18, 0xffffff58
	s_branch .LBB87_40
.LBB87_39:                              ;   in Loop: Header=BB87_40 Depth=3
	v_add_nc_u32_e32 v11, s22, v11
	s_sub_co_i32 s16, s16, s18
	s_add_co_i32 s25, s25, s26
	s_add_co_i32 s27, s27, s28
	s_cmp_lt_i32 s16, s20
	s_cbranch_scc1 .LBB87_36
.LBB87_40:                              ;   Parent Loop BB87_3 Depth=1
                                        ;     Parent Loop BB87_37 Depth=2
                                        ; =>    This Loop Header: Depth=3
                                        ;         Child Loop BB87_41 Depth 4
                                        ;         Child Loop BB87_43 Depth 4
                                        ;           Child Loop BB87_44 Depth 5
                                        ;         Child Loop BB87_48 Depth 4
                                        ;           Child Loop BB87_50 Depth 5
	s_wait_xcnt 0x0
	v_mov_b32_e32 v8, v11
	s_mov_b32 s29, 0
	s_mov_b32 s30, s21
.LBB87_41:                              ;   Parent Loop BB87_3 Depth=1
                                        ;     Parent Loop BB87_37 Depth=2
                                        ;       Parent Loop BB87_40 Depth=3
                                        ; =>      This Inner Loop Header: Depth=4
	ds_load_b64 v[12:13], v8
	v_add_nc_u32_e32 v8, 0xffffff60, v8
	s_add_co_i32 s30, s30, -1
	s_wait_dscnt 0x0
	scratch_store_b64 off, v[12:13], s29
	s_wait_xcnt 0x0
	s_add_co_i32 s29, s29, 8
	s_cmp_eq_u32 s30, 0
	s_cbranch_scc0 .LBB87_41
; %bb.42:                               ;   in Loop: Header=BB87_40 Depth=3
	s_cmp_le_i32 s24, s16
	s_mov_b32 s29, s25
	s_mov_b32 s30, s24
	s_cbranch_scc1 .LBB87_46
.LBB87_43:                              ;   Parent Loop BB87_3 Depth=1
                                        ;     Parent Loop BB87_37 Depth=2
                                        ;       Parent Loop BB87_40 Depth=3
                                        ; =>      This Loop Header: Depth=4
                                        ;           Child Loop BB87_44 Depth 5
	v_mad_u32 v8, 0xa0, s30, v10
	s_mov_b32 s31, 0
	s_mov_b32 s33, s29
	;; [unrolled: 1-line block ×3, first 2 shown]
	ds_load_b64 v[8:9], v8
.LBB87_44:                              ;   Parent Loop BB87_3 Depth=1
                                        ;     Parent Loop BB87_37 Depth=2
                                        ;       Parent Loop BB87_40 Depth=3
                                        ;         Parent Loop BB87_43 Depth=4
                                        ; =>        This Inner Loop Header: Depth=5
	scratch_load_b64 v[12:13], off, s31
	v_mov_b32_e32 v14, s33
	s_add_co_i32 s34, s34, -1
	s_add_co_i32 s33, s33, -8
	ds_load_b64 v[14:15], v14
	s_wait_loadcnt_dscnt 0x0
	v_fma_f64 v[12:13], -v[8:9], v[14:15], v[12:13]
	scratch_store_b64 off, v[12:13], s31
	s_wait_xcnt 0x0
	s_add_co_i32 s31, s31, 8
	s_cmp_eq_u32 s34, 0
	s_cbranch_scc0 .LBB87_44
; %bb.45:                               ;   in Loop: Header=BB87_43 Depth=4
	s_add_co_i32 s30, s30, -1
	s_addk_co_i32 s29, 0xff60
	s_cmp_le_i32 s30, s16
	s_cbranch_scc0 .LBB87_43
.LBB87_46:                              ;   in Loop: Header=BB87_40 Depth=3
	s_mov_b32 s29, 0
	s_mov_b32 s30, s27
	s_branch .LBB87_48
.LBB87_47:                              ;   in Loop: Header=BB87_48 Depth=4
	s_mul_i32 s33, s31, 0xa8
	s_add_co_i32 s30, s30, -8
	v_mov_b32_e32 v12, s33
	ds_load_b64 v[12:13], v12
	s_wait_loadcnt_dscnt 0x0
	s_wait_xcnt 0x0
	v_mul_f64_e32 v[8:9], v[12:13], v[8:9]
	v_mad_u32 v12, 0xa0, s31, v10
	s_lshl_b32 s31, s29, 3
	s_add_co_i32 s29, s29, 1
	s_delay_alu instid0(SALU_CYCLE_1)
	s_cmp_eq_u32 s29, s21
	scratch_store_b64 off, v[8:9], s31
	ds_store_b64 v12, v[8:9]
	s_cbranch_scc1 .LBB87_39
.LBB87_48:                              ;   Parent Loop BB87_3 Depth=1
                                        ;     Parent Loop BB87_37 Depth=2
                                        ;       Parent Loop BB87_40 Depth=3
                                        ; =>      This Loop Header: Depth=4
                                        ;           Child Loop BB87_50 Depth 5
	s_cmp_lg_u32 s29, 0
	s_cbranch_scc0 .LBB87_52
; %bb.49:                               ;   in Loop: Header=BB87_48 Depth=4
	s_lshl_b32 s33, s29, 3
	s_wait_xcnt 0x0
	s_sub_co_i32 s31, s16, s29
	scratch_load_b64 v[8:9], off, s33
	s_mov_b32 s34, 0
	s_mov_b32 s35, s30
	;; [unrolled: 1-line block ×3, first 2 shown]
.LBB87_50:                              ;   Parent Loop BB87_3 Depth=1
                                        ;     Parent Loop BB87_37 Depth=2
                                        ;       Parent Loop BB87_40 Depth=3
                                        ;         Parent Loop BB87_48 Depth=4
                                        ; =>        This Inner Loop Header: Depth=5
	scratch_load_b64 v[12:13], off, s34
	v_mov_b32_e32 v14, s35
	s_add_co_i32 s36, s36, -1
	s_addk_co_i32 s35, 0xff60
	s_wait_xcnt 0x0
	s_add_co_i32 s34, s34, 8
	s_cmp_eq_u32 s36, 0
	ds_load_b64 v[14:15], v14
	s_wait_loadcnt_dscnt 0x0
	v_fma_f64 v[8:9], -v[12:13], v[14:15], v[8:9]
	scratch_store_b64 off, v[8:9], s33
	s_cbranch_scc0 .LBB87_50
; %bb.51:                               ;   in Loop: Header=BB87_48 Depth=4
	s_wait_xcnt 0x0
	s_branch .LBB87_47
.LBB87_52:                              ;   in Loop: Header=BB87_48 Depth=4
                                        ; implicit-def: $vgpr8_vgpr9
                                        ; implicit-def: $sgpr31
	s_cbranch_execz .LBB87_47
; %bb.53:                               ;   in Loop: Header=BB87_48 Depth=4
	scratch_load_b64 v[8:9], off, off
	s_mov_b32 s31, s16
	s_branch .LBB87_47
.LBB87_54:                              ;   in Loop: Header=BB87_3 Depth=1
	; wave barrier
	s_wait_storecnt_dscnt 0x0
	s_wait_xcnt 0x0
	s_and_saveexec_b32 s16, s14
	s_cbranch_execz .LBB87_2
; %bb.55:                               ;   in Loop: Header=BB87_3 Depth=1
	v_mov_b32_e32 v8, v10
	s_mov_b32 s17, s1
.LBB87_56:                              ;   Parent Loop BB87_3 Depth=1
                                        ; =>  This Inner Loop Header: Depth=2
	ds_load_b64 v[12:13], v8
	v_add_nc_u32_e32 v8, 0xa0, v8
	s_add_co_i32 s17, s17, -1
	s_delay_alu instid0(SALU_CYCLE_1)
	s_cmp_lg_u32 s17, 0
	s_wait_dscnt 0x0
	global_store_b64 v[6:7], v[12:13], off
	s_wait_xcnt 0x0
	v_add_nc_u64_e32 v[6:7], 8, v[6:7]
	s_cbranch_scc1 .LBB87_56
	s_branch .LBB87_2
.LBB87_57:
	s_endpgm
	.section	.rodata,"a",@progbits
	.p2align	6, 0x0
	.amdhsa_kernel _ZL38rocblas_trsm_small_left_device_sharedBILi20ELi20ELb0EddPKdPdEv13rocblas_fill_18rocblas_operation_17rocblas_diagonal_iiT3_T4_lilT5_lili
		.amdhsa_group_segment_fixed_size 6400
		.amdhsa_private_segment_fixed_size 176
		.amdhsa_kernarg_size 360
		.amdhsa_user_sgpr_count 2
		.amdhsa_user_sgpr_dispatch_ptr 0
		.amdhsa_user_sgpr_queue_ptr 0
		.amdhsa_user_sgpr_kernarg_segment_ptr 1
		.amdhsa_user_sgpr_dispatch_id 0
		.amdhsa_user_sgpr_kernarg_preload_length 0
		.amdhsa_user_sgpr_kernarg_preload_offset 0
		.amdhsa_user_sgpr_private_segment_size 0
		.amdhsa_wavefront_size32 1
		.amdhsa_uses_dynamic_stack 0
		.amdhsa_enable_private_segment 1
		.amdhsa_system_sgpr_workgroup_id_x 1
		.amdhsa_system_sgpr_workgroup_id_y 0
		.amdhsa_system_sgpr_workgroup_id_z 1
		.amdhsa_system_sgpr_workgroup_info 0
		.amdhsa_system_vgpr_workitem_id 0
		.amdhsa_next_free_vgpr 18
		.amdhsa_next_free_sgpr 38
		.amdhsa_named_barrier_count 0
		.amdhsa_reserve_vcc 1
		.amdhsa_float_round_mode_32 0
		.amdhsa_float_round_mode_16_64 0
		.amdhsa_float_denorm_mode_32 3
		.amdhsa_float_denorm_mode_16_64 3
		.amdhsa_fp16_overflow 0
		.amdhsa_memory_ordered 1
		.amdhsa_forward_progress 1
		.amdhsa_inst_pref_size 17
		.amdhsa_round_robin_scheduling 0
		.amdhsa_exception_fp_ieee_invalid_op 0
		.amdhsa_exception_fp_denorm_src 0
		.amdhsa_exception_fp_ieee_div_zero 0
		.amdhsa_exception_fp_ieee_overflow 0
		.amdhsa_exception_fp_ieee_underflow 0
		.amdhsa_exception_fp_ieee_inexact 0
		.amdhsa_exception_int_div_zero 0
	.end_amdhsa_kernel
	.section	.text._ZL38rocblas_trsm_small_left_device_sharedBILi20ELi20ELb0EddPKdPdEv13rocblas_fill_18rocblas_operation_17rocblas_diagonal_iiT3_T4_lilT5_lili,"axG",@progbits,_ZL38rocblas_trsm_small_left_device_sharedBILi20ELi20ELb0EddPKdPdEv13rocblas_fill_18rocblas_operation_17rocblas_diagonal_iiT3_T4_lilT5_lili,comdat
.Lfunc_end87:
	.size	_ZL38rocblas_trsm_small_left_device_sharedBILi20ELi20ELb0EddPKdPdEv13rocblas_fill_18rocblas_operation_17rocblas_diagonal_iiT3_T4_lilT5_lili, .Lfunc_end87-_ZL38rocblas_trsm_small_left_device_sharedBILi20ELi20ELb0EddPKdPdEv13rocblas_fill_18rocblas_operation_17rocblas_diagonal_iiT3_T4_lilT5_lili
                                        ; -- End function
	.set _ZL38rocblas_trsm_small_left_device_sharedBILi20ELi20ELb0EddPKdPdEv13rocblas_fill_18rocblas_operation_17rocblas_diagonal_iiT3_T4_lilT5_lili.num_vgpr, 18
	.set _ZL38rocblas_trsm_small_left_device_sharedBILi20ELi20ELb0EddPKdPdEv13rocblas_fill_18rocblas_operation_17rocblas_diagonal_iiT3_T4_lilT5_lili.num_agpr, 0
	.set _ZL38rocblas_trsm_small_left_device_sharedBILi20ELi20ELb0EddPKdPdEv13rocblas_fill_18rocblas_operation_17rocblas_diagonal_iiT3_T4_lilT5_lili.numbered_sgpr, 38
	.set _ZL38rocblas_trsm_small_left_device_sharedBILi20ELi20ELb0EddPKdPdEv13rocblas_fill_18rocblas_operation_17rocblas_diagonal_iiT3_T4_lilT5_lili.num_named_barrier, 0
	.set _ZL38rocblas_trsm_small_left_device_sharedBILi20ELi20ELb0EddPKdPdEv13rocblas_fill_18rocblas_operation_17rocblas_diagonal_iiT3_T4_lilT5_lili.private_seg_size, 176
	.set _ZL38rocblas_trsm_small_left_device_sharedBILi20ELi20ELb0EddPKdPdEv13rocblas_fill_18rocblas_operation_17rocblas_diagonal_iiT3_T4_lilT5_lili.uses_vcc, 1
	.set _ZL38rocblas_trsm_small_left_device_sharedBILi20ELi20ELb0EddPKdPdEv13rocblas_fill_18rocblas_operation_17rocblas_diagonal_iiT3_T4_lilT5_lili.uses_flat_scratch, 0
	.set _ZL38rocblas_trsm_small_left_device_sharedBILi20ELi20ELb0EddPKdPdEv13rocblas_fill_18rocblas_operation_17rocblas_diagonal_iiT3_T4_lilT5_lili.has_dyn_sized_stack, 0
	.set _ZL38rocblas_trsm_small_left_device_sharedBILi20ELi20ELb0EddPKdPdEv13rocblas_fill_18rocblas_operation_17rocblas_diagonal_iiT3_T4_lilT5_lili.has_recursion, 0
	.set _ZL38rocblas_trsm_small_left_device_sharedBILi20ELi20ELb0EddPKdPdEv13rocblas_fill_18rocblas_operation_17rocblas_diagonal_iiT3_T4_lilT5_lili.has_indirect_call, 0
	.section	.AMDGPU.csdata,"",@progbits
; Kernel info:
; codeLenInByte = 2128
; TotalNumSgprs: 40
; NumVgprs: 18
; ScratchSize: 176
; MemoryBound: 0
; FloatMode: 240
; IeeeMode: 1
; LDSByteSize: 6400 bytes/workgroup (compile time only)
; SGPRBlocks: 0
; VGPRBlocks: 1
; NumSGPRsForWavesPerEU: 40
; NumVGPRsForWavesPerEU: 18
; NamedBarCnt: 0
; Occupancy: 13
; WaveLimiterHint : 0
; COMPUTE_PGM_RSRC2:SCRATCH_EN: 1
; COMPUTE_PGM_RSRC2:USER_SGPR: 2
; COMPUTE_PGM_RSRC2:TRAP_HANDLER: 0
; COMPUTE_PGM_RSRC2:TGID_X_EN: 1
; COMPUTE_PGM_RSRC2:TGID_Y_EN: 0
; COMPUTE_PGM_RSRC2:TGID_Z_EN: 1
; COMPUTE_PGM_RSRC2:TIDIG_COMP_CNT: 0
	.section	.text._ZL30rocblas_trsm_small_left_deviceILi20ELi20ELb0EddPKdPdEv13rocblas_fill_18rocblas_operation_17rocblas_diagonal_iiT3_T4_lilT5_lili,"axG",@progbits,_ZL30rocblas_trsm_small_left_deviceILi20ELi20ELb0EddPKdPdEv13rocblas_fill_18rocblas_operation_17rocblas_diagonal_iiT3_T4_lilT5_lili,comdat
	.globl	_ZL30rocblas_trsm_small_left_deviceILi20ELi20ELb0EddPKdPdEv13rocblas_fill_18rocblas_operation_17rocblas_diagonal_iiT3_T4_lilT5_lili ; -- Begin function _ZL30rocblas_trsm_small_left_deviceILi20ELi20ELb0EddPKdPdEv13rocblas_fill_18rocblas_operation_17rocblas_diagonal_iiT3_T4_lilT5_lili
	.p2align	8
	.type	_ZL30rocblas_trsm_small_left_deviceILi20ELi20ELb0EddPKdPdEv13rocblas_fill_18rocblas_operation_17rocblas_diagonal_iiT3_T4_lilT5_lili,@function
_ZL30rocblas_trsm_small_left_deviceILi20ELi20ELb0EddPKdPdEv13rocblas_fill_18rocblas_operation_17rocblas_diagonal_iiT3_T4_lilT5_lili: ; @_ZL30rocblas_trsm_small_left_deviceILi20ELi20ELb0EddPKdPdEv13rocblas_fill_18rocblas_operation_17rocblas_diagonal_iiT3_T4_lilT5_lili
; %bb.0:
	s_load_b32 s28, s[0:1], 0x60
	s_bfe_u32 s2, ttmp6, 0x40014
	s_lshr_b32 s4, ttmp7, 16
	s_add_co_i32 s2, s2, 1
	s_bfe_u32 s5, ttmp6, 0x40008
	s_mul_i32 s2, s4, s2
	s_getreg_b32 s3, hwreg(HW_REG_IB_STS2, 6, 4)
	s_add_co_i32 s5, s5, s2
	s_cmp_eq_u32 s3, 0
	s_mov_b32 s19, 0
	s_cselect_b32 s2, s4, s5
	s_wait_kmcnt 0x0
	s_cmp_ge_u32 s2, s28
	s_cbranch_scc1 .LBB88_54
; %bb.1:
	s_clause 0x4
	s_load_b96 s[16:18], s[0:1], 0x28
	s_load_b96 s[24:26], s[0:1], 0x48
	s_load_b128 s[8:11], s[0:1], 0x4
	s_load_b32 s22, s[0:1], 0x68
	s_load_b64 s[20:21], s[0:1], 0x58
	s_bfe_u32 s12, ttmp6, 0x4000c
	s_and_b32 s23, ttmp6, 15
	s_add_co_i32 s12, s12, 1
	s_load_b128 s[4:7], s[0:1], 0x18
	s_mul_i32 s27, ttmp9, s12
	s_load_b128 s[12:15], s[0:1], 0x38
	s_wait_xcnt 0x0
	s_add_co_i32 s0, s23, s27
	v_mul_u32_u24_e32 v1, 0xa0, v0
	s_mov_b32 s35, 0
                                        ; implicit-def: $sgpr36
                                        ; implicit-def: $sgpr37
	s_wait_kmcnt 0x0
	s_ashr_i32 s23, s18, 31
	s_ashr_i32 s1, s26, 31
	s_min_i32 s29, s10, 20
	s_lshl_b64 s[24:25], s[24:25], 3
	s_add_co_i32 s10, s22, -1
	s_add_co_i32 s30, s29, -1
	s_cmp_eq_u32 s3, 0
	s_mov_b32 s22, s18
	s_cselect_b32 s3, ttmp9, s0
	s_mov_b32 s0, s26
	v_mad_u32 v2, s3, 20, v0
	s_add_nc_u64 s[14:15], s[14:15], s[24:25]
	s_mul_i32 s34, s29, 0xa0
	s_delay_alu instid0(VALU_DEP_1) | instskip(NEXT) | instid1(VALU_DEP_1)
	v_ashrrev_i32_e32 v3, 31, v2
	v_mul_u64_e32 v[4:5], s[0:1], v[2:3]
	s_mul_i32 s0, s3, 0xffffffec
	v_lshlrev_b32_e32 v2, 3, v0
	s_add_co_i32 s1, s11, s0
	s_cmp_ge_u32 s3, s10
	v_mov_b32_e32 v3, 0
	s_cselect_b32 s1, s1, 20
	s_cmp_lg_u32 s9, 0x84
	v_add_nc_u32_e32 v14, v2, v1
	s_cselect_b32 s31, -1, 0
	s_cmp_lg_u32 s8, 0x6f
	v_cmp_gt_i32_e64 s0, s29, v0
	s_cselect_b32 s33, -1, 0
	s_lshl_b64 s[16:17], s[16:17], 3
	v_cmp_gt_i32_e64 s1, s1, v0
	s_add_nc_u64 s[6:7], s[6:7], s[16:17]
	s_lshl_b64 s[8:9], s[12:13], 3
	v_add_nc_u64_e32 v[0:1], s[6:7], v[2:3]
	s_lshl_b64 s[10:11], s[22:23], 3
	s_lshl_b64 s[12:13], s[20:21], 3
	s_addk_co_i32 s34, 0xff60
	s_get_pc_i64 s[6:7]
	s_add_nc_u64 s[6:7], s[6:7], __const._ZL30rocblas_trsm_small_left_deviceILi20ELi20ELb0EddPKdPdEv13rocblas_fill_18rocblas_operation_17rocblas_diagonal_iiT3_T4_lilT5_lili.step_sizes@rel64+4
	v_lshl_add_u64 v[4:5], v[4:5], 3, s[14:15]
	s_branch .LBB88_4
.LBB88_2:                               ;   in Loop: Header=BB88_4 Depth=1
	s_add_co_i32 s2, s2, 0x10000
	s_delay_alu instid0(SALU_CYCLE_1)
	s_cmp_ge_u32 s2, s28
	s_cselect_b32 s3, -1, 0
	s_and_not1_b32 s37, s37, exec_lo
	s_or_not1_b32 s14, s3, exec_lo
.LBB88_3:                               ;   in Loop: Header=BB88_4 Depth=1
	s_wait_xcnt 0x0
	s_or_b32 exec_lo, exec_lo, s38
	s_delay_alu instid0(SALU_CYCLE_1) | instskip(NEXT) | instid1(SALU_CYCLE_1)
	s_and_b32 s3, exec_lo, s14
	s_or_b32 s35, s3, s35
	s_and_not1_b32 s3, s36, exec_lo
	s_and_b32 s14, s37, exec_lo
	s_delay_alu instid0(SALU_CYCLE_1)
	s_or_b32 s36, s3, s14
	s_and_not1_b32 exec_lo, exec_lo, s35
	s_cbranch_execz .LBB88_53
.LBB88_4:                               ; =>This Loop Header: Depth=1
                                        ;     Child Loop BB88_6 Depth 2
                                        ;     Child Loop BB88_14 Depth 2
                                        ;       Child Loop BB88_17 Depth 3
                                        ;         Child Loop BB88_18 Depth 4
                                        ;         Child Loop BB88_21 Depth 4
                                        ;           Child Loop BB88_22 Depth 5
                                        ;         Child Loop BB88_26 Depth 4
                                        ;           Child Loop BB88_28 Depth 5
                                        ;     Child Loop BB88_36 Depth 2
                                        ;       Child Loop BB88_39 Depth 3
                                        ;         Child Loop BB88_40 Depth 4
                                        ;         Child Loop BB88_42 Depth 4
                                        ;           Child Loop BB88_43 Depth 5
                                        ;         Child Loop BB88_47 Depth 4
                                        ;           Child Loop BB88_49 Depth 5
	s_mov_b32 s3, s19
	s_and_saveexec_b32 s14, s0
	s_cbranch_execz .LBB88_10
; %bb.5:                                ;   in Loop: Header=BB88_4 Depth=1
	v_mad_nc_u64_u32 v[6:7], s8, s2, v[0:1]
	v_mov_b32_e32 v3, v2
	s_mov_b32 s15, s29
	s_delay_alu instid0(VALU_DEP_2)
	v_mad_u32 v7, s9, s2, v7
.LBB88_6:                               ;   Parent Loop BB88_4 Depth=1
                                        ; =>  This Inner Loop Header: Depth=2
	global_load_b64 v[8:9], v[6:7], off
	s_wait_xcnt 0x0
	v_add_nc_u64_e32 v[6:7], s[10:11], v[6:7]
	s_add_co_i32 s15, s15, -1
	s_delay_alu instid0(SALU_CYCLE_1)
	s_cmp_eq_u32 s15, 0
	s_wait_loadcnt 0x0
	ds_store_b64 v3, v[8:9]
	v_add_nc_u32_e32 v3, 0xa0, v3
	s_cbranch_scc0 .LBB88_6
; %bb.7:                                ;   in Loop: Header=BB88_4 Depth=1
	v_mov_b64_e32 v[6:7], 1.0
	s_and_b32 vcc_lo, exec_lo, s31
	s_cbranch_vccz .LBB88_9
; %bb.8:                                ;   in Loop: Header=BB88_4 Depth=1
	ds_load_b64 v[6:7], v14
	s_wait_dscnt 0x0
	v_div_scale_f64 v[8:9], null, v[6:7], v[6:7], 1.0
	s_delay_alu instid0(VALU_DEP_1) | instskip(SKIP_1) | instid1(TRANS32_DEP_1)
	v_rcp_f64_e32 v[10:11], v[8:9]
	v_nop
	v_fma_f64 v[12:13], -v[8:9], v[10:11], 1.0
	s_delay_alu instid0(VALU_DEP_1) | instskip(NEXT) | instid1(VALU_DEP_1)
	v_fmac_f64_e32 v[10:11], v[10:11], v[12:13]
	v_fma_f64 v[12:13], -v[8:9], v[10:11], 1.0
	s_delay_alu instid0(VALU_DEP_1) | instskip(SKIP_1) | instid1(VALU_DEP_1)
	v_fmac_f64_e32 v[10:11], v[10:11], v[12:13]
	v_div_scale_f64 v[12:13], vcc_lo, 1.0, v[6:7], 1.0
	v_mul_f64_e32 v[16:17], v[12:13], v[10:11]
	s_delay_alu instid0(VALU_DEP_1) | instskip(NEXT) | instid1(VALU_DEP_1)
	v_fma_f64 v[8:9], -v[8:9], v[16:17], v[12:13]
	v_div_fmas_f64 v[8:9], v[8:9], v[10:11], v[16:17]
	s_delay_alu instid0(VALU_DEP_1)
	v_div_fixup_f64 v[6:7], v[8:9], v[6:7], 1.0
.LBB88_9:                               ;   in Loop: Header=BB88_4 Depth=1
	ds_store_b64 v14, v[6:7]
.LBB88_10:                              ;   in Loop: Header=BB88_4 Depth=1
	s_or_b32 exec_lo, exec_lo, s14
	s_mov_b32 s14, -1
	s_or_b32 s37, s37, exec_lo
	s_wait_dscnt 0x0
	; wave barrier
	s_and_saveexec_b32 s38, s1
	s_cbranch_execz .LBB88_3
; %bb.11:                               ;   in Loop: Header=BB88_4 Depth=1
	s_mul_u64 s[14:15], s[20:21], s[2:3]
	s_and_not1_b32 vcc_lo, exec_lo, s33
	v_lshl_add_u64 v[6:7], s[14:15], 3, v[4:5]
	s_mul_u64 s[14:15], s[12:13], s[2:3]
	s_mov_b32 s3, -1
	s_cbranch_vccnz .LBB88_33
; %bb.12:                               ;   in Loop: Header=BB88_4 Depth=1
	v_add_nc_u64_e32 v[8:9], s[14:15], v[4:5]
	s_mov_b32 s3, 0
	s_mov_b32 s16, 0
	s_branch .LBB88_14
.LBB88_13:                              ;   in Loop: Header=BB88_14 Depth=2
	s_cmp_lt_i32 s16, s29
	s_cselect_b32 s17, -1, 0
	s_add_co_i32 s18, s3, 1
	s_cmp_lt_u32 s3, 2
	s_wait_xcnt 0x0
	s_cselect_b32 s3, -1, 0
	s_delay_alu instid0(SALU_CYCLE_1) | instskip(NEXT) | instid1(SALU_CYCLE_1)
	s_and_b32 s3, s17, s3
	s_and_b32 vcc_lo, exec_lo, s3
	s_mov_b32 s3, s18
	s_cbranch_vccz .LBB88_32
.LBB88_14:                              ;   Parent Loop BB88_4 Depth=1
                                        ; =>  This Loop Header: Depth=2
                                        ;       Child Loop BB88_17 Depth 3
                                        ;         Child Loop BB88_18 Depth 4
                                        ;         Child Loop BB88_21 Depth 4
                                        ;           Child Loop BB88_22 Depth 5
                                        ;         Child Loop BB88_26 Depth 4
                                        ;           Child Loop BB88_28 Depth 5
	s_load_b32 s22, s[6:7], s3 offset:0x0 scale_offset
	s_wait_kmcnt 0x0
	s_add_co_i32 s39, s22, -1
	s_delay_alu instid0(SALU_CYCLE_1) | instskip(NEXT) | instid1(SALU_CYCLE_1)
	s_add_co_i32 s17, s39, s16
	s_cmp_ge_i32 s17, s29
	s_cbranch_scc1 .LBB88_13
; %bb.15:                               ;   in Loop: Header=BB88_14 Depth=2
	s_ashr_i32 s17, s16, 31
	s_ashr_i32 s23, s22, 31
	v_lshl_add_u64 v[10:11], s[16:17], 3, v[8:9]
	s_max_i32 s40, s22, 1
	s_lshl_b64 s[24:25], s[22:23], 3
	s_mul_i32 s17, s16, 0xa0
	s_mul_i32 s23, s22, 0xa0
	;; [unrolled: 1-line block ×4, first 2 shown]
	s_branch .LBB88_17
.LBB88_16:                              ;   in Loop: Header=BB88_17 Depth=3
	v_add_nc_u64_e32 v[10:11], s[24:25], v[10:11]
	s_add_co_i32 s16, s16, s22
	s_add_co_i32 s17, s17, s23
	;; [unrolled: 1-line block ×4, first 2 shown]
	s_cmp_ge_i32 s18, s29
	s_cbranch_scc1 .LBB88_13
.LBB88_17:                              ;   Parent Loop BB88_4 Depth=1
                                        ;     Parent Loop BB88_14 Depth=2
                                        ; =>    This Loop Header: Depth=3
                                        ;         Child Loop BB88_18 Depth 4
                                        ;         Child Loop BB88_21 Depth 4
                                        ;           Child Loop BB88_22 Depth 5
                                        ;         Child Loop BB88_26 Depth 4
                                        ;           Child Loop BB88_28 Depth 5
	s_wait_xcnt 0x0
	v_mov_b64_e32 v[12:13], v[10:11]
	s_mov_b32 s18, 0
	s_mov_b32 s26, s40
.LBB88_18:                              ;   Parent Loop BB88_4 Depth=1
                                        ;     Parent Loop BB88_14 Depth=2
                                        ;       Parent Loop BB88_17 Depth=3
                                        ; =>      This Inner Loop Header: Depth=4
	global_load_b64 v[16:17], v[12:13], off
	s_wait_xcnt 0x0
	v_add_nc_u64_e32 v[12:13], 8, v[12:13]
	s_add_co_i32 s26, s26, -1
	s_wait_loadcnt 0x0
	v_mul_f64_e32 v[16:17], s[4:5], v[16:17]
	scratch_store_b64 off, v[16:17], s18
	s_wait_xcnt 0x0
	s_add_co_i32 s18, s18, 8
	s_cmp_eq_u32 s26, 0
	s_cbranch_scc0 .LBB88_18
; %bb.19:                               ;   in Loop: Header=BB88_17 Depth=3
	s_cmp_lt_i32 s16, 1
	s_cbranch_scc1 .LBB88_24
; %bb.20:                               ;   in Loop: Header=BB88_17 Depth=3
	s_mov_b32 s18, 0
	s_mov_b32 s26, s17
.LBB88_21:                              ;   Parent Loop BB88_4 Depth=1
                                        ;     Parent Loop BB88_14 Depth=2
                                        ;       Parent Loop BB88_17 Depth=3
                                        ; =>      This Loop Header: Depth=4
                                        ;           Child Loop BB88_22 Depth 5
	v_lshl_add_u64 v[12:13], s[18:19], 3, v[6:7]
	s_mov_b32 s27, 0
	s_mov_b32 s43, s26
	;; [unrolled: 1-line block ×3, first 2 shown]
	global_load_b64 v[12:13], v[12:13], off
.LBB88_22:                              ;   Parent Loop BB88_4 Depth=1
                                        ;     Parent Loop BB88_14 Depth=2
                                        ;       Parent Loop BB88_17 Depth=3
                                        ;         Parent Loop BB88_21 Depth=4
                                        ; =>        This Inner Loop Header: Depth=5
	scratch_load_b64 v[16:17], off, s27
	v_mov_b32_e32 v3, s43
	s_add_co_i32 s44, s44, -1
	s_addk_co_i32 s43, 0xa0
	ds_load_b64 v[18:19], v3
	s_wait_loadcnt_dscnt 0x0
	v_fma_f64 v[16:17], -v[12:13], v[18:19], v[16:17]
	scratch_store_b64 off, v[16:17], s27
	s_wait_xcnt 0x0
	s_add_co_i32 s27, s27, 8
	s_cmp_eq_u32 s44, 0
	s_cbranch_scc0 .LBB88_22
; %bb.23:                               ;   in Loop: Header=BB88_21 Depth=4
	s_add_co_i32 s18, s18, 1
	s_add_co_i32 s26, s26, 8
	s_cmp_eq_u32 s18, s16
	s_cbranch_scc0 .LBB88_21
.LBB88_24:                              ;   in Loop: Header=BB88_17 Depth=3
	s_mov_b32 s18, 0
	s_mov_b32 s43, s41
	s_branch .LBB88_26
.LBB88_25:                              ;   in Loop: Header=BB88_26 Depth=4
	s_mul_i32 s27, s26, 0xa8
	s_wait_xcnt 0x1
	s_lshl_b32 s44, s18, 3
	v_mov_b32_e32 v3, s27
	s_ashr_i32 s27, s26, 31
	s_add_co_i32 s18, s18, 1
	s_addk_co_i32 s43, 0xa0
	s_cmp_eq_u32 s18, s40
	s_wait_xcnt 0x0
	ds_load_b64 v[16:17], v3
	s_wait_loadcnt_dscnt 0x0
	v_mul_f64_e32 v[12:13], v[16:17], v[12:13]
	v_lshl_add_u64 v[16:17], s[26:27], 3, v[6:7]
	scratch_store_b64 off, v[12:13], s44
	global_store_b64 v[16:17], v[12:13], off
	s_cbranch_scc1 .LBB88_16
.LBB88_26:                              ;   Parent Loop BB88_4 Depth=1
                                        ;     Parent Loop BB88_14 Depth=2
                                        ;       Parent Loop BB88_17 Depth=3
                                        ; =>      This Loop Header: Depth=4
                                        ;           Child Loop BB88_28 Depth 5
	s_cmp_lg_u32 s18, 0
	s_cbranch_scc0 .LBB88_30
; %bb.27:                               ;   in Loop: Header=BB88_26 Depth=4
	s_lshl_b32 s27, s18, 3
	s_add_co_i32 s26, s18, s16
	scratch_load_b64 v[12:13], off, s27
	s_mov_b32 s44, 0
	s_mov_b32 s45, s43
	;; [unrolled: 1-line block ×3, first 2 shown]
.LBB88_28:                              ;   Parent Loop BB88_4 Depth=1
                                        ;     Parent Loop BB88_14 Depth=2
                                        ;       Parent Loop BB88_17 Depth=3
                                        ;         Parent Loop BB88_26 Depth=4
                                        ; =>        This Inner Loop Header: Depth=5
	scratch_load_b64 v[16:17], off, s44
	v_mov_b32_e32 v3, s45
	s_add_co_i32 s46, s46, -1
	s_wait_xcnt 0x0
	s_add_co_i32 s44, s44, 8
	s_add_co_i32 s45, s45, 8
	s_cmp_eq_u32 s46, 0
	ds_load_b64 v[18:19], v3
	s_wait_loadcnt_dscnt 0x0
	v_fma_f64 v[12:13], -v[16:17], v[18:19], v[12:13]
	scratch_store_b64 off, v[12:13], s27
	s_cbranch_scc0 .LBB88_28
; %bb.29:                               ;   in Loop: Header=BB88_26 Depth=4
	s_wait_xcnt 0x0
	s_branch .LBB88_25
.LBB88_30:                              ;   in Loop: Header=BB88_26 Depth=4
                                        ; implicit-def: $vgpr12_vgpr13
                                        ; implicit-def: $sgpr26
	s_cbranch_execz .LBB88_25
; %bb.31:                               ;   in Loop: Header=BB88_26 Depth=4
	scratch_load_b64 v[12:13], off, off
	s_mov_b32 s26, s16
	s_branch .LBB88_25
.LBB88_32:                              ;   in Loop: Header=BB88_4 Depth=1
	s_mov_b32 s3, 0
.LBB88_33:                              ;   in Loop: Header=BB88_4 Depth=1
	s_delay_alu instid0(SALU_CYCLE_1)
	s_and_b32 vcc_lo, exec_lo, s3
	s_cbranch_vccz .LBB88_2
; %bb.34:                               ;   in Loop: Header=BB88_4 Depth=1
	v_add_nc_u64_e32 v[8:9], s[14:15], v[4:5]
	s_mov_b32 s3, 0
	s_mov_b32 s14, s30
	s_branch .LBB88_36
.LBB88_35:                              ;   in Loop: Header=BB88_36 Depth=2
	s_cmp_gt_i32 s14, -1
	s_cselect_b32 s15, -1, 0
	s_add_co_i32 s16, s3, 1
	s_cmp_lt_u32 s3, 2
	s_wait_xcnt 0x0
	s_cselect_b32 s3, -1, 0
	s_delay_alu instid0(SALU_CYCLE_1) | instskip(NEXT) | instid1(SALU_CYCLE_1)
	s_and_b32 s3, s15, s3
	s_and_not1_b32 vcc_lo, exec_lo, s3
	s_mov_b32 s3, s16
	s_cbranch_vccnz .LBB88_2
.LBB88_36:                              ;   Parent Loop BB88_4 Depth=1
                                        ; =>  This Loop Header: Depth=2
                                        ;       Child Loop BB88_39 Depth 3
                                        ;         Child Loop BB88_40 Depth 4
                                        ;         Child Loop BB88_42 Depth 4
                                        ;           Child Loop BB88_43 Depth 5
                                        ;         Child Loop BB88_47 Depth 4
                                        ;           Child Loop BB88_49 Depth 5
	s_load_b32 s18, s[6:7], s3 offset:0x0 scale_offset
	s_wait_kmcnt 0x0
	s_add_co_i32 s24, s18, -1
	s_delay_alu instid0(SALU_CYCLE_1)
	s_cmp_lt_i32 s14, s24
	s_cbranch_scc1 .LBB88_35
; %bb.37:                               ;   in Loop: Header=BB88_36 Depth=2
	s_lshl_b32 s15, s14, 3
	s_lshl_b32 s16, s18, 3
	s_max_i32 s25, s18, 1
	s_add_co_i32 s26, s34, s15
	s_sub_co_i32 s27, 0, s16
	s_mul_i32 s39, s14, 0xa8
	s_mul_i32 s40, s18, 0xffffff58
	s_branch .LBB88_39
.LBB88_38:                              ;   in Loop: Header=BB88_39 Depth=3
	s_sub_co_i32 s14, s14, s18
	s_add_co_i32 s26, s26, s27
	s_add_co_i32 s39, s39, s40
	s_cmp_lt_i32 s14, s24
	s_cbranch_scc1 .LBB88_35
.LBB88_39:                              ;   Parent Loop BB88_4 Depth=1
                                        ;     Parent Loop BB88_36 Depth=2
                                        ; =>    This Loop Header: Depth=3
                                        ;         Child Loop BB88_40 Depth 4
                                        ;         Child Loop BB88_42 Depth 4
                                        ;           Child Loop BB88_43 Depth 5
                                        ;         Child Loop BB88_47 Depth 4
                                        ;           Child Loop BB88_49 Depth 5
	s_ashr_i32 s15, s14, 31
	s_mov_b32 s16, 0
	s_wait_xcnt 0x0
	v_lshl_add_u64 v[10:11], s[14:15], 3, v[8:9]
	s_mov_b32 s17, s25
.LBB88_40:                              ;   Parent Loop BB88_4 Depth=1
                                        ;     Parent Loop BB88_36 Depth=2
                                        ;       Parent Loop BB88_39 Depth=3
                                        ; =>      This Inner Loop Header: Depth=4
	global_load_b64 v[12:13], v[10:11], off
	s_wait_xcnt 0x0
	v_add_nc_u64_e32 v[10:11], -8, v[10:11]
	s_add_co_i32 s17, s17, -1
	s_wait_loadcnt 0x0
	v_mul_f64_e32 v[12:13], s[4:5], v[12:13]
	scratch_store_b64 off, v[12:13], s16
	s_wait_xcnt 0x0
	s_add_co_i32 s16, s16, 8
	s_cmp_eq_u32 s17, 0
	s_cbranch_scc0 .LBB88_40
; %bb.41:                               ;   in Loop: Header=BB88_39 Depth=3
	s_cmp_le_i32 s30, s14
	s_mov_b32 s22, s26
	s_mov_b32 s16, s30
	s_cbranch_scc1 .LBB88_45
.LBB88_42:                              ;   Parent Loop BB88_4 Depth=1
                                        ;     Parent Loop BB88_36 Depth=2
                                        ;       Parent Loop BB88_39 Depth=3
                                        ; =>      This Loop Header: Depth=4
                                        ;           Child Loop BB88_43 Depth 5
	s_ashr_i32 s17, s16, 31
	s_mov_b32 s23, s22
	v_lshl_add_u64 v[10:11], s[16:17], 3, v[6:7]
	s_mov_b32 s17, 0
	s_mov_b32 s41, s25
	global_load_b64 v[10:11], v[10:11], off
.LBB88_43:                              ;   Parent Loop BB88_4 Depth=1
                                        ;     Parent Loop BB88_36 Depth=2
                                        ;       Parent Loop BB88_39 Depth=3
                                        ;         Parent Loop BB88_42 Depth=4
                                        ; =>        This Inner Loop Header: Depth=5
	scratch_load_b64 v[12:13], off, s17
	v_mov_b32_e32 v3, s23
	s_add_co_i32 s41, s41, -1
	s_add_co_i32 s23, s23, -8
	ds_load_b64 v[16:17], v3
	s_wait_loadcnt_dscnt 0x0
	v_fma_f64 v[12:13], -v[10:11], v[16:17], v[12:13]
	scratch_store_b64 off, v[12:13], s17
	s_wait_xcnt 0x0
	s_add_co_i32 s17, s17, 8
	s_cmp_eq_u32 s41, 0
	s_cbranch_scc0 .LBB88_43
; %bb.44:                               ;   in Loop: Header=BB88_42 Depth=4
	s_add_co_i32 s16, s16, -1
	s_addk_co_i32 s22, 0xff60
	s_cmp_le_i32 s16, s14
	s_cbranch_scc0 .LBB88_42
.LBB88_45:                              ;   in Loop: Header=BB88_39 Depth=3
	s_mov_b32 s41, 0
	s_mov_b32 s42, s39
	s_branch .LBB88_47
.LBB88_46:                              ;   in Loop: Header=BB88_47 Depth=4
	s_wait_xcnt 0x1
	s_mulk_i32 s22, 0xa8
	s_add_co_i32 s42, s42, -8
	v_mov_b32_e32 v3, s22
	s_lshl_b32 s22, s41, 3
	s_add_co_i32 s41, s41, 1
	s_delay_alu instid0(SALU_CYCLE_1)
	s_cmp_eq_u32 s41, s25
	s_wait_xcnt 0x0
	ds_load_b64 v[12:13], v3
	s_wait_loadcnt_dscnt 0x0
	v_mul_f64_e32 v[10:11], v[12:13], v[10:11]
	v_lshl_add_u64 v[12:13], s[16:17], 3, v[6:7]
	scratch_store_b64 off, v[10:11], s22
	global_store_b64 v[12:13], v[10:11], off
	s_cbranch_scc1 .LBB88_38
.LBB88_47:                              ;   Parent Loop BB88_4 Depth=1
                                        ;     Parent Loop BB88_36 Depth=2
                                        ;       Parent Loop BB88_39 Depth=3
                                        ; =>      This Loop Header: Depth=4
                                        ;           Child Loop BB88_49 Depth 5
	s_cmp_lg_u32 s41, 0
	s_cbranch_scc0 .LBB88_51
; %bb.48:                               ;   in Loop: Header=BB88_47 Depth=4
	s_lshl_b32 s16, s41, 3
	s_mov_b32 s17, 0
	scratch_load_b64 v[10:11], off, s16
	s_mov_b32 s22, s42
	s_mov_b32 s23, s41
.LBB88_49:                              ;   Parent Loop BB88_4 Depth=1
                                        ;     Parent Loop BB88_36 Depth=2
                                        ;       Parent Loop BB88_39 Depth=3
                                        ;         Parent Loop BB88_47 Depth=4
                                        ; =>        This Inner Loop Header: Depth=5
	scratch_load_b64 v[12:13], off, s17
	v_mov_b32_e32 v3, s22
	s_add_co_i32 s23, s23, -1
	s_addk_co_i32 s22, 0xff60
	s_wait_xcnt 0x0
	s_add_co_i32 s17, s17, 8
	s_cmp_eq_u32 s23, 0
	ds_load_b64 v[16:17], v3
	s_wait_loadcnt_dscnt 0x0
	v_fma_f64 v[10:11], -v[12:13], v[16:17], v[10:11]
	scratch_store_b64 off, v[10:11], s16
	s_cbranch_scc0 .LBB88_49
; %bb.50:                               ;   in Loop: Header=BB88_47 Depth=4
	s_sub_co_i32 s22, s14, s41
	s_delay_alu instid0(SALU_CYCLE_1)
	s_ashr_i32 s23, s22, 31
	s_wait_xcnt 0x0
	s_mov_b64 s[16:17], s[22:23]
	s_branch .LBB88_46
.LBB88_51:                              ;   in Loop: Header=BB88_47 Depth=4
                                        ; implicit-def: $vgpr10_vgpr11
                                        ; implicit-def: $sgpr22
                                        ; implicit-def: $sgpr16_sgpr17
	s_cbranch_execz .LBB88_46
; %bb.52:                               ;   in Loop: Header=BB88_47 Depth=4
	scratch_load_b64 v[10:11], off, off
	s_mov_b64 s[16:17], s[14:15]
	s_mov_b32 s22, s14
	s_branch .LBB88_46
.LBB88_53:
	s_or_b32 exec_lo, exec_lo, s35
	s_and_saveexec_b32 s0, s36
	s_delay_alu instid0(SALU_CYCLE_1)
	s_xor_b32 s0, exec_lo, s0
.LBB88_54:
	s_endpgm
	.section	.rodata,"a",@progbits
	.p2align	6, 0x0
	.amdhsa_kernel _ZL30rocblas_trsm_small_left_deviceILi20ELi20ELb0EddPKdPdEv13rocblas_fill_18rocblas_operation_17rocblas_diagonal_iiT3_T4_lilT5_lili
		.amdhsa_group_segment_fixed_size 3200
		.amdhsa_private_segment_fixed_size 176
		.amdhsa_kernarg_size 360
		.amdhsa_user_sgpr_count 2
		.amdhsa_user_sgpr_dispatch_ptr 0
		.amdhsa_user_sgpr_queue_ptr 0
		.amdhsa_user_sgpr_kernarg_segment_ptr 1
		.amdhsa_user_sgpr_dispatch_id 0
		.amdhsa_user_sgpr_kernarg_preload_length 0
		.amdhsa_user_sgpr_kernarg_preload_offset 0
		.amdhsa_user_sgpr_private_segment_size 0
		.amdhsa_wavefront_size32 1
		.amdhsa_uses_dynamic_stack 0
		.amdhsa_enable_private_segment 1
		.amdhsa_system_sgpr_workgroup_id_x 1
		.amdhsa_system_sgpr_workgroup_id_y 0
		.amdhsa_system_sgpr_workgroup_id_z 1
		.amdhsa_system_sgpr_workgroup_info 0
		.amdhsa_system_vgpr_workitem_id 0
		.amdhsa_next_free_vgpr 20
		.amdhsa_next_free_sgpr 47
		.amdhsa_named_barrier_count 0
		.amdhsa_reserve_vcc 1
		.amdhsa_float_round_mode_32 0
		.amdhsa_float_round_mode_16_64 0
		.amdhsa_float_denorm_mode_32 3
		.amdhsa_float_denorm_mode_16_64 3
		.amdhsa_fp16_overflow 0
		.amdhsa_memory_ordered 1
		.amdhsa_forward_progress 1
		.amdhsa_inst_pref_size 16
		.amdhsa_round_robin_scheduling 0
		.amdhsa_exception_fp_ieee_invalid_op 0
		.amdhsa_exception_fp_denorm_src 0
		.amdhsa_exception_fp_ieee_div_zero 0
		.amdhsa_exception_fp_ieee_overflow 0
		.amdhsa_exception_fp_ieee_underflow 0
		.amdhsa_exception_fp_ieee_inexact 0
		.amdhsa_exception_int_div_zero 0
	.end_amdhsa_kernel
	.section	.text._ZL30rocblas_trsm_small_left_deviceILi20ELi20ELb0EddPKdPdEv13rocblas_fill_18rocblas_operation_17rocblas_diagonal_iiT3_T4_lilT5_lili,"axG",@progbits,_ZL30rocblas_trsm_small_left_deviceILi20ELi20ELb0EddPKdPdEv13rocblas_fill_18rocblas_operation_17rocblas_diagonal_iiT3_T4_lilT5_lili,comdat
.Lfunc_end88:
	.size	_ZL30rocblas_trsm_small_left_deviceILi20ELi20ELb0EddPKdPdEv13rocblas_fill_18rocblas_operation_17rocblas_diagonal_iiT3_T4_lilT5_lili, .Lfunc_end88-_ZL30rocblas_trsm_small_left_deviceILi20ELi20ELb0EddPKdPdEv13rocblas_fill_18rocblas_operation_17rocblas_diagonal_iiT3_T4_lilT5_lili
                                        ; -- End function
	.set _ZL30rocblas_trsm_small_left_deviceILi20ELi20ELb0EddPKdPdEv13rocblas_fill_18rocblas_operation_17rocblas_diagonal_iiT3_T4_lilT5_lili.num_vgpr, 20
	.set _ZL30rocblas_trsm_small_left_deviceILi20ELi20ELb0EddPKdPdEv13rocblas_fill_18rocblas_operation_17rocblas_diagonal_iiT3_T4_lilT5_lili.num_agpr, 0
	.set _ZL30rocblas_trsm_small_left_deviceILi20ELi20ELb0EddPKdPdEv13rocblas_fill_18rocblas_operation_17rocblas_diagonal_iiT3_T4_lilT5_lili.numbered_sgpr, 47
	.set _ZL30rocblas_trsm_small_left_deviceILi20ELi20ELb0EddPKdPdEv13rocblas_fill_18rocblas_operation_17rocblas_diagonal_iiT3_T4_lilT5_lili.num_named_barrier, 0
	.set _ZL30rocblas_trsm_small_left_deviceILi20ELi20ELb0EddPKdPdEv13rocblas_fill_18rocblas_operation_17rocblas_diagonal_iiT3_T4_lilT5_lili.private_seg_size, 176
	.set _ZL30rocblas_trsm_small_left_deviceILi20ELi20ELb0EddPKdPdEv13rocblas_fill_18rocblas_operation_17rocblas_diagonal_iiT3_T4_lilT5_lili.uses_vcc, 1
	.set _ZL30rocblas_trsm_small_left_deviceILi20ELi20ELb0EddPKdPdEv13rocblas_fill_18rocblas_operation_17rocblas_diagonal_iiT3_T4_lilT5_lili.uses_flat_scratch, 0
	.set _ZL30rocblas_trsm_small_left_deviceILi20ELi20ELb0EddPKdPdEv13rocblas_fill_18rocblas_operation_17rocblas_diagonal_iiT3_T4_lilT5_lili.has_dyn_sized_stack, 0
	.set _ZL30rocblas_trsm_small_left_deviceILi20ELi20ELb0EddPKdPdEv13rocblas_fill_18rocblas_operation_17rocblas_diagonal_iiT3_T4_lilT5_lili.has_recursion, 0
	.set _ZL30rocblas_trsm_small_left_deviceILi20ELi20ELb0EddPKdPdEv13rocblas_fill_18rocblas_operation_17rocblas_diagonal_iiT3_T4_lilT5_lili.has_indirect_call, 0
	.section	.AMDGPU.csdata,"",@progbits
; Kernel info:
; codeLenInByte = 2028
; TotalNumSgprs: 49
; NumVgprs: 20
; ScratchSize: 176
; MemoryBound: 0
; FloatMode: 240
; IeeeMode: 1
; LDSByteSize: 3200 bytes/workgroup (compile time only)
; SGPRBlocks: 0
; VGPRBlocks: 1
; NumSGPRsForWavesPerEU: 49
; NumVGPRsForWavesPerEU: 20
; NamedBarCnt: 0
; Occupancy: 16
; WaveLimiterHint : 0
; COMPUTE_PGM_RSRC2:SCRATCH_EN: 1
; COMPUTE_PGM_RSRC2:USER_SGPR: 2
; COMPUTE_PGM_RSRC2:TRAP_HANDLER: 0
; COMPUTE_PGM_RSRC2:TGID_X_EN: 1
; COMPUTE_PGM_RSRC2:TGID_Y_EN: 0
; COMPUTE_PGM_RSRC2:TGID_Z_EN: 1
; COMPUTE_PGM_RSRC2:TIDIG_COMP_CNT: 0
	.section	.text._ZL38rocblas_trsm_small_left_device_sharedBILi20ELi20ELb1EddPKdPdEv13rocblas_fill_18rocblas_operation_17rocblas_diagonal_iiT3_T4_lilT5_lili,"axG",@progbits,_ZL38rocblas_trsm_small_left_device_sharedBILi20ELi20ELb1EddPKdPdEv13rocblas_fill_18rocblas_operation_17rocblas_diagonal_iiT3_T4_lilT5_lili,comdat
	.globl	_ZL38rocblas_trsm_small_left_device_sharedBILi20ELi20ELb1EddPKdPdEv13rocblas_fill_18rocblas_operation_17rocblas_diagonal_iiT3_T4_lilT5_lili ; -- Begin function _ZL38rocblas_trsm_small_left_device_sharedBILi20ELi20ELb1EddPKdPdEv13rocblas_fill_18rocblas_operation_17rocblas_diagonal_iiT3_T4_lilT5_lili
	.p2align	8
	.type	_ZL38rocblas_trsm_small_left_device_sharedBILi20ELi20ELb1EddPKdPdEv13rocblas_fill_18rocblas_operation_17rocblas_diagonal_iiT3_T4_lilT5_lili,@function
_ZL38rocblas_trsm_small_left_device_sharedBILi20ELi20ELb1EddPKdPdEv13rocblas_fill_18rocblas_operation_17rocblas_diagonal_iiT3_T4_lilT5_lili: ; @_ZL38rocblas_trsm_small_left_device_sharedBILi20ELi20ELb1EddPKdPdEv13rocblas_fill_18rocblas_operation_17rocblas_diagonal_iiT3_T4_lilT5_lili
; %bb.0:
	s_load_b32 s19, s[0:1], 0x60
	s_bfe_u32 s2, ttmp6, 0x40014
	s_lshr_b32 s3, ttmp7, 16
	s_add_co_i32 s2, s2, 1
	s_bfe_u32 s5, ttmp6, 0x40008
	s_mul_i32 s4, s3, s2
	s_getreg_b32 s2, hwreg(HW_REG_IB_STS2, 6, 4)
	s_add_co_i32 s5, s5, s4
	s_cmp_eq_u32 s2, 0
	s_cselect_b32 s23, s3, s5
	s_wait_kmcnt 0x0
	s_cmp_ge_u32 s23, s19
	s_cbranch_scc1 .LBB89_57
; %bb.1:
	s_clause 0x4
	s_load_b96 s[16:18], s[0:1], 0x28
	s_load_b96 s[20:22], s[0:1], 0x48
	s_load_b128 s[12:15], s[0:1], 0x4
	s_load_b32 s3, s[0:1], 0x68
	s_load_b64 s[26:27], s[0:1], 0x58
	s_bfe_u32 s8, ttmp6, 0x4000c
	s_load_b128 s[4:7], s[0:1], 0x18
	s_add_co_i32 s8, s8, 1
	s_and_b32 s24, ttmp6, 15
	s_mul_i32 s25, ttmp9, s8
	s_load_b128 s[8:11], s[0:1], 0x38
	s_wait_xcnt 0x0
	s_add_co_i32 s0, s24, s25
	v_dual_mov_b32 v3, 0 :: v_dual_lshlrev_b32 v2, 3, v0
	s_delay_alu instid0(VALU_DEP_1)
	v_add_nc_u32_e32 v10, 0xc80, v2
	s_wait_kmcnt 0x0
	s_ashr_i32 s29, s18, 31
	s_ashr_i32 s25, s22, 31
	s_min_i32 s1, s14, 20
	s_add_co_i32 s3, s3, -1
	s_add_co_i32 s24, s1, -1
	s_cmp_eq_u32 s2, 0
	s_mov_b32 s28, s18
	s_cselect_b32 s0, ttmp9, s0
	s_delay_alu instid0(SALU_CYCLE_1) | instskip(NEXT) | instid1(SALU_CYCLE_1)
	s_mul_i32 s2, s0, 0xffffffec
	s_add_co_i32 s15, s15, s2
	s_cmp_ge_u32 s0, s3
	s_mul_i32 s2, s0, 20
	s_cselect_b32 s0, s15, 20
	s_ashr_i32 s3, s2, 31
	s_cmp_lg_u32 s13, 0x84
	v_lshl_add_u64 v[6:7], s[2:3], 3, v[2:3]
	s_cselect_b32 s13, -1, 0
	s_cmp_gt_i32 s14, 0
	v_cmp_gt_i32_e32 vcc_lo, s0, v0
	s_cselect_b32 s14, -1, 0
	s_cmp_lg_u32 s12, 0x6f
	v_cmp_gt_i32_e64 s0, s1, v0
	s_cselect_b32 s12, -1, 0
	s_lshl_b64 s[2:3], s[20:21], 3
	s_lshl_b32 s15, s1, 3
	s_add_nc_u64 s[2:3], s[10:11], s[2:3]
	s_and_b32 s14, vcc_lo, s14
	v_mad_nc_u64_u32 v[4:5], v6, s22, s[2:3]
	s_lshl_b64 s[2:3], s[16:17], 3
	s_lshl_b64 s[10:11], s[26:27], 3
	s_add_nc_u64 s[2:3], s[6:7], s[2:3]
	s_lshl_b64 s[6:7], s[28:29], 3
	s_add_co_i32 s15, s15, -8
	s_delay_alu instid0(VALU_DEP_1) | instskip(SKIP_1) | instid1(VALU_DEP_2)
	v_mad_u32 v1, v7, s22, v5
	v_mul_u32_u24_e32 v7, 0xa0, v0
	v_mad_u32 v5, v6, s25, v1
	v_add_nc_u64_e32 v[0:1], s[2:3], v[2:3]
	s_delay_alu instid0(VALU_DEP_3)
	v_add_nc_u32_e32 v3, v2, v7
	s_lshl_b64 s[2:3], s[8:9], 3
	s_get_pc_i64 s[8:9]
	s_add_nc_u64 s[8:9], s[8:9], __const._ZL38rocblas_trsm_small_left_device_sharedBILi20ELi20ELb1EddPKdPdEv13rocblas_fill_18rocblas_operation_17rocblas_diagonal_iiT3_T4_lilT5_lili.step_sizes@rel64+4
	s_branch .LBB89_3
.LBB89_2:                               ;   in Loop: Header=BB89_3 Depth=1
	s_or_b32 exec_lo, exec_lo, s16
	s_add_co_i32 s23, s23, 0x10000
	s_delay_alu instid0(SALU_CYCLE_1)
	s_cmp_lt_u32 s23, s19
	s_cbranch_scc0 .LBB89_57
.LBB89_3:                               ; =>This Loop Header: Depth=1
                                        ;     Child Loop BB89_5 Depth 2
                                        ;     Child Loop BB89_11 Depth 2
	;; [unrolled: 1-line block ×3, first 2 shown]
                                        ;       Child Loop BB89_18 Depth 3
                                        ;         Child Loop BB89_19 Depth 4
                                        ;         Child Loop BB89_21 Depth 4
                                        ;           Child Loop BB89_22 Depth 5
                                        ;         Child Loop BB89_26 Depth 4
                                        ;           Child Loop BB89_28 Depth 5
                                        ;     Child Loop BB89_36 Depth 2
                                        ;       Child Loop BB89_39 Depth 3
                                        ;         Child Loop BB89_40 Depth 4
                                        ;         Child Loop BB89_43 Depth 4
                                        ;           Child Loop BB89_44 Depth 5
                                        ;         Child Loop BB89_48 Depth 4
                                        ;           Child Loop BB89_50 Depth 5
                                        ;     Child Loop BB89_56 Depth 2
	s_and_saveexec_b32 s16, s0
	s_cbranch_execz .LBB89_9
; %bb.4:                                ;   in Loop: Header=BB89_3 Depth=1
	v_mad_nc_u64_u32 v[6:7], s2, s23, v[0:1]
	v_mov_b32_e32 v8, v2
	s_mov_b32 s17, s1
	s_delay_alu instid0(VALU_DEP_2)
	v_mad_u32 v7, s3, s23, v7
.LBB89_5:                               ;   Parent Loop BB89_3 Depth=1
                                        ; =>  This Inner Loop Header: Depth=2
	global_load_b64 v[12:13], v[6:7], off
	s_wait_xcnt 0x0
	v_add_nc_u64_e32 v[6:7], s[6:7], v[6:7]
	s_add_co_i32 s17, s17, -1
	s_delay_alu instid0(SALU_CYCLE_1)
	s_cmp_eq_u32 s17, 0
	s_wait_loadcnt 0x0
	ds_store_b64 v8, v[12:13]
	v_add_nc_u32_e32 v8, 0xa0, v8
	s_cbranch_scc0 .LBB89_5
; %bb.6:                                ;   in Loop: Header=BB89_3 Depth=1
	v_mov_b64_e32 v[6:7], 1.0
	s_and_b32 vcc_lo, exec_lo, s13
	s_cbranch_vccz .LBB89_8
; %bb.7:                                ;   in Loop: Header=BB89_3 Depth=1
	ds_load_b64 v[6:7], v3
	s_wait_dscnt 0x0
	v_div_scale_f64 v[8:9], null, v[6:7], v[6:7], 1.0
	s_delay_alu instid0(VALU_DEP_1) | instskip(SKIP_1) | instid1(TRANS32_DEP_1)
	v_rcp_f64_e32 v[12:13], v[8:9]
	v_nop
	v_fma_f64 v[14:15], -v[8:9], v[12:13], 1.0
	s_delay_alu instid0(VALU_DEP_1) | instskip(NEXT) | instid1(VALU_DEP_1)
	v_fmac_f64_e32 v[12:13], v[12:13], v[14:15]
	v_fma_f64 v[14:15], -v[8:9], v[12:13], 1.0
	s_delay_alu instid0(VALU_DEP_1) | instskip(SKIP_1) | instid1(VALU_DEP_1)
	v_fmac_f64_e32 v[12:13], v[12:13], v[14:15]
	v_div_scale_f64 v[14:15], vcc_lo, 1.0, v[6:7], 1.0
	v_mul_f64_e32 v[16:17], v[14:15], v[12:13]
	s_delay_alu instid0(VALU_DEP_1) | instskip(NEXT) | instid1(VALU_DEP_1)
	v_fma_f64 v[8:9], -v[8:9], v[16:17], v[14:15]
	v_div_fmas_f64 v[8:9], v[8:9], v[12:13], v[16:17]
	s_delay_alu instid0(VALU_DEP_1)
	v_div_fixup_f64 v[6:7], v[8:9], v[6:7], 1.0
.LBB89_8:                               ;   in Loop: Header=BB89_3 Depth=1
	ds_store_b64 v3, v[6:7]
.LBB89_9:                               ;   in Loop: Header=BB89_3 Depth=1
	s_or_b32 exec_lo, exec_lo, s16
	s_delay_alu instid0(VALU_DEP_3) | instskip(NEXT) | instid1(VALU_DEP_1)
	v_mad_nc_u64_u32 v[6:7], s10, s23, v[4:5]
	v_mad_u32 v7, s11, s23, v7
	s_and_saveexec_b32 s16, s14
	s_cbranch_execz .LBB89_12
; %bb.10:                               ;   in Loop: Header=BB89_3 Depth=1
	s_delay_alu instid0(VALU_DEP_1)
	v_mov_b64_e32 v[8:9], v[6:7]
	v_mov_b32_e32 v11, v10
	s_mov_b32 s17, s1
.LBB89_11:                              ;   Parent Loop BB89_3 Depth=1
                                        ; =>  This Inner Loop Header: Depth=2
	global_load_b64 v[12:13], v[8:9], off
	s_wait_xcnt 0x0
	v_add_nc_u64_e32 v[8:9], 8, v[8:9]
	s_add_co_i32 s17, s17, -1
	s_delay_alu instid0(SALU_CYCLE_1)
	s_cmp_lg_u32 s17, 0
	s_wait_loadcnt 0x0
	v_mul_f64_e32 v[12:13], s[4:5], v[12:13]
	ds_store_b64 v11, v[12:13]
	v_add_nc_u32_e32 v11, 0xa0, v11
	s_cbranch_scc1 .LBB89_11
.LBB89_12:                              ;   in Loop: Header=BB89_3 Depth=1
	s_or_b32 exec_lo, exec_lo, s16
	s_delay_alu instid0(SALU_CYCLE_1)
	s_and_not1_b32 vcc_lo, exec_lo, s12
	s_mov_b32 s16, -1
	s_wait_dscnt 0x0
	; wave barrier
	s_cbranch_vccnz .LBB89_33
; %bb.13:                               ;   in Loop: Header=BB89_3 Depth=1
	s_mov_b32 s17, 0
	s_mov_b32 s16, s24
	s_branch .LBB89_15
.LBB89_14:                              ;   in Loop: Header=BB89_15 Depth=2
	s_cmp_gt_i32 s16, -1
	s_cselect_b32 s18, -1, 0
	s_add_co_i32 s20, s17, 1
	s_cmp_lt_u32 s17, 2
	s_wait_xcnt 0x0
	s_cselect_b32 s17, -1, 0
	s_delay_alu instid0(SALU_CYCLE_1) | instskip(NEXT) | instid1(SALU_CYCLE_1)
	s_and_b32 s17, s18, s17
	s_and_b32 vcc_lo, exec_lo, s17
	s_mov_b32 s17, s20
	s_cbranch_vccz .LBB89_32
.LBB89_15:                              ;   Parent Loop BB89_3 Depth=1
                                        ; =>  This Loop Header: Depth=2
                                        ;       Child Loop BB89_18 Depth 3
                                        ;         Child Loop BB89_19 Depth 4
                                        ;         Child Loop BB89_21 Depth 4
                                        ;           Child Loop BB89_22 Depth 5
                                        ;         Child Loop BB89_26 Depth 4
                                        ;           Child Loop BB89_28 Depth 5
	s_load_b32 s18, s[8:9], s17 offset:0x0 scale_offset
	s_wait_kmcnt 0x0
	s_add_co_i32 s20, s18, -1
	s_delay_alu instid0(SALU_CYCLE_1)
	s_cmp_lt_i32 s16, s20
	s_cbranch_scc1 .LBB89_14
; %bb.16:                               ;   in Loop: Header=BB89_15 Depth=2
	s_mul_i32 s25, s16, 0xa0
	s_max_i32 s21, s18, 1
	v_add_nc_u32_e32 v11, s25, v10
	s_mul_i32 s22, s18, 0xffffff60
	s_add_co_i32 s25, s15, s25
	s_mul_i32 s26, s16, 0xa8
	s_mul_i32 s27, s18, 0xffffff58
	s_branch .LBB89_18
.LBB89_17:                              ;   in Loop: Header=BB89_18 Depth=3
	v_add_nc_u32_e32 v11, s22, v11
	s_sub_co_i32 s16, s16, s18
	s_add_co_i32 s25, s25, s22
	s_add_co_i32 s26, s26, s27
	s_cmp_lt_i32 s16, s20
	s_cbranch_scc1 .LBB89_14
.LBB89_18:                              ;   Parent Loop BB89_3 Depth=1
                                        ;     Parent Loop BB89_15 Depth=2
                                        ; =>    This Loop Header: Depth=3
                                        ;         Child Loop BB89_19 Depth 4
                                        ;         Child Loop BB89_21 Depth 4
                                        ;           Child Loop BB89_22 Depth 5
                                        ;         Child Loop BB89_26 Depth 4
                                        ;           Child Loop BB89_28 Depth 5
	s_wait_xcnt 0x0
	v_mov_b32_e32 v8, v11
	s_mov_b32 s28, 0
	s_mov_b32 s29, s21
.LBB89_19:                              ;   Parent Loop BB89_3 Depth=1
                                        ;     Parent Loop BB89_15 Depth=2
                                        ;       Parent Loop BB89_18 Depth=3
                                        ; =>      This Inner Loop Header: Depth=4
	ds_load_b64 v[12:13], v8
	v_add_nc_u32_e32 v8, 0xffffff60, v8
	s_add_co_i32 s29, s29, -1
	s_wait_dscnt 0x0
	scratch_store_b64 off, v[12:13], s28
	s_wait_xcnt 0x0
	s_add_co_i32 s28, s28, 8
	s_cmp_eq_u32 s29, 0
	s_cbranch_scc0 .LBB89_19
; %bb.20:                               ;   in Loop: Header=BB89_18 Depth=3
	s_cmp_le_i32 s24, s16
	s_mov_b32 s28, s25
	s_mov_b32 s29, s24
	s_cbranch_scc1 .LBB89_24
.LBB89_21:                              ;   Parent Loop BB89_3 Depth=1
                                        ;     Parent Loop BB89_15 Depth=2
                                        ;       Parent Loop BB89_18 Depth=3
                                        ; =>      This Loop Header: Depth=4
                                        ;           Child Loop BB89_22 Depth 5
	v_mad_u32 v8, 0xa0, s29, v10
	s_mov_b32 s30, 0
	s_mov_b32 s31, s28
	s_mov_b32 s33, s21
	ds_load_b64 v[8:9], v8
.LBB89_22:                              ;   Parent Loop BB89_3 Depth=1
                                        ;     Parent Loop BB89_15 Depth=2
                                        ;       Parent Loop BB89_18 Depth=3
                                        ;         Parent Loop BB89_21 Depth=4
                                        ; =>        This Inner Loop Header: Depth=5
	scratch_load_b64 v[12:13], off, s30
	v_mov_b32_e32 v14, s31
	s_add_co_i32 s33, s33, -1
	s_addk_co_i32 s31, 0xff60
	ds_load_b64 v[14:15], v14
	s_wait_loadcnt_dscnt 0x0
	v_fma_f64 v[12:13], -v[8:9], v[14:15], v[12:13]
	scratch_store_b64 off, v[12:13], s30
	s_wait_xcnt 0x0
	s_add_co_i32 s30, s30, 8
	s_cmp_eq_u32 s33, 0
	s_cbranch_scc0 .LBB89_22
; %bb.23:                               ;   in Loop: Header=BB89_21 Depth=4
	s_add_co_i32 s29, s29, -1
	s_add_co_i32 s28, s28, -8
	s_cmp_le_i32 s29, s16
	s_cbranch_scc0 .LBB89_21
.LBB89_24:                              ;   in Loop: Header=BB89_18 Depth=3
	s_mul_i32 s28, s16, 0xa0
	s_mov_b32 s29, 0
	s_mov_b32 s30, s26
	s_branch .LBB89_26
.LBB89_25:                              ;   in Loop: Header=BB89_26 Depth=4
	s_wait_xcnt 0x0
	s_mulk_i32 s33, 0xa8
	s_addk_co_i32 s30, 0xff60
	v_mov_b32_e32 v12, s33
	s_lshl_b32 s33, s29, 3
	s_add_co_i32 s29, s29, 1
	s_delay_alu instid0(SALU_CYCLE_1)
	s_cmp_eq_u32 s29, s21
	ds_load_b64 v[12:13], v12
	s_wait_loadcnt_dscnt 0x0
	v_dual_mul_f64 v[8:9], v[12:13], v[8:9] :: v_dual_add_nc_u32 v12, s31, v10
	scratch_store_b64 off, v[8:9], s33
	ds_store_b64 v12, v[8:9]
	s_cbranch_scc1 .LBB89_17
.LBB89_26:                              ;   Parent Loop BB89_3 Depth=1
                                        ;     Parent Loop BB89_15 Depth=2
                                        ;       Parent Loop BB89_18 Depth=3
                                        ; =>      This Loop Header: Depth=4
                                        ;           Child Loop BB89_28 Depth 5
	s_cmp_lg_u32 s29, 0
	s_cbranch_scc0 .LBB89_30
; %bb.27:                               ;   in Loop: Header=BB89_26 Depth=4
	s_lshl_b32 s34, s29, 3
	s_wait_xcnt 0x0
	s_sub_co_i32 s33, s16, s29
	scratch_load_b64 v[8:9], off, s34
	s_mul_i32 s31, s33, 0xa0
	s_mov_b32 s35, 0
	s_mov_b32 s36, s30
	;; [unrolled: 1-line block ×3, first 2 shown]
.LBB89_28:                              ;   Parent Loop BB89_3 Depth=1
                                        ;     Parent Loop BB89_15 Depth=2
                                        ;       Parent Loop BB89_18 Depth=3
                                        ;         Parent Loop BB89_26 Depth=4
                                        ; =>        This Inner Loop Header: Depth=5
	scratch_load_b64 v[12:13], off, s35
	v_mov_b32_e32 v14, s36
	s_add_co_i32 s37, s37, -1
	s_add_co_i32 s36, s36, -8
	s_wait_xcnt 0x0
	s_add_co_i32 s35, s35, 8
	s_cmp_eq_u32 s37, 0
	ds_load_b64 v[14:15], v14
	s_wait_loadcnt_dscnt 0x0
	v_fma_f64 v[8:9], -v[12:13], v[14:15], v[8:9]
	scratch_store_b64 off, v[8:9], s34
	s_cbranch_scc0 .LBB89_28
; %bb.29:                               ;   in Loop: Header=BB89_26 Depth=4
	s_wait_xcnt 0x0
	s_branch .LBB89_25
.LBB89_30:                              ;   in Loop: Header=BB89_26 Depth=4
                                        ; implicit-def: $vgpr8_vgpr9
                                        ; implicit-def: $sgpr33
                                        ; implicit-def: $sgpr31
	s_cbranch_execz .LBB89_25
; %bb.31:                               ;   in Loop: Header=BB89_26 Depth=4
	scratch_load_b64 v[8:9], off, off
	s_mov_b32 s31, s28
	s_mov_b32 s33, s16
	s_branch .LBB89_25
.LBB89_32:                              ;   in Loop: Header=BB89_3 Depth=1
	s_mov_b32 s16, 0
.LBB89_33:                              ;   in Loop: Header=BB89_3 Depth=1
	s_delay_alu instid0(SALU_CYCLE_1)
	s_and_b32 vcc_lo, exec_lo, s16
	s_cbranch_vccz .LBB89_54
; %bb.34:                               ;   in Loop: Header=BB89_3 Depth=1
	s_mov_b32 s16, 0
	s_mov_b32 s17, 0
	s_branch .LBB89_36
.LBB89_35:                              ;   in Loop: Header=BB89_36 Depth=2
	s_cmp_lt_i32 s16, s1
	s_cselect_b32 s18, -1, 0
	s_add_co_i32 s20, s17, 1
	s_cmp_lt_u32 s17, 2
	s_wait_xcnt 0x0
	s_cselect_b32 s17, -1, 0
	s_delay_alu instid0(SALU_CYCLE_1) | instskip(NEXT) | instid1(SALU_CYCLE_1)
	s_and_b32 s17, s18, s17
	s_and_not1_b32 vcc_lo, exec_lo, s17
	s_mov_b32 s17, s20
	s_cbranch_vccnz .LBB89_54
.LBB89_36:                              ;   Parent Loop BB89_3 Depth=1
                                        ; =>  This Loop Header: Depth=2
                                        ;       Child Loop BB89_39 Depth 3
                                        ;         Child Loop BB89_40 Depth 4
                                        ;         Child Loop BB89_43 Depth 4
                                        ;           Child Loop BB89_44 Depth 5
                                        ;         Child Loop BB89_48 Depth 4
                                        ;           Child Loop BB89_50 Depth 5
	s_load_b32 s18, s[8:9], s17 offset:0x0 scale_offset
	s_wait_kmcnt 0x0
	s_add_co_i32 s20, s18, -1
	s_delay_alu instid0(SALU_CYCLE_1) | instskip(NEXT) | instid1(SALU_CYCLE_1)
	s_add_co_i32 s21, s20, s16
	s_cmp_ge_i32 s21, s1
	s_cbranch_scc1 .LBB89_35
; %bb.37:                               ;   in Loop: Header=BB89_36 Depth=2
	v_mad_u32 v11, 0xa0, s16, v10
	s_max_i32 s21, s18, 1
	s_mul_i32 s22, s18, 0xa0
	s_lshl_b32 s25, s16, 3
	s_lshl_b32 s26, s18, 3
	s_mul_i32 s27, s16, 0xa8
	s_mul_i32 s28, s18, 0xa8
	s_branch .LBB89_39
.LBB89_38:                              ;   in Loop: Header=BB89_39 Depth=3
	s_add_co_i32 s16, s16, s18
	v_add_nc_u32_e32 v11, s22, v11
	s_add_co_i32 s29, s20, s16
	s_add_co_i32 s25, s25, s26
	;; [unrolled: 1-line block ×3, first 2 shown]
	s_cmp_ge_i32 s29, s1
	s_cbranch_scc1 .LBB89_35
.LBB89_39:                              ;   Parent Loop BB89_3 Depth=1
                                        ;     Parent Loop BB89_36 Depth=2
                                        ; =>    This Loop Header: Depth=3
                                        ;         Child Loop BB89_40 Depth 4
                                        ;         Child Loop BB89_43 Depth 4
                                        ;           Child Loop BB89_44 Depth 5
                                        ;         Child Loop BB89_48 Depth 4
                                        ;           Child Loop BB89_50 Depth 5
	s_wait_xcnt 0x0
	s_delay_alu instid0(VALU_DEP_1)
	v_mov_b32_e32 v8, v11
	s_mov_b32 s29, 0
	s_mov_b32 s30, s21
.LBB89_40:                              ;   Parent Loop BB89_3 Depth=1
                                        ;     Parent Loop BB89_36 Depth=2
                                        ;       Parent Loop BB89_39 Depth=3
                                        ; =>      This Inner Loop Header: Depth=4
	ds_load_b64 v[12:13], v8
	v_add_nc_u32_e32 v8, 0xa0, v8
	s_add_co_i32 s30, s30, -1
	s_wait_dscnt 0x0
	scratch_store_b64 off, v[12:13], s29
	s_wait_xcnt 0x0
	s_add_co_i32 s29, s29, 8
	s_cmp_eq_u32 s30, 0
	s_cbranch_scc0 .LBB89_40
; %bb.41:                               ;   in Loop: Header=BB89_39 Depth=3
	s_cmp_lt_i32 s16, 1
	s_cbranch_scc1 .LBB89_46
; %bb.42:                               ;   in Loop: Header=BB89_39 Depth=3
	s_mov_b32 s29, 0
	s_mov_b32 s30, s25
.LBB89_43:                              ;   Parent Loop BB89_3 Depth=1
                                        ;     Parent Loop BB89_36 Depth=2
                                        ;       Parent Loop BB89_39 Depth=3
                                        ; =>      This Loop Header: Depth=4
                                        ;           Child Loop BB89_44 Depth 5
	v_mad_u32 v8, 0xa0, s29, v10
	s_mov_b32 s31, 0
	s_mov_b32 s33, s30
	;; [unrolled: 1-line block ×3, first 2 shown]
	ds_load_b64 v[8:9], v8
.LBB89_44:                              ;   Parent Loop BB89_3 Depth=1
                                        ;     Parent Loop BB89_36 Depth=2
                                        ;       Parent Loop BB89_39 Depth=3
                                        ;         Parent Loop BB89_43 Depth=4
                                        ; =>        This Inner Loop Header: Depth=5
	scratch_load_b64 v[12:13], off, s31
	v_mov_b32_e32 v14, s33
	s_add_co_i32 s34, s34, -1
	s_add_co_i32 s33, s33, 8
	ds_load_b64 v[14:15], v14
	s_wait_loadcnt_dscnt 0x0
	v_fma_f64 v[12:13], -v[8:9], v[14:15], v[12:13]
	scratch_store_b64 off, v[12:13], s31
	s_wait_xcnt 0x0
	s_add_co_i32 s31, s31, 8
	s_cmp_eq_u32 s34, 0
	s_cbranch_scc0 .LBB89_44
; %bb.45:                               ;   in Loop: Header=BB89_43 Depth=4
	s_add_co_i32 s29, s29, 1
	s_addk_co_i32 s30, 0xa0
	s_cmp_eq_u32 s29, s16
	s_cbranch_scc0 .LBB89_43
.LBB89_46:                              ;   in Loop: Header=BB89_39 Depth=3
	s_mov_b32 s29, 0
	s_mov_b32 s30, s27
	s_branch .LBB89_48
.LBB89_47:                              ;   in Loop: Header=BB89_48 Depth=4
	s_add_co_i32 s31, s29, s16
	s_add_co_i32 s30, s30, 8
	s_mul_i32 s33, s31, 0xa8
	s_delay_alu instid0(SALU_CYCLE_1)
	v_mov_b32_e32 v12, s33
	ds_load_b64 v[12:13], v12
	s_wait_loadcnt_dscnt 0x0
	v_mul_f64_e32 v[8:9], v[12:13], v[8:9]
	v_mad_u32 v12, 0xa0, s31, v10
	s_lshl_b32 s31, s29, 3
	s_add_co_i32 s29, s29, 1
	s_delay_alu instid0(SALU_CYCLE_1)
	s_cmp_eq_u32 s29, s21
	scratch_store_b64 off, v[8:9], s31
	ds_store_b64 v12, v[8:9]
	s_cbranch_scc1 .LBB89_38
.LBB89_48:                              ;   Parent Loop BB89_3 Depth=1
                                        ;     Parent Loop BB89_36 Depth=2
                                        ;       Parent Loop BB89_39 Depth=3
                                        ; =>      This Loop Header: Depth=4
                                        ;           Child Loop BB89_50 Depth 5
	s_cmp_lg_u32 s29, 0
	s_cbranch_scc0 .LBB89_52
; %bb.49:                               ;   in Loop: Header=BB89_48 Depth=4
	s_wait_xcnt 0x0
	s_lshl_b32 s31, s29, 3
	s_mov_b32 s33, 0
	scratch_load_b64 v[8:9], off, s31
	s_mov_b32 s34, s30
	s_mov_b32 s35, s29
.LBB89_50:                              ;   Parent Loop BB89_3 Depth=1
                                        ;     Parent Loop BB89_36 Depth=2
                                        ;       Parent Loop BB89_39 Depth=3
                                        ;         Parent Loop BB89_48 Depth=4
                                        ; =>        This Inner Loop Header: Depth=5
	scratch_load_b64 v[12:13], off, s33
	v_mov_b32_e32 v14, s34
	s_add_co_i32 s35, s35, -1
	s_addk_co_i32 s34, 0xa0
	s_wait_xcnt 0x0
	s_add_co_i32 s33, s33, 8
	s_cmp_eq_u32 s35, 0
	ds_load_b64 v[14:15], v14
	s_wait_loadcnt_dscnt 0x0
	v_fma_f64 v[8:9], -v[12:13], v[14:15], v[8:9]
	scratch_store_b64 off, v[8:9], s31
	s_cbranch_scc0 .LBB89_50
; %bb.51:                               ;   in Loop: Header=BB89_48 Depth=4
	s_wait_xcnt 0x0
	s_branch .LBB89_47
.LBB89_52:                              ;   in Loop: Header=BB89_48 Depth=4
	s_wait_xcnt 0x0
                                        ; implicit-def: $vgpr8_vgpr9
	s_cbranch_execz .LBB89_47
; %bb.53:                               ;   in Loop: Header=BB89_48 Depth=4
	scratch_load_b64 v[8:9], off, off
	s_branch .LBB89_47
.LBB89_54:                              ;   in Loop: Header=BB89_3 Depth=1
	; wave barrier
	s_wait_storecnt_dscnt 0x0
	s_wait_xcnt 0x0
	s_and_saveexec_b32 s16, s14
	s_cbranch_execz .LBB89_2
; %bb.55:                               ;   in Loop: Header=BB89_3 Depth=1
	v_mov_b32_e32 v8, v10
	s_mov_b32 s17, s1
.LBB89_56:                              ;   Parent Loop BB89_3 Depth=1
                                        ; =>  This Inner Loop Header: Depth=2
	ds_load_b64 v[12:13], v8
	v_add_nc_u32_e32 v8, 0xa0, v8
	s_add_co_i32 s17, s17, -1
	s_delay_alu instid0(SALU_CYCLE_1)
	s_cmp_lg_u32 s17, 0
	s_wait_dscnt 0x0
	global_store_b64 v[6:7], v[12:13], off
	s_wait_xcnt 0x0
	v_add_nc_u64_e32 v[6:7], 8, v[6:7]
	s_cbranch_scc1 .LBB89_56
	s_branch .LBB89_2
.LBB89_57:
	s_endpgm
	.section	.rodata,"a",@progbits
	.p2align	6, 0x0
	.amdhsa_kernel _ZL38rocblas_trsm_small_left_device_sharedBILi20ELi20ELb1EddPKdPdEv13rocblas_fill_18rocblas_operation_17rocblas_diagonal_iiT3_T4_lilT5_lili
		.amdhsa_group_segment_fixed_size 6400
		.amdhsa_private_segment_fixed_size 176
		.amdhsa_kernarg_size 360
		.amdhsa_user_sgpr_count 2
		.amdhsa_user_sgpr_dispatch_ptr 0
		.amdhsa_user_sgpr_queue_ptr 0
		.amdhsa_user_sgpr_kernarg_segment_ptr 1
		.amdhsa_user_sgpr_dispatch_id 0
		.amdhsa_user_sgpr_kernarg_preload_length 0
		.amdhsa_user_sgpr_kernarg_preload_offset 0
		.amdhsa_user_sgpr_private_segment_size 0
		.amdhsa_wavefront_size32 1
		.amdhsa_uses_dynamic_stack 0
		.amdhsa_enable_private_segment 1
		.amdhsa_system_sgpr_workgroup_id_x 1
		.amdhsa_system_sgpr_workgroup_id_y 0
		.amdhsa_system_sgpr_workgroup_id_z 1
		.amdhsa_system_sgpr_workgroup_info 0
		.amdhsa_system_vgpr_workitem_id 0
		.amdhsa_next_free_vgpr 18
		.amdhsa_next_free_sgpr 38
		.amdhsa_named_barrier_count 0
		.amdhsa_reserve_vcc 1
		.amdhsa_float_round_mode_32 0
		.amdhsa_float_round_mode_16_64 0
		.amdhsa_float_denorm_mode_32 3
		.amdhsa_float_denorm_mode_16_64 3
		.amdhsa_fp16_overflow 0
		.amdhsa_memory_ordered 1
		.amdhsa_forward_progress 1
		.amdhsa_inst_pref_size 17
		.amdhsa_round_robin_scheduling 0
		.amdhsa_exception_fp_ieee_invalid_op 0
		.amdhsa_exception_fp_denorm_src 0
		.amdhsa_exception_fp_ieee_div_zero 0
		.amdhsa_exception_fp_ieee_overflow 0
		.amdhsa_exception_fp_ieee_underflow 0
		.amdhsa_exception_fp_ieee_inexact 0
		.amdhsa_exception_int_div_zero 0
	.end_amdhsa_kernel
	.section	.text._ZL38rocblas_trsm_small_left_device_sharedBILi20ELi20ELb1EddPKdPdEv13rocblas_fill_18rocblas_operation_17rocblas_diagonal_iiT3_T4_lilT5_lili,"axG",@progbits,_ZL38rocblas_trsm_small_left_device_sharedBILi20ELi20ELb1EddPKdPdEv13rocblas_fill_18rocblas_operation_17rocblas_diagonal_iiT3_T4_lilT5_lili,comdat
.Lfunc_end89:
	.size	_ZL38rocblas_trsm_small_left_device_sharedBILi20ELi20ELb1EddPKdPdEv13rocblas_fill_18rocblas_operation_17rocblas_diagonal_iiT3_T4_lilT5_lili, .Lfunc_end89-_ZL38rocblas_trsm_small_left_device_sharedBILi20ELi20ELb1EddPKdPdEv13rocblas_fill_18rocblas_operation_17rocblas_diagonal_iiT3_T4_lilT5_lili
                                        ; -- End function
	.set _ZL38rocblas_trsm_small_left_device_sharedBILi20ELi20ELb1EddPKdPdEv13rocblas_fill_18rocblas_operation_17rocblas_diagonal_iiT3_T4_lilT5_lili.num_vgpr, 18
	.set _ZL38rocblas_trsm_small_left_device_sharedBILi20ELi20ELb1EddPKdPdEv13rocblas_fill_18rocblas_operation_17rocblas_diagonal_iiT3_T4_lilT5_lili.num_agpr, 0
	.set _ZL38rocblas_trsm_small_left_device_sharedBILi20ELi20ELb1EddPKdPdEv13rocblas_fill_18rocblas_operation_17rocblas_diagonal_iiT3_T4_lilT5_lili.numbered_sgpr, 38
	.set _ZL38rocblas_trsm_small_left_device_sharedBILi20ELi20ELb1EddPKdPdEv13rocblas_fill_18rocblas_operation_17rocblas_diagonal_iiT3_T4_lilT5_lili.num_named_barrier, 0
	.set _ZL38rocblas_trsm_small_left_device_sharedBILi20ELi20ELb1EddPKdPdEv13rocblas_fill_18rocblas_operation_17rocblas_diagonal_iiT3_T4_lilT5_lili.private_seg_size, 176
	.set _ZL38rocblas_trsm_small_left_device_sharedBILi20ELi20ELb1EddPKdPdEv13rocblas_fill_18rocblas_operation_17rocblas_diagonal_iiT3_T4_lilT5_lili.uses_vcc, 1
	.set _ZL38rocblas_trsm_small_left_device_sharedBILi20ELi20ELb1EddPKdPdEv13rocblas_fill_18rocblas_operation_17rocblas_diagonal_iiT3_T4_lilT5_lili.uses_flat_scratch, 0
	.set _ZL38rocblas_trsm_small_left_device_sharedBILi20ELi20ELb1EddPKdPdEv13rocblas_fill_18rocblas_operation_17rocblas_diagonal_iiT3_T4_lilT5_lili.has_dyn_sized_stack, 0
	.set _ZL38rocblas_trsm_small_left_device_sharedBILi20ELi20ELb1EddPKdPdEv13rocblas_fill_18rocblas_operation_17rocblas_diagonal_iiT3_T4_lilT5_lili.has_recursion, 0
	.set _ZL38rocblas_trsm_small_left_device_sharedBILi20ELi20ELb1EddPKdPdEv13rocblas_fill_18rocblas_operation_17rocblas_diagonal_iiT3_T4_lilT5_lili.has_indirect_call, 0
	.section	.AMDGPU.csdata,"",@progbits
; Kernel info:
; codeLenInByte = 2124
; TotalNumSgprs: 40
; NumVgprs: 18
; ScratchSize: 176
; MemoryBound: 0
; FloatMode: 240
; IeeeMode: 1
; LDSByteSize: 6400 bytes/workgroup (compile time only)
; SGPRBlocks: 0
; VGPRBlocks: 1
; NumSGPRsForWavesPerEU: 40
; NumVGPRsForWavesPerEU: 18
; NamedBarCnt: 0
; Occupancy: 13
; WaveLimiterHint : 0
; COMPUTE_PGM_RSRC2:SCRATCH_EN: 1
; COMPUTE_PGM_RSRC2:USER_SGPR: 2
; COMPUTE_PGM_RSRC2:TRAP_HANDLER: 0
; COMPUTE_PGM_RSRC2:TGID_X_EN: 1
; COMPUTE_PGM_RSRC2:TGID_Y_EN: 0
; COMPUTE_PGM_RSRC2:TGID_Z_EN: 1
; COMPUTE_PGM_RSRC2:TIDIG_COMP_CNT: 0
	.section	.text._ZL30rocblas_trsm_small_left_deviceILi20ELi20ELb1EddPKdPdEv13rocblas_fill_18rocblas_operation_17rocblas_diagonal_iiT3_T4_lilT5_lili,"axG",@progbits,_ZL30rocblas_trsm_small_left_deviceILi20ELi20ELb1EddPKdPdEv13rocblas_fill_18rocblas_operation_17rocblas_diagonal_iiT3_T4_lilT5_lili,comdat
	.globl	_ZL30rocblas_trsm_small_left_deviceILi20ELi20ELb1EddPKdPdEv13rocblas_fill_18rocblas_operation_17rocblas_diagonal_iiT3_T4_lilT5_lili ; -- Begin function _ZL30rocblas_trsm_small_left_deviceILi20ELi20ELb1EddPKdPdEv13rocblas_fill_18rocblas_operation_17rocblas_diagonal_iiT3_T4_lilT5_lili
	.p2align	8
	.type	_ZL30rocblas_trsm_small_left_deviceILi20ELi20ELb1EddPKdPdEv13rocblas_fill_18rocblas_operation_17rocblas_diagonal_iiT3_T4_lilT5_lili,@function
_ZL30rocblas_trsm_small_left_deviceILi20ELi20ELb1EddPKdPdEv13rocblas_fill_18rocblas_operation_17rocblas_diagonal_iiT3_T4_lilT5_lili: ; @_ZL30rocblas_trsm_small_left_deviceILi20ELi20ELb1EddPKdPdEv13rocblas_fill_18rocblas_operation_17rocblas_diagonal_iiT3_T4_lilT5_lili
; %bb.0:
	s_load_b32 s26, s[0:1], 0x60
	s_bfe_u32 s2, ttmp6, 0x40014
	s_lshr_b32 s4, ttmp7, 16
	s_add_co_i32 s2, s2, 1
	s_bfe_u32 s5, ttmp6, 0x40008
	s_mul_i32 s2, s4, s2
	s_getreg_b32 s3, hwreg(HW_REG_IB_STS2, 6, 4)
	s_add_co_i32 s5, s5, s2
	s_cmp_eq_u32 s3, 0
	s_mov_b32 s19, 0
	s_cselect_b32 s2, s4, s5
	s_wait_kmcnt 0x0
	s_cmp_ge_u32 s2, s26
	s_cbranch_scc1 .LBB90_54
; %bb.1:
	s_clause 0x4
	s_load_b96 s[16:18], s[0:1], 0x28
	s_load_b96 s[28:30], s[0:1], 0x48
	s_load_b128 s[8:11], s[0:1], 0x4
	s_load_b32 s22, s[0:1], 0x68
	s_load_b64 s[20:21], s[0:1], 0x58
	s_bfe_u32 s12, ttmp6, 0x4000c
	s_and_b32 s23, ttmp6, 15
	s_add_co_i32 s12, s12, 1
	s_load_b128 s[4:7], s[0:1], 0x18
	s_mul_i32 s24, ttmp9, s12
	s_load_b128 s[12:15], s[0:1], 0x38
	s_wait_xcnt 0x0
	s_add_co_i32 s0, s23, s24
	v_mul_u32_u24_e32 v1, 0xa0, v0
	s_mov_b32 s33, 0
                                        ; implicit-def: $sgpr34
                                        ; implicit-def: $sgpr35
	s_wait_kmcnt 0x0
	s_ashr_i32 s23, s18, 31
	s_ashr_i32 s1, s30, 31
	s_min_i32 s27, s10, 20
	s_lshl_b64 s[24:25], s[28:29], 3
	s_add_co_i32 s10, s22, -1
	s_add_co_i32 s28, s27, -1
	s_cmp_eq_u32 s3, 0
	s_mov_b32 s22, s18
	s_cselect_b32 s3, ttmp9, s0
	s_mov_b32 s0, s30
	v_mad_u32 v2, s3, 20, v0
	s_add_nc_u64 s[14:15], s[14:15], s[24:25]
	s_delay_alu instid0(VALU_DEP_1) | instskip(NEXT) | instid1(VALU_DEP_1)
	v_ashrrev_i32_e32 v3, 31, v2
	v_mul_u64_e32 v[4:5], s[0:1], v[2:3]
	s_mul_i32 s0, s3, 0xffffffec
	v_lshlrev_b32_e32 v2, 3, v0
	s_add_co_i32 s0, s11, s0
	s_cmp_ge_u32 s3, s10
	v_mov_b32_e32 v3, 0
	s_cselect_b32 s1, s0, 20
	s_cmp_lg_u32 s9, 0x84
	v_add_nc_u32_e32 v14, v2, v1
	s_cselect_b32 s29, -1, 0
	s_cmp_lg_u32 s8, 0x6f
	v_cmp_gt_i32_e64 s0, s27, v0
	s_cselect_b32 s30, -1, 0
	s_lshl_b64 s[16:17], s[16:17], 3
	v_cmp_gt_i32_e64 s1, s1, v0
	s_add_nc_u64 s[6:7], s[6:7], s[16:17]
	s_lshl_b32 s31, s27, 3
	v_add_nc_u64_e32 v[0:1], s[6:7], v[2:3]
	s_lshl_b64 s[8:9], s[12:13], 3
	s_lshl_b64 s[10:11], s[22:23], 3
	;; [unrolled: 1-line block ×3, first 2 shown]
	s_add_co_i32 s31, s31, -8
	s_get_pc_i64 s[6:7]
	s_add_nc_u64 s[6:7], s[6:7], __const._ZL30rocblas_trsm_small_left_deviceILi20ELi20ELb1EddPKdPdEv13rocblas_fill_18rocblas_operation_17rocblas_diagonal_iiT3_T4_lilT5_lili.step_sizes@rel64+4
	v_lshl_add_u64 v[4:5], v[4:5], 3, s[14:15]
	s_branch .LBB90_4
.LBB90_2:                               ;   in Loop: Header=BB90_4 Depth=1
	s_add_co_i32 s2, s2, 0x10000
	s_delay_alu instid0(SALU_CYCLE_1)
	s_cmp_ge_u32 s2, s26
	s_cselect_b32 s3, -1, 0
	s_and_not1_b32 s35, s35, exec_lo
	s_or_not1_b32 s14, s3, exec_lo
.LBB90_3:                               ;   in Loop: Header=BB90_4 Depth=1
	s_wait_xcnt 0x0
	s_or_b32 exec_lo, exec_lo, s36
	s_delay_alu instid0(SALU_CYCLE_1) | instskip(NEXT) | instid1(SALU_CYCLE_1)
	s_and_b32 s3, exec_lo, s14
	s_or_b32 s33, s3, s33
	s_and_not1_b32 s3, s34, exec_lo
	s_and_b32 s14, s35, exec_lo
	s_delay_alu instid0(SALU_CYCLE_1)
	s_or_b32 s34, s3, s14
	s_and_not1_b32 exec_lo, exec_lo, s33
	s_cbranch_execz .LBB90_53
.LBB90_4:                               ; =>This Loop Header: Depth=1
                                        ;     Child Loop BB90_6 Depth 2
                                        ;     Child Loop BB90_14 Depth 2
                                        ;       Child Loop BB90_17 Depth 3
                                        ;         Child Loop BB90_18 Depth 4
                                        ;         Child Loop BB90_20 Depth 4
                                        ;           Child Loop BB90_21 Depth 5
                                        ;         Child Loop BB90_25 Depth 4
                                        ;           Child Loop BB90_27 Depth 5
                                        ;     Child Loop BB90_35 Depth 2
                                        ;       Child Loop BB90_38 Depth 3
                                        ;         Child Loop BB90_39 Depth 4
                                        ;         Child Loop BB90_42 Depth 4
                                        ;           Child Loop BB90_43 Depth 5
                                        ;         Child Loop BB90_47 Depth 4
                                        ;           Child Loop BB90_49 Depth 5
	s_mov_b32 s3, s19
	s_and_saveexec_b32 s14, s0
	s_cbranch_execz .LBB90_10
; %bb.5:                                ;   in Loop: Header=BB90_4 Depth=1
	v_mad_nc_u64_u32 v[6:7], s8, s2, v[0:1]
	v_mov_b32_e32 v3, v2
	s_mov_b32 s15, s27
	s_delay_alu instid0(VALU_DEP_2)
	v_mad_u32 v7, s9, s2, v7
.LBB90_6:                               ;   Parent Loop BB90_4 Depth=1
                                        ; =>  This Inner Loop Header: Depth=2
	global_load_b64 v[8:9], v[6:7], off
	s_wait_xcnt 0x0
	v_add_nc_u64_e32 v[6:7], s[10:11], v[6:7]
	s_add_co_i32 s15, s15, -1
	s_delay_alu instid0(SALU_CYCLE_1)
	s_cmp_eq_u32 s15, 0
	s_wait_loadcnt 0x0
	ds_store_b64 v3, v[8:9]
	v_add_nc_u32_e32 v3, 0xa0, v3
	s_cbranch_scc0 .LBB90_6
; %bb.7:                                ;   in Loop: Header=BB90_4 Depth=1
	v_mov_b64_e32 v[6:7], 1.0
	s_and_b32 vcc_lo, exec_lo, s29
	s_cbranch_vccz .LBB90_9
; %bb.8:                                ;   in Loop: Header=BB90_4 Depth=1
	ds_load_b64 v[6:7], v14
	s_wait_dscnt 0x0
	v_div_scale_f64 v[8:9], null, v[6:7], v[6:7], 1.0
	s_delay_alu instid0(VALU_DEP_1) | instskip(SKIP_1) | instid1(TRANS32_DEP_1)
	v_rcp_f64_e32 v[10:11], v[8:9]
	v_nop
	v_fma_f64 v[12:13], -v[8:9], v[10:11], 1.0
	s_delay_alu instid0(VALU_DEP_1) | instskip(NEXT) | instid1(VALU_DEP_1)
	v_fmac_f64_e32 v[10:11], v[10:11], v[12:13]
	v_fma_f64 v[12:13], -v[8:9], v[10:11], 1.0
	s_delay_alu instid0(VALU_DEP_1) | instskip(SKIP_1) | instid1(VALU_DEP_1)
	v_fmac_f64_e32 v[10:11], v[10:11], v[12:13]
	v_div_scale_f64 v[12:13], vcc_lo, 1.0, v[6:7], 1.0
	v_mul_f64_e32 v[16:17], v[12:13], v[10:11]
	s_delay_alu instid0(VALU_DEP_1) | instskip(NEXT) | instid1(VALU_DEP_1)
	v_fma_f64 v[8:9], -v[8:9], v[16:17], v[12:13]
	v_div_fmas_f64 v[8:9], v[8:9], v[10:11], v[16:17]
	s_delay_alu instid0(VALU_DEP_1)
	v_div_fixup_f64 v[6:7], v[8:9], v[6:7], 1.0
.LBB90_9:                               ;   in Loop: Header=BB90_4 Depth=1
	ds_store_b64 v14, v[6:7]
.LBB90_10:                              ;   in Loop: Header=BB90_4 Depth=1
	s_or_b32 exec_lo, exec_lo, s14
	s_mov_b32 s14, -1
	s_or_b32 s35, s35, exec_lo
	s_wait_dscnt 0x0
	; wave barrier
	s_and_saveexec_b32 s36, s1
	s_cbranch_execz .LBB90_3
; %bb.11:                               ;   in Loop: Header=BB90_4 Depth=1
	s_mul_u64 s[14:15], s[20:21], s[2:3]
	s_and_not1_b32 vcc_lo, exec_lo, s30
	v_lshl_add_u64 v[6:7], s[14:15], 3, v[4:5]
	s_mul_u64 s[14:15], s[12:13], s[2:3]
	s_mov_b32 s3, -1
	s_cbranch_vccnz .LBB90_32
; %bb.12:                               ;   in Loop: Header=BB90_4 Depth=1
	v_add_nc_u64_e32 v[8:9], s[14:15], v[4:5]
	s_mov_b32 s3, 0
	s_mov_b32 s16, s28
	s_branch .LBB90_14
.LBB90_13:                              ;   in Loop: Header=BB90_14 Depth=2
	s_cmp_gt_i32 s16, -1
	s_cselect_b32 s17, -1, 0
	s_add_co_i32 s18, s3, 1
	s_cmp_lt_u32 s3, 2
	s_wait_xcnt 0x0
	s_cselect_b32 s3, -1, 0
	s_delay_alu instid0(SALU_CYCLE_1) | instskip(NEXT) | instid1(SALU_CYCLE_1)
	s_and_b32 s3, s17, s3
	s_and_b32 vcc_lo, exec_lo, s3
	s_mov_b32 s3, s18
	s_cbranch_vccz .LBB90_31
.LBB90_14:                              ;   Parent Loop BB90_4 Depth=1
                                        ; =>  This Loop Header: Depth=2
                                        ;       Child Loop BB90_17 Depth 3
                                        ;         Child Loop BB90_18 Depth 4
                                        ;         Child Loop BB90_20 Depth 4
                                        ;           Child Loop BB90_21 Depth 5
                                        ;         Child Loop BB90_25 Depth 4
                                        ;           Child Loop BB90_27 Depth 5
	s_load_b32 s18, s[6:7], s3 offset:0x0 scale_offset
	s_wait_kmcnt 0x0
	s_add_co_i32 s37, s18, -1
	s_delay_alu instid0(SALU_CYCLE_1)
	s_cmp_lt_i32 s16, s37
	s_cbranch_scc1 .LBB90_13
; %bb.15:                               ;   in Loop: Header=BB90_14 Depth=2
	s_mul_i32 s17, s16, 0xa0
	s_max_i32 s38, s18, 1
	s_add_co_i32 s39, s31, s17
	s_mul_i32 s40, s18, 0xffffff60
	s_mul_i32 s41, s16, 0xa8
	;; [unrolled: 1-line block ×3, first 2 shown]
	s_branch .LBB90_17
.LBB90_16:                              ;   in Loop: Header=BB90_17 Depth=3
	s_sub_co_i32 s16, s16, s18
	s_add_co_i32 s39, s39, s40
	s_add_co_i32 s41, s41, s42
	s_cmp_lt_i32 s16, s37
	s_cbranch_scc1 .LBB90_13
.LBB90_17:                              ;   Parent Loop BB90_4 Depth=1
                                        ;     Parent Loop BB90_14 Depth=2
                                        ; =>    This Loop Header: Depth=3
                                        ;         Child Loop BB90_18 Depth 4
                                        ;         Child Loop BB90_20 Depth 4
                                        ;           Child Loop BB90_21 Depth 5
                                        ;         Child Loop BB90_25 Depth 4
                                        ;           Child Loop BB90_27 Depth 5
	s_ashr_i32 s17, s16, 31
	s_mov_b32 s22, 0
	s_wait_xcnt 0x0
	v_lshl_add_u64 v[10:11], s[16:17], 3, v[8:9]
	s_mov_b32 s23, s38
.LBB90_18:                              ;   Parent Loop BB90_4 Depth=1
                                        ;     Parent Loop BB90_14 Depth=2
                                        ;       Parent Loop BB90_17 Depth=3
                                        ; =>      This Inner Loop Header: Depth=4
	global_load_b64 v[12:13], v[10:11], off
	s_wait_xcnt 0x0
	v_add_nc_u64_e32 v[10:11], -8, v[10:11]
	s_add_co_i32 s23, s23, -1
	s_wait_loadcnt 0x0
	v_mul_f64_e32 v[12:13], s[4:5], v[12:13]
	scratch_store_b64 off, v[12:13], s22
	s_wait_xcnt 0x0
	s_add_co_i32 s22, s22, 8
	s_cmp_eq_u32 s23, 0
	s_cbranch_scc0 .LBB90_18
; %bb.19:                               ;   in Loop: Header=BB90_17 Depth=3
	s_cmp_le_i32 s28, s16
	s_mov_b32 s24, s39
	s_mov_b32 s22, s28
	s_cbranch_scc1 .LBB90_23
.LBB90_20:                              ;   Parent Loop BB90_4 Depth=1
                                        ;     Parent Loop BB90_14 Depth=2
                                        ;       Parent Loop BB90_17 Depth=3
                                        ; =>      This Loop Header: Depth=4
                                        ;           Child Loop BB90_21 Depth 5
	s_ashr_i32 s23, s22, 31
	s_mov_b32 s25, s24
	v_lshl_add_u64 v[10:11], s[22:23], 3, v[6:7]
	s_mov_b32 s23, 0
	s_mov_b32 s43, s38
	global_load_b64 v[10:11], v[10:11], off
.LBB90_21:                              ;   Parent Loop BB90_4 Depth=1
                                        ;     Parent Loop BB90_14 Depth=2
                                        ;       Parent Loop BB90_17 Depth=3
                                        ;         Parent Loop BB90_20 Depth=4
                                        ; =>        This Inner Loop Header: Depth=5
	scratch_load_b64 v[12:13], off, s23
	v_mov_b32_e32 v3, s25
	s_add_co_i32 s43, s43, -1
	s_addk_co_i32 s25, 0xff60
	ds_load_b64 v[16:17], v3
	s_wait_loadcnt_dscnt 0x0
	v_fma_f64 v[12:13], -v[10:11], v[16:17], v[12:13]
	scratch_store_b64 off, v[12:13], s23
	s_wait_xcnt 0x0
	s_add_co_i32 s23, s23, 8
	s_cmp_eq_u32 s43, 0
	s_cbranch_scc0 .LBB90_21
; %bb.22:                               ;   in Loop: Header=BB90_20 Depth=4
	s_add_co_i32 s22, s22, -1
	s_add_co_i32 s24, s24, -8
	s_cmp_le_i32 s22, s16
	s_cbranch_scc0 .LBB90_20
.LBB90_23:                              ;   in Loop: Header=BB90_17 Depth=3
	s_mov_b32 s43, 0
	s_mov_b32 s44, s41
	s_branch .LBB90_25
.LBB90_24:                              ;   in Loop: Header=BB90_25 Depth=4
	s_wait_xcnt 0x1
	s_mulk_i32 s24, 0xa8
	s_addk_co_i32 s44, 0xff60
	v_mov_b32_e32 v3, s24
	s_lshl_b32 s24, s43, 3
	s_add_co_i32 s43, s43, 1
	s_delay_alu instid0(SALU_CYCLE_1)
	s_cmp_eq_u32 s43, s38
	s_wait_xcnt 0x0
	ds_load_b64 v[12:13], v3
	s_wait_loadcnt_dscnt 0x0
	v_mul_f64_e32 v[10:11], v[12:13], v[10:11]
	v_lshl_add_u64 v[12:13], s[22:23], 3, v[6:7]
	scratch_store_b64 off, v[10:11], s24
	global_store_b64 v[12:13], v[10:11], off
	s_cbranch_scc1 .LBB90_16
.LBB90_25:                              ;   Parent Loop BB90_4 Depth=1
                                        ;     Parent Loop BB90_14 Depth=2
                                        ;       Parent Loop BB90_17 Depth=3
                                        ; =>      This Loop Header: Depth=4
                                        ;           Child Loop BB90_27 Depth 5
	s_cmp_lg_u32 s43, 0
	s_cbranch_scc0 .LBB90_29
; %bb.26:                               ;   in Loop: Header=BB90_25 Depth=4
	s_lshl_b32 s22, s43, 3
	s_mov_b32 s23, 0
	scratch_load_b64 v[10:11], off, s22
	s_mov_b32 s24, s44
	s_mov_b32 s25, s43
.LBB90_27:                              ;   Parent Loop BB90_4 Depth=1
                                        ;     Parent Loop BB90_14 Depth=2
                                        ;       Parent Loop BB90_17 Depth=3
                                        ;         Parent Loop BB90_25 Depth=4
                                        ; =>        This Inner Loop Header: Depth=5
	scratch_load_b64 v[12:13], off, s23
	v_mov_b32_e32 v3, s24
	s_add_co_i32 s25, s25, -1
	s_add_co_i32 s24, s24, -8
	s_wait_xcnt 0x0
	s_add_co_i32 s23, s23, 8
	s_cmp_eq_u32 s25, 0
	ds_load_b64 v[16:17], v3
	s_wait_loadcnt_dscnt 0x0
	v_fma_f64 v[10:11], -v[12:13], v[16:17], v[10:11]
	scratch_store_b64 off, v[10:11], s22
	s_cbranch_scc0 .LBB90_27
; %bb.28:                               ;   in Loop: Header=BB90_25 Depth=4
	s_sub_co_i32 s24, s16, s43
	s_delay_alu instid0(SALU_CYCLE_1)
	s_ashr_i32 s25, s24, 31
	s_wait_xcnt 0x0
	s_mov_b64 s[22:23], s[24:25]
	s_branch .LBB90_24
.LBB90_29:                              ;   in Loop: Header=BB90_25 Depth=4
                                        ; implicit-def: $vgpr10_vgpr11
                                        ; implicit-def: $sgpr24
                                        ; implicit-def: $sgpr22_sgpr23
	s_cbranch_execz .LBB90_24
; %bb.30:                               ;   in Loop: Header=BB90_25 Depth=4
	scratch_load_b64 v[10:11], off, off
	s_mov_b64 s[22:23], s[16:17]
	s_mov_b32 s24, s16
	s_branch .LBB90_24
.LBB90_31:                              ;   in Loop: Header=BB90_4 Depth=1
	s_mov_b32 s3, 0
.LBB90_32:                              ;   in Loop: Header=BB90_4 Depth=1
	s_delay_alu instid0(SALU_CYCLE_1)
	s_and_b32 vcc_lo, exec_lo, s3
	s_cbranch_vccz .LBB90_2
; %bb.33:                               ;   in Loop: Header=BB90_4 Depth=1
	v_add_nc_u64_e32 v[8:9], s[14:15], v[4:5]
	s_mov_b32 s14, 0
	s_mov_b32 s3, 0
	s_branch .LBB90_35
.LBB90_34:                              ;   in Loop: Header=BB90_35 Depth=2
	s_cmp_lt_i32 s14, s27
	s_cselect_b32 s15, -1, 0
	s_add_co_i32 s16, s3, 1
	s_cmp_lt_u32 s3, 2
	s_wait_xcnt 0x0
	s_cselect_b32 s3, -1, 0
	s_delay_alu instid0(SALU_CYCLE_1) | instskip(NEXT) | instid1(SALU_CYCLE_1)
	s_and_b32 s3, s15, s3
	s_and_not1_b32 vcc_lo, exec_lo, s3
	s_mov_b32 s3, s16
	s_cbranch_vccnz .LBB90_2
.LBB90_35:                              ;   Parent Loop BB90_4 Depth=1
                                        ; =>  This Loop Header: Depth=2
                                        ;       Child Loop BB90_38 Depth 3
                                        ;         Child Loop BB90_39 Depth 4
                                        ;         Child Loop BB90_42 Depth 4
                                        ;           Child Loop BB90_43 Depth 5
                                        ;         Child Loop BB90_47 Depth 4
                                        ;           Child Loop BB90_49 Depth 5
	s_load_b32 s16, s[6:7], s3 offset:0x0 scale_offset
	s_wait_kmcnt 0x0
	s_add_co_i32 s24, s16, -1
	s_delay_alu instid0(SALU_CYCLE_1) | instskip(NEXT) | instid1(SALU_CYCLE_1)
	s_add_co_i32 s15, s24, s14
	s_cmp_ge_i32 s15, s27
	s_cbranch_scc1 .LBB90_34
; %bb.36:                               ;   in Loop: Header=BB90_35 Depth=2
	s_ashr_i32 s15, s14, 31
	s_ashr_i32 s17, s16, 31
	v_lshl_add_u64 v[10:11], s[14:15], 3, v[8:9]
	s_max_i32 s25, s16, 1
	s_lshl_b64 s[22:23], s[16:17], 3
	s_lshl_b32 s15, s14, 3
	s_lshl_b32 s17, s16, 3
	s_mul_i32 s37, s14, 0xa8
	s_mul_i32 s38, s16, 0xa8
	s_branch .LBB90_38
.LBB90_37:                              ;   in Loop: Header=BB90_38 Depth=3
	v_add_nc_u64_e32 v[10:11], s[22:23], v[10:11]
	s_add_co_i32 s14, s14, s16
	s_add_co_i32 s15, s15, s17
	;; [unrolled: 1-line block ×4, first 2 shown]
	s_cmp_ge_i32 s18, s27
	s_cbranch_scc1 .LBB90_34
.LBB90_38:                              ;   Parent Loop BB90_4 Depth=1
                                        ;     Parent Loop BB90_35 Depth=2
                                        ; =>    This Loop Header: Depth=3
                                        ;         Child Loop BB90_39 Depth 4
                                        ;         Child Loop BB90_42 Depth 4
                                        ;           Child Loop BB90_43 Depth 5
                                        ;         Child Loop BB90_47 Depth 4
                                        ;           Child Loop BB90_49 Depth 5
	s_wait_xcnt 0x0
	v_mov_b64_e32 v[12:13], v[10:11]
	s_mov_b32 s18, 0
	s_mov_b32 s39, s25
.LBB90_39:                              ;   Parent Loop BB90_4 Depth=1
                                        ;     Parent Loop BB90_35 Depth=2
                                        ;       Parent Loop BB90_38 Depth=3
                                        ; =>      This Inner Loop Header: Depth=4
	global_load_b64 v[16:17], v[12:13], off
	s_wait_xcnt 0x0
	v_add_nc_u64_e32 v[12:13], 8, v[12:13]
	s_add_co_i32 s39, s39, -1
	s_wait_loadcnt 0x0
	v_mul_f64_e32 v[16:17], s[4:5], v[16:17]
	scratch_store_b64 off, v[16:17], s18
	s_wait_xcnt 0x0
	s_add_co_i32 s18, s18, 8
	s_cmp_eq_u32 s39, 0
	s_cbranch_scc0 .LBB90_39
; %bb.40:                               ;   in Loop: Header=BB90_38 Depth=3
	s_cmp_lt_i32 s14, 1
	s_cbranch_scc1 .LBB90_45
; %bb.41:                               ;   in Loop: Header=BB90_38 Depth=3
	s_mov_b32 s18, 0
	s_mov_b32 s39, s15
.LBB90_42:                              ;   Parent Loop BB90_4 Depth=1
                                        ;     Parent Loop BB90_35 Depth=2
                                        ;       Parent Loop BB90_38 Depth=3
                                        ; =>      This Loop Header: Depth=4
                                        ;           Child Loop BB90_43 Depth 5
	v_lshl_add_u64 v[12:13], s[18:19], 3, v[6:7]
	s_mov_b32 s40, 0
	s_mov_b32 s41, s39
	;; [unrolled: 1-line block ×3, first 2 shown]
	global_load_b64 v[12:13], v[12:13], off
.LBB90_43:                              ;   Parent Loop BB90_4 Depth=1
                                        ;     Parent Loop BB90_35 Depth=2
                                        ;       Parent Loop BB90_38 Depth=3
                                        ;         Parent Loop BB90_42 Depth=4
                                        ; =>        This Inner Loop Header: Depth=5
	scratch_load_b64 v[16:17], off, s40
	v_mov_b32_e32 v3, s41
	s_add_co_i32 s42, s42, -1
	s_add_co_i32 s41, s41, 8
	ds_load_b64 v[18:19], v3
	s_wait_loadcnt_dscnt 0x0
	v_fma_f64 v[16:17], -v[12:13], v[18:19], v[16:17]
	scratch_store_b64 off, v[16:17], s40
	s_wait_xcnt 0x0
	s_add_co_i32 s40, s40, 8
	s_cmp_eq_u32 s42, 0
	s_cbranch_scc0 .LBB90_43
; %bb.44:                               ;   in Loop: Header=BB90_42 Depth=4
	s_add_co_i32 s18, s18, 1
	s_addk_co_i32 s39, 0xa0
	s_cmp_eq_u32 s18, s14
	s_cbranch_scc0 .LBB90_42
.LBB90_45:                              ;   in Loop: Header=BB90_38 Depth=3
	s_mov_b32 s18, 0
	s_mov_b32 s39, s37
	s_branch .LBB90_47
.LBB90_46:                              ;   in Loop: Header=BB90_47 Depth=4
	s_add_co_i32 s40, s18, s14
	s_wait_xcnt 0x1
	s_lshl_b32 s42, s18, 3
	s_mul_i32 s41, s40, 0xa8
	s_add_co_i32 s18, s18, 1
	v_mov_b32_e32 v3, s41
	s_ashr_i32 s41, s40, 31
	s_add_co_i32 s39, s39, 8
	s_cmp_eq_u32 s18, s25
	s_wait_xcnt 0x0
	ds_load_b64 v[16:17], v3
	s_wait_loadcnt_dscnt 0x0
	v_mul_f64_e32 v[12:13], v[16:17], v[12:13]
	v_lshl_add_u64 v[16:17], s[40:41], 3, v[6:7]
	scratch_store_b64 off, v[12:13], s42
	global_store_b64 v[16:17], v[12:13], off
	s_cbranch_scc1 .LBB90_37
.LBB90_47:                              ;   Parent Loop BB90_4 Depth=1
                                        ;     Parent Loop BB90_35 Depth=2
                                        ;       Parent Loop BB90_38 Depth=3
                                        ; =>      This Loop Header: Depth=4
                                        ;           Child Loop BB90_49 Depth 5
	s_cmp_lg_u32 s18, 0
	s_cbranch_scc0 .LBB90_51
; %bb.48:                               ;   in Loop: Header=BB90_47 Depth=4
	s_lshl_b32 s40, s18, 3
	s_mov_b32 s41, 0
	scratch_load_b64 v[12:13], off, s40
	s_mov_b32 s42, s39
	s_mov_b32 s43, s18
.LBB90_49:                              ;   Parent Loop BB90_4 Depth=1
                                        ;     Parent Loop BB90_35 Depth=2
                                        ;       Parent Loop BB90_38 Depth=3
                                        ;         Parent Loop BB90_47 Depth=4
                                        ; =>        This Inner Loop Header: Depth=5
	scratch_load_b64 v[16:17], off, s41
	v_mov_b32_e32 v3, s42
	s_add_co_i32 s43, s43, -1
	s_addk_co_i32 s42, 0xa0
	s_wait_xcnt 0x0
	s_add_co_i32 s41, s41, 8
	s_cmp_eq_u32 s43, 0
	ds_load_b64 v[18:19], v3
	s_wait_loadcnt_dscnt 0x0
	v_fma_f64 v[12:13], -v[16:17], v[18:19], v[12:13]
	scratch_store_b64 off, v[12:13], s40
	s_cbranch_scc0 .LBB90_49
; %bb.50:                               ;   in Loop: Header=BB90_47 Depth=4
	s_wait_xcnt 0x0
	s_branch .LBB90_46
.LBB90_51:                              ;   in Loop: Header=BB90_47 Depth=4
                                        ; implicit-def: $vgpr12_vgpr13
	s_cbranch_execz .LBB90_46
; %bb.52:                               ;   in Loop: Header=BB90_47 Depth=4
	scratch_load_b64 v[12:13], off, off
	s_branch .LBB90_46
.LBB90_53:
	s_or_b32 exec_lo, exec_lo, s33
	s_and_saveexec_b32 s0, s34
	s_delay_alu instid0(SALU_CYCLE_1)
	s_xor_b32 s0, exec_lo, s0
.LBB90_54:
	s_endpgm
	.section	.rodata,"a",@progbits
	.p2align	6, 0x0
	.amdhsa_kernel _ZL30rocblas_trsm_small_left_deviceILi20ELi20ELb1EddPKdPdEv13rocblas_fill_18rocblas_operation_17rocblas_diagonal_iiT3_T4_lilT5_lili
		.amdhsa_group_segment_fixed_size 3200
		.amdhsa_private_segment_fixed_size 176
		.amdhsa_kernarg_size 360
		.amdhsa_user_sgpr_count 2
		.amdhsa_user_sgpr_dispatch_ptr 0
		.amdhsa_user_sgpr_queue_ptr 0
		.amdhsa_user_sgpr_kernarg_segment_ptr 1
		.amdhsa_user_sgpr_dispatch_id 0
		.amdhsa_user_sgpr_kernarg_preload_length 0
		.amdhsa_user_sgpr_kernarg_preload_offset 0
		.amdhsa_user_sgpr_private_segment_size 0
		.amdhsa_wavefront_size32 1
		.amdhsa_uses_dynamic_stack 0
		.amdhsa_enable_private_segment 1
		.amdhsa_system_sgpr_workgroup_id_x 1
		.amdhsa_system_sgpr_workgroup_id_y 0
		.amdhsa_system_sgpr_workgroup_id_z 1
		.amdhsa_system_sgpr_workgroup_info 0
		.amdhsa_system_vgpr_workitem_id 0
		.amdhsa_next_free_vgpr 20
		.amdhsa_next_free_sgpr 45
		.amdhsa_named_barrier_count 0
		.amdhsa_reserve_vcc 1
		.amdhsa_float_round_mode_32 0
		.amdhsa_float_round_mode_16_64 0
		.amdhsa_float_denorm_mode_32 3
		.amdhsa_float_denorm_mode_16_64 3
		.amdhsa_fp16_overflow 0
		.amdhsa_memory_ordered 1
		.amdhsa_forward_progress 1
		.amdhsa_inst_pref_size 16
		.amdhsa_round_robin_scheduling 0
		.amdhsa_exception_fp_ieee_invalid_op 0
		.amdhsa_exception_fp_denorm_src 0
		.amdhsa_exception_fp_ieee_div_zero 0
		.amdhsa_exception_fp_ieee_overflow 0
		.amdhsa_exception_fp_ieee_underflow 0
		.amdhsa_exception_fp_ieee_inexact 0
		.amdhsa_exception_int_div_zero 0
	.end_amdhsa_kernel
	.section	.text._ZL30rocblas_trsm_small_left_deviceILi20ELi20ELb1EddPKdPdEv13rocblas_fill_18rocblas_operation_17rocblas_diagonal_iiT3_T4_lilT5_lili,"axG",@progbits,_ZL30rocblas_trsm_small_left_deviceILi20ELi20ELb1EddPKdPdEv13rocblas_fill_18rocblas_operation_17rocblas_diagonal_iiT3_T4_lilT5_lili,comdat
.Lfunc_end90:
	.size	_ZL30rocblas_trsm_small_left_deviceILi20ELi20ELb1EddPKdPdEv13rocblas_fill_18rocblas_operation_17rocblas_diagonal_iiT3_T4_lilT5_lili, .Lfunc_end90-_ZL30rocblas_trsm_small_left_deviceILi20ELi20ELb1EddPKdPdEv13rocblas_fill_18rocblas_operation_17rocblas_diagonal_iiT3_T4_lilT5_lili
                                        ; -- End function
	.set _ZL30rocblas_trsm_small_left_deviceILi20ELi20ELb1EddPKdPdEv13rocblas_fill_18rocblas_operation_17rocblas_diagonal_iiT3_T4_lilT5_lili.num_vgpr, 20
	.set _ZL30rocblas_trsm_small_left_deviceILi20ELi20ELb1EddPKdPdEv13rocblas_fill_18rocblas_operation_17rocblas_diagonal_iiT3_T4_lilT5_lili.num_agpr, 0
	.set _ZL30rocblas_trsm_small_left_deviceILi20ELi20ELb1EddPKdPdEv13rocblas_fill_18rocblas_operation_17rocblas_diagonal_iiT3_T4_lilT5_lili.numbered_sgpr, 45
	.set _ZL30rocblas_trsm_small_left_deviceILi20ELi20ELb1EddPKdPdEv13rocblas_fill_18rocblas_operation_17rocblas_diagonal_iiT3_T4_lilT5_lili.num_named_barrier, 0
	.set _ZL30rocblas_trsm_small_left_deviceILi20ELi20ELb1EddPKdPdEv13rocblas_fill_18rocblas_operation_17rocblas_diagonal_iiT3_T4_lilT5_lili.private_seg_size, 176
	.set _ZL30rocblas_trsm_small_left_deviceILi20ELi20ELb1EddPKdPdEv13rocblas_fill_18rocblas_operation_17rocblas_diagonal_iiT3_T4_lilT5_lili.uses_vcc, 1
	.set _ZL30rocblas_trsm_small_left_deviceILi20ELi20ELb1EddPKdPdEv13rocblas_fill_18rocblas_operation_17rocblas_diagonal_iiT3_T4_lilT5_lili.uses_flat_scratch, 0
	.set _ZL30rocblas_trsm_small_left_deviceILi20ELi20ELb1EddPKdPdEv13rocblas_fill_18rocblas_operation_17rocblas_diagonal_iiT3_T4_lilT5_lili.has_dyn_sized_stack, 0
	.set _ZL30rocblas_trsm_small_left_deviceILi20ELi20ELb1EddPKdPdEv13rocblas_fill_18rocblas_operation_17rocblas_diagonal_iiT3_T4_lilT5_lili.has_recursion, 0
	.set _ZL30rocblas_trsm_small_left_deviceILi20ELi20ELb1EddPKdPdEv13rocblas_fill_18rocblas_operation_17rocblas_diagonal_iiT3_T4_lilT5_lili.has_indirect_call, 0
	.section	.AMDGPU.csdata,"",@progbits
; Kernel info:
; codeLenInByte = 2016
; TotalNumSgprs: 47
; NumVgprs: 20
; ScratchSize: 176
; MemoryBound: 0
; FloatMode: 240
; IeeeMode: 1
; LDSByteSize: 3200 bytes/workgroup (compile time only)
; SGPRBlocks: 0
; VGPRBlocks: 1
; NumSGPRsForWavesPerEU: 47
; NumVGPRsForWavesPerEU: 20
; NamedBarCnt: 0
; Occupancy: 16
; WaveLimiterHint : 0
; COMPUTE_PGM_RSRC2:SCRATCH_EN: 1
; COMPUTE_PGM_RSRC2:USER_SGPR: 2
; COMPUTE_PGM_RSRC2:TRAP_HANDLER: 0
; COMPUTE_PGM_RSRC2:TGID_X_EN: 1
; COMPUTE_PGM_RSRC2:TGID_Y_EN: 0
; COMPUTE_PGM_RSRC2:TGID_Z_EN: 1
; COMPUTE_PGM_RSRC2:TIDIG_COMP_CNT: 0
	.section	.text._ZL31rocblas_trsm_small_right_deviceIddPKdPdLi20EEv13rocblas_fill_18rocblas_operation_17rocblas_diagonal_iiT0_T1_lilT2_lili,"axG",@progbits,_ZL31rocblas_trsm_small_right_deviceIddPKdPdLi20EEv13rocblas_fill_18rocblas_operation_17rocblas_diagonal_iiT0_T1_lilT2_lili,comdat
	.globl	_ZL31rocblas_trsm_small_right_deviceIddPKdPdLi20EEv13rocblas_fill_18rocblas_operation_17rocblas_diagonal_iiT0_T1_lilT2_lili ; -- Begin function _ZL31rocblas_trsm_small_right_deviceIddPKdPdLi20EEv13rocblas_fill_18rocblas_operation_17rocblas_diagonal_iiT0_T1_lilT2_lili
	.p2align	8
	.type	_ZL31rocblas_trsm_small_right_deviceIddPKdPdLi20EEv13rocblas_fill_18rocblas_operation_17rocblas_diagonal_iiT0_T1_lilT2_lili,@function
_ZL31rocblas_trsm_small_right_deviceIddPKdPdLi20EEv13rocblas_fill_18rocblas_operation_17rocblas_diagonal_iiT0_T1_lilT2_lili: ; @_ZL31rocblas_trsm_small_right_deviceIddPKdPdLi20EEv13rocblas_fill_18rocblas_operation_17rocblas_diagonal_iiT0_T1_lilT2_lili
; %bb.0:
	s_load_b32 s19, s[0:1], 0x60
	s_bfe_u32 s2, ttmp6, 0x40014
	s_lshr_b32 s3, ttmp7, 16
	s_add_co_i32 s2, s2, 1
	s_bfe_u32 s5, ttmp6, 0x40008
	s_mul_i32 s4, s3, s2
	s_getreg_b32 s2, hwreg(HW_REG_IB_STS2, 6, 4)
	s_add_co_i32 s5, s5, s4
	s_cmp_eq_u32 s2, 0
	s_cselect_b32 s23, s3, s5
	s_wait_kmcnt 0x0
	s_cmp_ge_u32 s23, s19
	s_cbranch_scc1 .LBB91_82
; %bb.1:
	s_clause 0x7
	s_load_b96 s[16:18], s[0:1], 0x28
	s_load_b96 s[20:22], s[0:1], 0x48
	s_load_b128 s[12:15], s[0:1], 0x0
	s_load_b32 s24, s[0:1], 0x10
	s_load_b32 s3, s[0:1], 0x68
	s_load_b128 s[4:7], s[0:1], 0x18
	s_load_b128 s[8:11], s[0:1], 0x38
	s_load_b64 s[34:35], s[0:1], 0x58
	v_dual_mov_b32 v9, 0 :: v_dual_lshlrev_b32 v8, 3, v0
	v_mul_u32_u24_e32 v1, 0xa0, v0
	v_mov_b64_e32 v[14:15], 1.0
	s_delay_alu instid0(VALU_DEP_3) | instskip(NEXT) | instid1(VALU_DEP_3)
	v_add_nc_u32_e32 v18, 0xc80, v8
	v_add_nc_u32_e32 v20, v8, v1
	s_wait_kmcnt 0x0
	s_ashr_i32 s29, s18, 31
	s_ashr_i32 s31, s22, 31
	s_cmp_lg_u32 s12, 0x7a
	s_mov_b32 s28, s18
	s_cselect_b32 s26, -1, 0
	s_bfe_u32 s0, ttmp6, 0x4000c
	s_min_i32 s1, s24, 20
	s_add_co_i32 s0, s0, 1
	s_and_b32 s27, ttmp6, 15
	s_mul_i32 s0, ttmp9, s0
	s_add_co_i32 s3, s3, -1
	s_add_co_i32 s25, s1, -1
	s_add_co_i32 s27, s27, s0
	s_cmp_eq_u32 s2, 0
	s_mov_b32 s30, s22
	s_cselect_b32 s2, ttmp9, s27
	s_delay_alu instid0(SALU_CYCLE_1) | instskip(NEXT) | instid1(SALU_CYCLE_1)
	s_mul_i32 s0, s2, 0xffffffec
	s_add_co_i32 s0, s15, s0
	s_cmp_ge_u32 s2, s3
	s_cselect_b32 s15, s0, 20
	s_ashr_i32 s3, s2, 31
	s_cmp_eq_u32 s14, 0x84
	v_cmp_gt_i32_e32 vcc_lo, s15, v0
	s_cselect_b32 s14, -1, 0
	s_cmp_gt_i32 s24, 0
	s_mul_u64 s[36:37], s[2:3], 0xa0
	s_cselect_b32 s27, -1, 0
	s_cmp_lg_u32 s13, 0x6f
	v_cmp_gt_i32_e64 s0, s1, v0
	s_cselect_b32 s13, -1, 0
	s_cmp_lg_u32 s12, 0x79
	s_cselect_b32 s12, -1, 0
	s_or_b32 s15, s26, s13
	s_or_b32 s18, s12, s13
	s_cmp_gt_i32 s24, 3
	v_cndmask_b32_e64 v19, 0, 1, s12
	s_cselect_b32 s22, -1, 0
	s_lshl_b64 s[20:21], s[20:21], 3
	s_lshl_b64 s[16:17], s[16:17], 3
	s_add_nc_u64 s[20:21], s[36:37], s[20:21]
	s_add_nc_u64 s[6:7], s[6:7], s[16:17]
	;; [unrolled: 1-line block ×3, first 2 shown]
	v_add_nc_u64_e32 v[10:11], s[6:7], v[8:9]
	v_add_nc_u64_e32 v[12:13], s[10:11], v[8:9]
	s_mul_i32 s16, s1, 0xa0
	s_mul_i32 s17, s1, 0xa8
	v_add3_u32 v9, s16, v8, 0xbe0
	s_lshl_b32 s21, s1, 3
	s_and_b32 s26, vcc_lo, s27
	s_lshl_b64 s[2:3], s[8:9], 3
	s_lshl_b64 s[8:9], s[28:29], 3
	;; [unrolled: 1-line block ×4, first 2 shown]
	s_add_co_i32 s10, s17, 0xffffff40
	s_add_co_i32 s11, s16, 0xffffff60
	s_addk_co_i32 s16, 0xff58
	s_addk_co_i32 s17, 0xfd78
	s_add_co_i32 s20, s21, -8
	s_addk_co_i32 s21, 0xff58
	s_branch .LBB91_3
.LBB91_2:                               ;   in Loop: Header=BB91_3 Depth=1
	s_or_b32 exec_lo, exec_lo, s27
	s_add_co_i32 s23, s23, 0x10000
	s_delay_alu instid0(SALU_CYCLE_1)
	s_cmp_lt_u32 s23, s19
	s_cbranch_scc0 .LBB91_82
.LBB91_3:                               ; =>This Loop Header: Depth=1
                                        ;     Child Loop BB91_5 Depth 2
                                        ;     Child Loop BB91_10 Depth 2
                                        ;     Child Loop BB91_16 Depth 2
                                        ;       Child Loop BB91_17 Depth 3
                                        ;     Child Loop BB91_23 Depth 2
                                        ;       Child Loop BB91_24 Depth 3
                                        ;     Child Loop BB91_28 Depth 2
	;; [unrolled: 2-line block ×3, first 2 shown]
                                        ;     Child Loop BB91_42 Depth 2
                                        ;       Child Loop BB91_43 Depth 3
                                        ;       Child Loop BB91_45 Depth 3
                                        ;     Child Loop BB91_49 Depth 2
                                        ;       Child Loop BB91_50 Depth 3
                                        ;     Child Loop BB91_57 Depth 2
                                        ;     Child Loop BB91_62 Depth 2
                                        ;       Child Loop BB91_63 Depth 3
                                        ;       Child Loop BB91_65 Depth 3
                                        ;     Child Loop BB91_70 Depth 2
                                        ;       Child Loop BB91_71 Depth 3
                                        ;     Child Loop BB91_77 Depth 2
	;; [unrolled: 2-line block ×3, first 2 shown]
	s_and_saveexec_b32 s27, s0
	s_cbranch_execz .LBB91_8
; %bb.4:                                ;   in Loop: Header=BB91_3 Depth=1
	v_mad_nc_u64_u32 v[0:1], s2, s23, v[10:11]
	v_mov_b32_e32 v2, v8
	s_mov_b32 s28, s1
	s_delay_alu instid0(VALU_DEP_2)
	v_mad_u32 v1, s3, s23, v1
.LBB91_5:                               ;   Parent Loop BB91_3 Depth=1
                                        ; =>  This Inner Loop Header: Depth=2
	global_load_b64 v[4:5], v[0:1], off
	s_wait_xcnt 0x0
	v_add_nc_u64_e32 v[0:1], s[8:9], v[0:1]
	s_add_co_i32 s28, s28, -1
	s_delay_alu instid0(SALU_CYCLE_1)
	s_cmp_eq_u32 s28, 0
	s_wait_loadcnt 0x0
	ds_store_b64 v2, v[4:5]
	v_add_nc_u32_e32 v2, 0xa0, v2
	s_cbranch_scc0 .LBB91_5
; %bb.6:                                ;   in Loop: Header=BB91_3 Depth=1
	s_and_b32 vcc_lo, exec_lo, s14
	s_cbranch_vccz .LBB91_8
; %bb.7:                                ;   in Loop: Header=BB91_3 Depth=1
	ds_store_b64 v20, v[14:15]
.LBB91_8:                               ;   in Loop: Header=BB91_3 Depth=1
	s_or_b32 exec_lo, exec_lo, s27
	v_mad_nc_u64_u32 v[16:17], s12, s23, v[12:13]
	s_delay_alu instid0(VALU_DEP_1)
	v_mad_u32 v17, s13, s23, v17
	s_and_saveexec_b32 s27, s26
	s_cbranch_execz .LBB91_11
; %bb.9:                                ;   in Loop: Header=BB91_3 Depth=1
	s_delay_alu instid0(VALU_DEP_1)
	v_mov_b64_e32 v[0:1], v[16:17]
	v_mov_b32_e32 v2, v18
	s_mov_b32 s28, s24
.LBB91_10:                              ;   Parent Loop BB91_3 Depth=1
                                        ; =>  This Inner Loop Header: Depth=2
	global_load_b64 v[4:5], v[0:1], off
	s_wait_xcnt 0x0
	v_add_nc_u64_e32 v[0:1], s[6:7], v[0:1]
	s_add_co_i32 s28, s28, -1
	s_delay_alu instid0(SALU_CYCLE_1)
	s_cmp_lg_u32 s28, 0
	s_wait_loadcnt 0x0
	v_mul_f64_e32 v[4:5], s[4:5], v[4:5]
	ds_store_b64 v2, v[4:5]
	v_add_nc_u32_e32 v2, 0xa0, v2
	s_cbranch_scc1 .LBB91_10
.LBB91_11:                              ;   in Loop: Header=BB91_3 Depth=1
	s_or_b32 exec_lo, exec_lo, s27
	s_delay_alu instid0(SALU_CYCLE_1)
	s_and_b32 vcc_lo, exec_lo, s18
	s_mov_b32 s27, -1
	s_wait_dscnt 0x0
	; wave barrier
	s_cbranch_vccz .LBB91_67
; %bb.12:                               ;   in Loop: Header=BB91_3 Depth=1
	s_and_b32 vcc_lo, exec_lo, s15
	s_cbranch_vccz .LBB91_47
; %bb.13:                               ;   in Loop: Header=BB91_3 Depth=1
	v_cmp_ne_u32_e32 vcc_lo, 1, v19
	s_cbranch_vccnz .LBB91_26
; %bb.14:                               ;   in Loop: Header=BB91_3 Depth=1
	s_and_not1_b32 vcc_lo, exec_lo, s22
	s_mov_b32 s29, 0
	s_cbranch_vccnz .LBB91_20
; %bb.15:                               ;   in Loop: Header=BB91_3 Depth=1
	s_mov_b32 s27, 0
	s_mov_b32 s28, 0
.LBB91_16:                              ;   Parent Loop BB91_3 Depth=1
                                        ; =>  This Loop Header: Depth=2
                                        ;       Child Loop BB91_17 Depth 3
	s_delay_alu instid0(SALU_CYCLE_1) | instskip(SKIP_3) | instid1(SALU_CYCLE_1)
	v_mad_u32 v21, 0xa0, s28, v18
	s_or_b32 s29, s28, 3
	s_cmp_eq_u32 s28, 0
	s_mulk_i32 s29, 0xa0
	v_dual_mov_b32 v23, v18 :: v_dual_add_nc_u32 v22, s29, v18
	s_mov_b32 s29, s27
	s_mov_b32 s30, s28
	ds_load_2addr_b64 v[0:3], v21 offset1:20
	ds_load_b64 v[6:7], v21 offset:320
	ds_load_b64 v[4:5], v22
	s_cbranch_scc1 .LBB91_18
.LBB91_17:                              ;   Parent Loop BB91_3 Depth=1
                                        ;     Parent Loop BB91_16 Depth=2
                                        ; =>    This Inner Loop Header: Depth=3
	v_mov_b32_e32 v28, s29
	s_add_co_i32 s30, s30, -1
	s_addk_co_i32 s29, 0xa0
	s_cmp_eq_u32 s30, 0
	ds_load_b64 v[32:33], v23
	ds_load_b128 v[24:27], v28
	ds_load_b128 v[28:31], v28 offset:16
	v_add_nc_u32_e32 v23, 0xa0, v23
	s_wait_dscnt 0x1
	v_fma_f64 v[0:1], -v[32:33], v[24:25], v[0:1]
	v_fma_f64 v[2:3], -v[32:33], v[26:27], v[2:3]
	s_wait_dscnt 0x0
	v_fma_f64 v[6:7], -v[32:33], v[28:29], v[6:7]
	v_fma_f64 v[4:5], -v[32:33], v[30:31], v[4:5]
	s_cbranch_scc0 .LBB91_17
.LBB91_18:                              ;   in Loop: Header=BB91_16 Depth=2
	s_lshl_b32 s29, s28, 3
	s_mul_i32 s30, s28, 0xa0
	s_or_b32 s31, s29, 8
	s_add_co_i32 s30, s29, s30
	s_add_co_i32 s27, s27, 32
	v_mov_b32_e32 v23, s30
	s_addk_co_i32 s30, 0xa8
	ds_load_b128 v[24:27], v23
	ds_load_b128 v[28:31], v23 offset:16
	s_sub_co_i32 s30, s30, s31
	s_delay_alu instid0(SALU_CYCLE_1) | instskip(SKIP_3) | instid1(VALU_DEP_2)
	s_add_co_i32 s29, s30, s29
	s_wait_dscnt 0x1
	v_div_scale_f64 v[32:33], null, v[24:25], v[24:25], v[0:1]
	v_div_scale_f64 v[38:39], vcc_lo, v[0:1], v[24:25], v[0:1]
	v_rcp_f64_e32 v[34:35], v[32:33]
	v_nop
	s_delay_alu instid0(TRANS32_DEP_1) | instskip(NEXT) | instid1(VALU_DEP_1)
	v_fma_f64 v[36:37], -v[32:33], v[34:35], 1.0
	v_fmac_f64_e32 v[34:35], v[34:35], v[36:37]
	s_delay_alu instid0(VALU_DEP_1) | instskip(NEXT) | instid1(VALU_DEP_1)
	v_fma_f64 v[36:37], -v[32:33], v[34:35], 1.0
	v_fmac_f64_e32 v[34:35], v[34:35], v[36:37]
	s_delay_alu instid0(VALU_DEP_1) | instskip(NEXT) | instid1(VALU_DEP_1)
	v_mul_f64_e32 v[36:37], v[38:39], v[34:35]
	v_fma_f64 v[32:33], -v[32:33], v[36:37], v[38:39]
	s_delay_alu instid0(VALU_DEP_1) | instskip(NEXT) | instid1(VALU_DEP_1)
	v_div_fmas_f64 v[32:33], v[32:33], v[34:35], v[36:37]
	v_div_fixup_f64 v[32:33], v[32:33], v[24:25], v[0:1]
	s_delay_alu instid0(VALU_DEP_1)
	v_fma_f64 v[34:35], -v[32:33], v[26:27], v[2:3]
	ds_load_2addr_b64 v[0:3], v23 offset0:21 offset1:22
	ds_load_b128 v[24:27], v23 offset:336
	s_wait_dscnt 0x2
	v_fma_f64 v[6:7], -v[32:33], v[28:29], v[6:7]
	v_fma_f64 v[4:5], -v[32:33], v[30:31], v[4:5]
	s_wait_dscnt 0x1
	v_div_scale_f64 v[36:37], null, v[0:1], v[0:1], v[34:35]
	v_div_scale_f64 v[42:43], vcc_lo, v[34:35], v[0:1], v[34:35]
	s_delay_alu instid0(VALU_DEP_2) | instskip(SKIP_1) | instid1(TRANS32_DEP_1)
	v_rcp_f64_e32 v[38:39], v[36:37]
	v_nop
	v_fma_f64 v[40:41], -v[36:37], v[38:39], 1.0
	s_delay_alu instid0(VALU_DEP_1) | instskip(NEXT) | instid1(VALU_DEP_1)
	v_fmac_f64_e32 v[38:39], v[38:39], v[40:41]
	v_fma_f64 v[40:41], -v[36:37], v[38:39], 1.0
	s_delay_alu instid0(VALU_DEP_1) | instskip(NEXT) | instid1(VALU_DEP_1)
	v_fmac_f64_e32 v[38:39], v[38:39], v[40:41]
	v_mul_f64_e32 v[40:41], v[42:43], v[38:39]
	s_delay_alu instid0(VALU_DEP_1) | instskip(NEXT) | instid1(VALU_DEP_1)
	v_fma_f64 v[36:37], -v[36:37], v[40:41], v[42:43]
	v_div_fmas_f64 v[36:37], v[36:37], v[38:39], v[40:41]
	s_delay_alu instid0(VALU_DEP_1) | instskip(NEXT) | instid1(VALU_DEP_1)
	v_div_fixup_f64 v[0:1], v[36:37], v[0:1], v[34:35]
	v_fma_f64 v[2:3], -v[0:1], v[2:3], v[6:7]
	s_wait_dscnt 0x0
	s_delay_alu instid0(VALU_DEP_1) | instskip(SKIP_1) | instid1(VALU_DEP_2)
	v_div_scale_f64 v[6:7], null, v[24:25], v[24:25], v[2:3]
	v_div_scale_f64 v[36:37], vcc_lo, v[2:3], v[24:25], v[2:3]
	v_rcp_f64_e32 v[28:29], v[6:7]
	v_nop
	s_delay_alu instid0(TRANS32_DEP_1) | instskip(NEXT) | instid1(VALU_DEP_1)
	v_fma_f64 v[34:35], -v[6:7], v[28:29], 1.0
	v_fmac_f64_e32 v[28:29], v[28:29], v[34:35]
	s_delay_alu instid0(VALU_DEP_1) | instskip(NEXT) | instid1(VALU_DEP_1)
	v_fma_f64 v[34:35], -v[6:7], v[28:29], 1.0
	v_fmac_f64_e32 v[28:29], v[28:29], v[34:35]
	s_delay_alu instid0(VALU_DEP_1) | instskip(NEXT) | instid1(VALU_DEP_1)
	v_mul_f64_e32 v[34:35], v[36:37], v[28:29]
	v_fma_f64 v[6:7], -v[6:7], v[34:35], v[36:37]
	s_delay_alu instid0(VALU_DEP_1)
	v_div_fmas_f64 v[6:7], v[6:7], v[28:29], v[34:35]
	v_mov_b32_e32 v28, s29
	s_add_co_i32 s29, s28, 4
	s_add_co_i32 s28, s28, 7
	ds_load_b64 v[28:29], v28 offset:24
	ds_load_b64 v[30:31], v23 offset:504
	s_cmp_ge_i32 s28, s1
	ds_store_2addr_b64 v21, v[32:33], v[0:1] offset1:20
	s_wait_dscnt 0x2
	v_fma_f64 v[4:5], -v[0:1], v[28:29], v[4:5]
	v_div_fixup_f64 v[2:3], v[6:7], v[24:25], v[2:3]
	s_delay_alu instid0(VALU_DEP_1) | instskip(SKIP_1) | instid1(VALU_DEP_1)
	v_fma_f64 v[4:5], -v[2:3], v[26:27], v[4:5]
	s_wait_dscnt 0x1
	v_div_scale_f64 v[6:7], null, v[30:31], v[30:31], v[4:5]
	s_delay_alu instid0(VALU_DEP_1) | instskip(SKIP_1) | instid1(TRANS32_DEP_1)
	v_rcp_f64_e32 v[24:25], v[6:7]
	v_nop
	v_fma_f64 v[26:27], -v[6:7], v[24:25], 1.0
	s_delay_alu instid0(VALU_DEP_1) | instskip(NEXT) | instid1(VALU_DEP_1)
	v_fmac_f64_e32 v[24:25], v[24:25], v[26:27]
	v_fma_f64 v[26:27], -v[6:7], v[24:25], 1.0
	s_delay_alu instid0(VALU_DEP_1) | instskip(SKIP_1) | instid1(VALU_DEP_1)
	v_fmac_f64_e32 v[24:25], v[24:25], v[26:27]
	v_div_scale_f64 v[26:27], vcc_lo, v[4:5], v[30:31], v[4:5]
	v_mul_f64_e32 v[28:29], v[26:27], v[24:25]
	s_delay_alu instid0(VALU_DEP_1) | instskip(NEXT) | instid1(VALU_DEP_1)
	v_fma_f64 v[6:7], -v[6:7], v[28:29], v[26:27]
	v_div_fmas_f64 v[6:7], v[6:7], v[24:25], v[28:29]
	s_delay_alu instid0(VALU_DEP_1)
	v_div_fixup_f64 v[4:5], v[6:7], v[30:31], v[4:5]
	ds_store_b64 v21, v[2:3] offset:320
	ds_store_b64 v22, v[4:5]
	s_cbranch_scc1 .LBB91_20
; %bb.19:                               ;   in Loop: Header=BB91_16 Depth=2
	s_mov_b32 s28, s29
	s_branch .LBB91_16
.LBB91_20:                              ;   in Loop: Header=BB91_3 Depth=1
	s_cmp_ge_i32 s29, s1
	s_cbranch_scc1 .LBB91_25
; %bb.21:                               ;   in Loop: Header=BB91_3 Depth=1
	s_lshl_b32 s27, s29, 3
	s_branch .LBB91_23
.LBB91_22:                              ;   in Loop: Header=BB91_23 Depth=2
	s_lshl_b32 s30, s29, 3
	s_add_co_i32 s29, s29, 1
	s_add_co_i32 s28, s30, s28
	;; [unrolled: 1-line block ×3, first 2 shown]
	v_mov_b32_e32 v3, s28
	s_cmp_ge_i32 s29, s1
	ds_load_b64 v[4:5], v3
	s_wait_dscnt 0x0
	v_div_scale_f64 v[6:7], null, v[4:5], v[4:5], v[0:1]
	s_delay_alu instid0(VALU_DEP_1) | instskip(SKIP_1) | instid1(TRANS32_DEP_1)
	v_rcp_f64_e32 v[22:23], v[6:7]
	v_nop
	v_fma_f64 v[24:25], -v[6:7], v[22:23], 1.0
	s_delay_alu instid0(VALU_DEP_1) | instskip(NEXT) | instid1(VALU_DEP_1)
	v_fmac_f64_e32 v[22:23], v[22:23], v[24:25]
	v_fma_f64 v[24:25], -v[6:7], v[22:23], 1.0
	s_delay_alu instid0(VALU_DEP_1) | instskip(SKIP_1) | instid1(VALU_DEP_1)
	v_fmac_f64_e32 v[22:23], v[22:23], v[24:25]
	v_div_scale_f64 v[24:25], vcc_lo, v[0:1], v[4:5], v[0:1]
	v_mul_f64_e32 v[26:27], v[24:25], v[22:23]
	s_delay_alu instid0(VALU_DEP_1) | instskip(NEXT) | instid1(VALU_DEP_1)
	v_fma_f64 v[6:7], -v[6:7], v[26:27], v[24:25]
	v_div_fmas_f64 v[6:7], v[6:7], v[22:23], v[26:27]
	s_delay_alu instid0(VALU_DEP_1)
	v_div_fixup_f64 v[0:1], v[6:7], v[4:5], v[0:1]
	ds_store_b64 v2, v[0:1]
	s_cbranch_scc1 .LBB91_25
.LBB91_23:                              ;   Parent Loop BB91_3 Depth=1
                                        ; =>  This Loop Header: Depth=2
                                        ;       Child Loop BB91_24 Depth 3
	s_mul_i32 s28, s29, 0xa0
	s_cmp_eq_u32 s29, 0
	v_dual_mov_b32 v3, v18 :: v_dual_add_nc_u32 v2, s28, v18
	s_mov_b32 s30, s27
	s_mov_b32 s31, s29
	ds_load_b64 v[0:1], v2
	s_cbranch_scc1 .LBB91_22
.LBB91_24:                              ;   Parent Loop BB91_3 Depth=1
                                        ;     Parent Loop BB91_23 Depth=2
                                        ; =>    This Inner Loop Header: Depth=3
	v_mov_b32_e32 v6, s30
	s_add_co_i32 s31, s31, -1
	s_addk_co_i32 s30, 0xa0
	s_cmp_eq_u32 s31, 0
	ds_load_b64 v[4:5], v3
	ds_load_b64 v[6:7], v6
	v_add_nc_u32_e32 v3, 0xa0, v3
	s_wait_dscnt 0x0
	v_fma_f64 v[0:1], -v[4:5], v[6:7], v[0:1]
	s_cbranch_scc0 .LBB91_24
	s_branch .LBB91_22
.LBB91_25:                              ;   in Loop: Header=BB91_3 Depth=1
	s_mov_b32 s27, 0
.LBB91_26:                              ;   in Loop: Header=BB91_3 Depth=1
	s_delay_alu instid0(SALU_CYCLE_1)
	s_and_b32 vcc_lo, exec_lo, s27
	s_cbranch_vccz .LBB91_46
; %bb.27:                               ;   in Loop: Header=BB91_3 Depth=1
	s_mov_b32 s29, s25
	s_and_not1_b32 vcc_lo, exec_lo, s22
	s_mov_b32 s27, s10
	s_mov_b32 s28, s25
	s_cbranch_vccnz .LBB91_33
.LBB91_28:                              ;   Parent Loop BB91_3 Depth=1
                                        ; =>  This Loop Header: Depth=2
                                        ;       Child Loop BB91_29 Depth 3
	s_mul_i32 s30, s28, 0xa0
	s_mov_b32 s31, s27
	s_add_co_i32 s29, s30, 0xfffffe20
	s_delay_alu instid0(SALU_CYCLE_1) | instskip(SKIP_2) | instid1(VALU_DEP_1)
	v_dual_add_nc_u32 v21, s30, v18 :: v_dual_add_nc_u32 v24, s29, v18
	s_cmp_le_i32 s25, s28
	s_mov_b32 s33, s25
	v_dual_mov_b32 v25, v9 :: v_dual_add_nc_u32 v22, 0xffffff60, v21
	v_add_nc_u32_e32 v23, 0xfffffec0, v21
	ds_load_b64 v[6:7], v21
	ds_load_b64 v[4:5], v22
	;; [unrolled: 1-line block ×4, first 2 shown]
	s_cbranch_scc1 .LBB91_30
.LBB91_29:                              ;   Parent Loop BB91_3 Depth=1
                                        ;     Parent Loop BB91_28 Depth=2
                                        ; =>    This Inner Loop Header: Depth=3
	v_mov_b32_e32 v30, s31
	s_add_co_i32 s33, s33, -1
	s_addk_co_i32 s31, 0xff60
	s_cmp_le_i32 s33, s28
	ds_load_b64 v[34:35], v25
	ds_load_2addr_b64 v[26:29], v30 offset0:2 offset1:3
	ds_load_2addr_b64 v[30:33], v30 offset1:1
	v_add_nc_u32_e32 v25, 0xffffff60, v25
	s_wait_dscnt 0x1
	v_fma_f64 v[6:7], -v[34:35], v[28:29], v[6:7]
	v_fma_f64 v[4:5], -v[34:35], v[26:27], v[4:5]
	s_wait_dscnt 0x0
	v_fma_f64 v[2:3], -v[34:35], v[32:33], v[2:3]
	v_fma_f64 v[0:1], -v[34:35], v[30:31], v[0:1]
	s_cbranch_scc0 .LBB91_29
.LBB91_30:                              ;   in Loop: Header=BB91_28 Depth=2
	s_add_co_i32 s31, s28, -3
; %bb.31:                               ;   in Loop: Header=BB91_28 Depth=2
	s_lshl_b32 s33, s28, 3
	s_lshl_b32 s31, s31, 3
	s_add_co_i32 s34, s33, s30
	s_add_co_i32 s30, s30, s31
	s_add_co_i32 s35, s34, -8
	s_add_co_i32 s31, s30, 0xffffff60
	v_mov_b32_e32 v25, s35
	s_add_co_i32 s35, s34, 0xffffff58
	s_sub_co_i32 s34, s34, 24
	s_addk_co_i32 s30, 0xfec0
	s_add_co_i32 s33, s33, s29
	ds_load_2addr_b64 v[26:29], v25 offset1:1
	s_sub_co_i32 s29, s33, 24
	s_sub_co_i32 s27, s27, 32
	s_wait_dscnt 0x0
	v_div_scale_f64 v[32:33], null, v[28:29], v[28:29], v[6:7]
	v_div_scale_f64 v[38:39], vcc_lo, v[6:7], v[28:29], v[6:7]
	s_delay_alu instid0(VALU_DEP_2) | instskip(SKIP_1) | instid1(TRANS32_DEP_1)
	v_rcp_f64_e32 v[34:35], v[32:33]
	v_nop
	v_fma_f64 v[36:37], -v[32:33], v[34:35], 1.0
	s_delay_alu instid0(VALU_DEP_1) | instskip(NEXT) | instid1(VALU_DEP_1)
	v_fmac_f64_e32 v[34:35], v[34:35], v[36:37]
	v_fma_f64 v[36:37], -v[32:33], v[34:35], 1.0
	s_delay_alu instid0(VALU_DEP_1) | instskip(NEXT) | instid1(VALU_DEP_1)
	v_fmac_f64_e32 v[34:35], v[34:35], v[36:37]
	v_dual_mul_f64 v[36:37], v[38:39], v[34:35] :: v_dual_mov_b32 v25, s35
	s_delay_alu instid0(VALU_DEP_1) | instskip(SKIP_3) | instid1(VALU_DEP_1)
	v_fma_f64 v[32:33], -v[32:33], v[36:37], v[38:39]
	ds_load_b64 v[30:31], v25
	v_mov_b32_e32 v25, s31
	v_div_fmas_f64 v[32:33], v[32:33], v[34:35], v[36:37]
	v_div_fixup_f64 v[32:33], v[32:33], v[28:29], v[6:7]
	s_delay_alu instid0(VALU_DEP_1) | instskip(SKIP_1) | instid1(VALU_DEP_1)
	v_fma_f64 v[34:35], -v[32:33], v[26:27], v[4:5]
	s_wait_dscnt 0x0
	v_div_scale_f64 v[4:5], null, v[30:31], v[30:31], v[34:35]
	v_div_scale_f64 v[28:29], vcc_lo, v[34:35], v[30:31], v[34:35]
	s_delay_alu instid0(VALU_DEP_2) | instskip(SKIP_1) | instid1(TRANS32_DEP_1)
	v_rcp_f64_e32 v[6:7], v[4:5]
	v_nop
	v_fma_f64 v[26:27], -v[4:5], v[6:7], 1.0
	s_delay_alu instid0(VALU_DEP_1) | instskip(NEXT) | instid1(VALU_DEP_1)
	v_fmac_f64_e32 v[6:7], v[6:7], v[26:27]
	v_fma_f64 v[26:27], -v[4:5], v[6:7], 1.0
	s_delay_alu instid0(VALU_DEP_1) | instskip(NEXT) | instid1(VALU_DEP_1)
	v_fmac_f64_e32 v[6:7], v[6:7], v[26:27]
	v_mul_f64_e32 v[26:27], v[28:29], v[6:7]
	s_delay_alu instid0(VALU_DEP_1) | instskip(NEXT) | instid1(VALU_DEP_1)
	v_fma_f64 v[4:5], -v[4:5], v[26:27], v[28:29]
	v_div_fmas_f64 v[36:37], v[4:5], v[6:7], v[26:27]
	v_mov_b32_e32 v4, s34
	ds_load_2addr_b64 v[26:29], v25 offset1:1
	v_mov_b32_e32 v25, s30
	ds_load_2addr_b64 v[4:7], v4 offset1:1
	s_wait_dscnt 0x0
	v_fma_f64 v[2:3], -v[32:33], v[6:7], v[2:3]
	v_fma_f64 v[0:1], -v[32:33], v[4:5], v[0:1]
	v_div_fixup_f64 v[6:7], v[36:37], v[30:31], v[34:35]
	s_delay_alu instid0(VALU_DEP_1)
	v_fma_f64 v[2:3], -v[6:7], v[28:29], v[2:3]
	ds_load_2addr_b64 v[28:31], v25 offset1:1
	v_dual_fma_f64 v[0:1], -v[6:7], v[26:27], v[0:1] :: v_dual_mov_b32 v25, s29
	s_add_co_i32 s29, s28, -4
	s_cmp_lt_i32 s28, 7
	ds_load_b64 v[34:35], v25
	s_wait_dscnt 0x1
	v_div_scale_f64 v[36:37], null, v[30:31], v[30:31], v[2:3]
	v_div_scale_f64 v[42:43], vcc_lo, v[2:3], v[30:31], v[2:3]
	s_delay_alu instid0(VALU_DEP_2) | instskip(SKIP_1) | instid1(TRANS32_DEP_1)
	v_rcp_f64_e32 v[38:39], v[36:37]
	v_nop
	v_fma_f64 v[40:41], -v[36:37], v[38:39], 1.0
	s_delay_alu instid0(VALU_DEP_1) | instskip(NEXT) | instid1(VALU_DEP_1)
	v_fmac_f64_e32 v[38:39], v[38:39], v[40:41]
	v_fma_f64 v[40:41], -v[36:37], v[38:39], 1.0
	s_delay_alu instid0(VALU_DEP_1) | instskip(NEXT) | instid1(VALU_DEP_1)
	v_fmac_f64_e32 v[38:39], v[38:39], v[40:41]
	v_mul_f64_e32 v[40:41], v[42:43], v[38:39]
	s_delay_alu instid0(VALU_DEP_1) | instskip(NEXT) | instid1(VALU_DEP_1)
	v_fma_f64 v[36:37], -v[36:37], v[40:41], v[42:43]
	v_div_fmas_f64 v[4:5], v[36:37], v[38:39], v[40:41]
	s_delay_alu instid0(VALU_DEP_1) | instskip(NEXT) | instid1(VALU_DEP_1)
	v_div_fixup_f64 v[2:3], v[4:5], v[30:31], v[2:3]
	v_fma_f64 v[0:1], -v[2:3], v[28:29], v[0:1]
	s_wait_dscnt 0x0
	s_delay_alu instid0(VALU_DEP_1) | instskip(NEXT) | instid1(VALU_DEP_1)
	v_div_scale_f64 v[4:5], null, v[34:35], v[34:35], v[0:1]
	v_rcp_f64_e32 v[26:27], v[4:5]
	v_nop
	s_delay_alu instid0(TRANS32_DEP_1) | instskip(NEXT) | instid1(VALU_DEP_1)
	v_fma_f64 v[28:29], -v[4:5], v[26:27], 1.0
	v_fmac_f64_e32 v[26:27], v[26:27], v[28:29]
	s_delay_alu instid0(VALU_DEP_1) | instskip(NEXT) | instid1(VALU_DEP_1)
	v_fma_f64 v[28:29], -v[4:5], v[26:27], 1.0
	v_fmac_f64_e32 v[26:27], v[26:27], v[28:29]
	v_div_scale_f64 v[28:29], vcc_lo, v[0:1], v[34:35], v[0:1]
	s_delay_alu instid0(VALU_DEP_1) | instskip(NEXT) | instid1(VALU_DEP_1)
	v_mul_f64_e32 v[30:31], v[28:29], v[26:27]
	v_fma_f64 v[4:5], -v[4:5], v[30:31], v[28:29]
	s_delay_alu instid0(VALU_DEP_1) | instskip(NEXT) | instid1(VALU_DEP_1)
	v_div_fmas_f64 v[4:5], v[4:5], v[26:27], v[30:31]
	v_div_fixup_f64 v[0:1], v[4:5], v[34:35], v[0:1]
	ds_store_b64 v21, v[32:33]
	ds_store_b64 v22, v[6:7]
	;; [unrolled: 1-line block ×4, first 2 shown]
	s_cbranch_scc1 .LBB91_33
; %bb.32:                               ;   in Loop: Header=BB91_28 Depth=2
	s_mov_b32 s28, s29
	s_branch .LBB91_28
.LBB91_33:                              ;   in Loop: Header=BB91_3 Depth=1
	s_cmp_lt_i32 s29, 0
	s_cbranch_scc1 .LBB91_46
; %bb.34:                               ;   in Loop: Header=BB91_3 Depth=1
	s_bitcmp1_b32 s29, 0
	s_cselect_b32 s27, -1, 0
	s_delay_alu instid0(SALU_CYCLE_1)
	s_and_b32 vcc_lo, exec_lo, s27
	s_mov_b32 s27, s29
	s_cbranch_vccnz .LBB91_39
; %bb.35:                               ;   in Loop: Header=BB91_3 Depth=1
	s_mul_i32 s27, s29, 0xa0
	s_cmp_le_i32 s25, s29
	v_add_nc_u32_e32 v2, s27, v18
	ds_load_b64 v[0:1], v2
	s_cbranch_scc1 .LBB91_38
; %bb.36:                               ;   in Loop: Header=BB91_3 Depth=1
	v_mov_b32_e32 v3, v9
	s_lshl_b32 s28, s29, 3
	s_mov_b32 s30, s25
	s_add_co_i32 s28, s11, s28
.LBB91_37:                              ;   Parent Loop BB91_3 Depth=1
                                        ; =>  This Inner Loop Header: Depth=2
	s_delay_alu instid0(SALU_CYCLE_1)
	v_mov_b32_e32 v6, s28
	s_add_co_i32 s30, s30, -1
	s_addk_co_i32 s28, 0xff60
	s_cmp_gt_i32 s30, s29
	ds_load_b64 v[4:5], v3
	ds_load_b64 v[6:7], v6
	v_add_nc_u32_e32 v3, 0xffffff60, v3
	s_wait_dscnt 0x0
	v_fma_f64 v[0:1], -v[4:5], v[6:7], v[0:1]
	s_cbranch_scc1 .LBB91_37
.LBB91_38:                              ;   in Loop: Header=BB91_3 Depth=1
	s_lshl_b32 s28, s29, 3
	s_delay_alu instid0(SALU_CYCLE_1) | instskip(NEXT) | instid1(SALU_CYCLE_1)
	s_add_co_i32 s27, s28, s27
	v_mov_b32_e32 v3, s27
	s_add_co_i32 s27, s29, -1
	ds_load_b64 v[4:5], v3
	s_wait_dscnt 0x0
	v_div_scale_f64 v[6:7], null, v[4:5], v[4:5], v[0:1]
	s_delay_alu instid0(VALU_DEP_1) | instskip(SKIP_1) | instid1(TRANS32_DEP_1)
	v_rcp_f64_e32 v[22:23], v[6:7]
	v_nop
	v_fma_f64 v[24:25], -v[6:7], v[22:23], 1.0
	s_delay_alu instid0(VALU_DEP_1) | instskip(NEXT) | instid1(VALU_DEP_1)
	v_fmac_f64_e32 v[22:23], v[22:23], v[24:25]
	v_fma_f64 v[24:25], -v[6:7], v[22:23], 1.0
	s_delay_alu instid0(VALU_DEP_1) | instskip(SKIP_1) | instid1(VALU_DEP_1)
	v_fmac_f64_e32 v[22:23], v[22:23], v[24:25]
	v_div_scale_f64 v[24:25], vcc_lo, v[0:1], v[4:5], v[0:1]
	v_mul_f64_e32 v[26:27], v[24:25], v[22:23]
	s_delay_alu instid0(VALU_DEP_1) | instskip(NEXT) | instid1(VALU_DEP_1)
	v_fma_f64 v[6:7], -v[6:7], v[26:27], v[24:25]
	v_div_fmas_f64 v[6:7], v[6:7], v[22:23], v[26:27]
	s_delay_alu instid0(VALU_DEP_1)
	v_div_fixup_f64 v[0:1], v[6:7], v[4:5], v[0:1]
	ds_store_b64 v2, v[0:1]
.LBB91_39:                              ;   in Loop: Header=BB91_3 Depth=1
	s_cmp_eq_u32 s29, 0
	s_cbranch_scc1 .LBB91_46
; %bb.40:                               ;   in Loop: Header=BB91_3 Depth=1
	s_lshl_b32 s29, s27, 3
	s_delay_alu instid0(SALU_CYCLE_1)
	s_add_co_i32 s28, s11, s29
	s_add_co_i32 s29, s16, s29
	s_branch .LBB91_42
.LBB91_41:                              ;   in Loop: Header=BB91_42 Depth=2
	s_addk_co_i32 s30, 0xff58
	s_add_co_i32 s28, s28, -16
	v_mov_b32_e32 v0, s30
	s_add_co_i32 s30, s27, -2
	s_add_co_i32 s29, s29, -16
	s_cmp_lt_i32 s27, 2
	s_mov_b32 s27, s30
	ds_load_b64 v[0:1], v0
	s_wait_dscnt 0x0
	v_div_scale_f64 v[6:7], null, v[0:1], v[0:1], v[2:3]
	s_delay_alu instid0(VALU_DEP_1) | instskip(SKIP_1) | instid1(TRANS32_DEP_1)
	v_rcp_f64_e32 v[22:23], v[6:7]
	v_nop
	v_fma_f64 v[24:25], -v[6:7], v[22:23], 1.0
	s_delay_alu instid0(VALU_DEP_1) | instskip(NEXT) | instid1(VALU_DEP_1)
	v_fmac_f64_e32 v[22:23], v[22:23], v[24:25]
	v_fma_f64 v[24:25], -v[6:7], v[22:23], 1.0
	s_delay_alu instid0(VALU_DEP_1) | instskip(SKIP_1) | instid1(VALU_DEP_1)
	v_fmac_f64_e32 v[22:23], v[22:23], v[24:25]
	v_div_scale_f64 v[24:25], vcc_lo, v[2:3], v[0:1], v[2:3]
	v_mul_f64_e32 v[26:27], v[24:25], v[22:23]
	s_delay_alu instid0(VALU_DEP_1) | instskip(NEXT) | instid1(VALU_DEP_1)
	v_fma_f64 v[6:7], -v[6:7], v[26:27], v[24:25]
	v_div_fmas_f64 v[6:7], v[6:7], v[22:23], v[26:27]
	s_delay_alu instid0(VALU_DEP_1)
	v_div_fixup_f64 v[0:1], v[6:7], v[0:1], v[2:3]
	ds_store_b64 v5, v[0:1]
	s_cbranch_scc1 .LBB91_46
.LBB91_42:                              ;   Parent Loop BB91_3 Depth=1
                                        ; =>  This Loop Header: Depth=2
                                        ;       Child Loop BB91_43 Depth 3
                                        ;       Child Loop BB91_45 Depth 3
	s_mul_i32 s31, s27, 0xa0
	s_cmp_le_i32 s25, s27
	v_dual_add_nc_u32 v4, s31, v18 :: v_dual_mov_b32 v2, v9
	s_mov_b32 s30, s28
	s_mov_b32 s33, s25
	ds_load_b64 v[0:1], v4
	s_cbranch_scc1 .LBB91_44
.LBB91_43:                              ;   Parent Loop BB91_3 Depth=1
                                        ;     Parent Loop BB91_42 Depth=2
                                        ; =>    This Inner Loop Header: Depth=3
	v_mov_b32_e32 v3, s30
	s_add_co_i32 s33, s33, -1
	s_addk_co_i32 s30, 0xff60
	s_cmp_le_i32 s33, s27
	ds_load_b64 v[6:7], v2
	ds_load_b64 v[22:23], v3
	v_add_nc_u32_e32 v2, 0xffffff60, v2
	s_wait_dscnt 0x0
	v_fma_f64 v[0:1], -v[6:7], v[22:23], v[0:1]
	s_cbranch_scc0 .LBB91_43
.LBB91_44:                              ;   in Loop: Header=BB91_42 Depth=2
	s_lshl_b32 s30, s27, 3
	s_mov_b32 s33, s1
	s_add_co_i32 s30, s30, s31
	s_addk_co_i32 s31, 0xff60
	s_delay_alu instid0(SALU_CYCLE_1)
	v_dual_mov_b32 v2, s30 :: v_dual_add_nc_u32 v5, s31, v18
	s_cmp_le_i32 s1, s27
	s_mov_b32 s31, s29
	ds_load_b64 v[6:7], v2
	ds_load_b64 v[2:3], v5
	s_wait_dscnt 0x1
	v_div_scale_f64 v[22:23], null, v[6:7], v[6:7], v[0:1]
	s_delay_alu instid0(VALU_DEP_1) | instskip(SKIP_1) | instid1(TRANS32_DEP_1)
	v_rcp_f64_e32 v[24:25], v[22:23]
	v_nop
	v_fma_f64 v[26:27], -v[22:23], v[24:25], 1.0
	s_delay_alu instid0(VALU_DEP_1) | instskip(NEXT) | instid1(VALU_DEP_1)
	v_fmac_f64_e32 v[24:25], v[24:25], v[26:27]
	v_fma_f64 v[26:27], -v[22:23], v[24:25], 1.0
	s_delay_alu instid0(VALU_DEP_1) | instskip(SKIP_1) | instid1(VALU_DEP_1)
	v_fmac_f64_e32 v[24:25], v[24:25], v[26:27]
	v_div_scale_f64 v[26:27], vcc_lo, v[0:1], v[6:7], v[0:1]
	v_mul_f64_e32 v[28:29], v[26:27], v[24:25]
	s_delay_alu instid0(VALU_DEP_1) | instskip(NEXT) | instid1(VALU_DEP_1)
	v_fma_f64 v[22:23], -v[22:23], v[28:29], v[26:27]
	v_div_fmas_f64 v[22:23], v[22:23], v[24:25], v[28:29]
	s_delay_alu instid0(VALU_DEP_1)
	v_div_fixup_f64 v[6:7], v[22:23], v[6:7], v[0:1]
	v_mov_b32_e32 v0, v9
	ds_store_b64 v4, v[6:7]
	s_cbranch_scc1 .LBB91_41
.LBB91_45:                              ;   Parent Loop BB91_3 Depth=1
                                        ;     Parent Loop BB91_42 Depth=2
                                        ; =>    This Inner Loop Header: Depth=3
	v_mov_b32_e32 v1, s31
	s_add_co_i32 s33, s33, -1
	s_addk_co_i32 s31, 0xff60
	s_cmp_gt_i32 s33, s27
	ds_load_b64 v[6:7], v0
	ds_load_b64 v[22:23], v1
	v_add_nc_u32_e32 v0, 0xffffff60, v0
	s_wait_dscnt 0x0
	v_fma_f64 v[2:3], -v[6:7], v[22:23], v[2:3]
	s_cbranch_scc1 .LBB91_45
	s_branch .LBB91_41
.LBB91_46:                              ;   in Loop: Header=BB91_3 Depth=1
	s_mov_b32 s27, 0
.LBB91_47:                              ;   in Loop: Header=BB91_3 Depth=1
	s_delay_alu instid0(SALU_CYCLE_1)
	s_and_not1_b32 vcc_lo, exec_lo, s27
	s_cbranch_vccnz .LBB91_66
; %bb.48:                               ;   in Loop: Header=BB91_3 Depth=1
	s_mov_b32 s29, s25
	s_and_not1_b32 vcc_lo, exec_lo, s22
	s_mov_b32 s27, s17
	s_mov_b32 s28, s25
	s_cbranch_vccnz .LBB91_53
.LBB91_49:                              ;   Parent Loop BB91_3 Depth=1
                                        ; =>  This Loop Header: Depth=2
                                        ;       Child Loop BB91_50 Depth 3
	s_mul_i32 s29, s28, 20
	s_cmp_le_i32 s25, s28
	v_lshl_add_u32 v21, s29, 3, v18
	s_mov_b32 s30, s27
	s_mov_b32 s31, s25
	s_delay_alu instid0(VALU_DEP_1)
	v_dual_mov_b32 v25, v9 :: v_dual_add_nc_u32 v22, 0xffffff60, v21
	v_add_nc_u32_e32 v23, 0xfffffec0, v21
	v_add_nc_u32_e32 v24, 0xfffffe20, v21
	ds_load_b64 v[6:7], v21
	ds_load_b64 v[4:5], v22
	;; [unrolled: 1-line block ×4, first 2 shown]
	s_cbranch_scc1 .LBB91_51
.LBB91_50:                              ;   Parent Loop BB91_3 Depth=1
                                        ;     Parent Loop BB91_49 Depth=2
                                        ; =>    This Inner Loop Header: Depth=3
	v_mov_b32_e32 v30, s30
	s_add_co_i32 s31, s31, -1
	s_add_co_i32 s30, s30, -8
	s_cmp_le_i32 s31, s28
	ds_load_b64 v[34:35], v25
	ds_load_2addr_b64 v[26:29], v30 offset0:40 offset1:60
	ds_load_2addr_b64 v[30:33], v30 offset1:20
	v_add_nc_u32_e32 v25, 0xffffff60, v25
	s_wait_dscnt 0x1
	v_fma_f64 v[6:7], -v[34:35], v[28:29], v[6:7]
	v_fma_f64 v[4:5], -v[34:35], v[26:27], v[4:5]
	s_wait_dscnt 0x0
	v_fma_f64 v[2:3], -v[34:35], v[32:33], v[2:3]
	v_fma_f64 v[0:1], -v[34:35], v[30:31], v[0:1]
	s_cbranch_scc0 .LBB91_50
.LBB91_51:                              ;   in Loop: Header=BB91_49 Depth=2
	s_mul_i32 s30, s28, 0xa8
	s_lshl_b32 s29, s29, 3
	v_mov_b32_e32 v25, s30
	s_lshl_b32 s30, s28, 3
	s_addk_co_i32 s27, 0xfd80
	s_add_co_i32 s29, s29, s30
	s_delay_alu instid0(SALU_CYCLE_1) | instskip(SKIP_4) | instid1(VALU_DEP_2)
	s_add_co_i32 s30, s29, 0xffffff58
	ds_load_b64 v[30:31], v25
	s_wait_dscnt 0x0
	v_div_scale_f64 v[32:33], null, v[30:31], v[30:31], v[6:7]
	v_div_scale_f64 v[38:39], vcc_lo, v[6:7], v[30:31], v[6:7]
	v_rcp_f64_e32 v[34:35], v[32:33]
	v_nop
	s_delay_alu instid0(TRANS32_DEP_1) | instskip(NEXT) | instid1(VALU_DEP_1)
	v_fma_f64 v[36:37], -v[32:33], v[34:35], 1.0
	v_fmac_f64_e32 v[34:35], v[34:35], v[36:37]
	s_delay_alu instid0(VALU_DEP_1) | instskip(NEXT) | instid1(VALU_DEP_1)
	v_fma_f64 v[36:37], -v[32:33], v[34:35], 1.0
	v_fmac_f64_e32 v[34:35], v[34:35], v[36:37]
	s_delay_alu instid0(VALU_DEP_1) | instskip(SKIP_1) | instid1(VALU_DEP_1)
	v_dual_mul_f64 v[36:37], v[38:39], v[34:35] :: v_dual_mov_b32 v25, s30
	s_add_co_i32 s30, s29, 0xfffffec0
	v_fma_f64 v[32:33], -v[32:33], v[36:37], v[38:39]
	ds_load_2addr_b64 v[26:29], v25 offset1:1
	v_div_fmas_f64 v[32:33], v[32:33], v[34:35], v[36:37]
	s_delay_alu instid0(VALU_DEP_1) | instskip(SKIP_1) | instid1(VALU_DEP_1)
	v_div_fixup_f64 v[34:35], v[32:33], v[30:31], v[6:7]
	s_wait_dscnt 0x0
	v_fma_f64 v[28:29], -v[34:35], v[28:29], v[4:5]
	s_delay_alu instid0(VALU_DEP_1) | instskip(SKIP_1) | instid1(VALU_DEP_2)
	v_div_scale_f64 v[4:5], null, v[26:27], v[26:27], v[28:29]
	v_div_scale_f64 v[32:33], vcc_lo, v[28:29], v[26:27], v[28:29]
	v_rcp_f64_e32 v[6:7], v[4:5]
	v_nop
	s_delay_alu instid0(TRANS32_DEP_1) | instskip(NEXT) | instid1(VALU_DEP_1)
	v_fma_f64 v[30:31], -v[4:5], v[6:7], 1.0
	v_fmac_f64_e32 v[6:7], v[6:7], v[30:31]
	s_delay_alu instid0(VALU_DEP_1) | instskip(NEXT) | instid1(VALU_DEP_1)
	v_fma_f64 v[30:31], -v[4:5], v[6:7], 1.0
	v_fmac_f64_e32 v[6:7], v[6:7], v[30:31]
	s_delay_alu instid0(VALU_DEP_1) | instskip(NEXT) | instid1(VALU_DEP_1)
	v_mul_f64_e32 v[30:31], v[32:33], v[6:7]
	v_fma_f64 v[4:5], -v[4:5], v[30:31], v[32:33]
	s_delay_alu instid0(VALU_DEP_1)
	v_div_fmas_f64 v[30:31], v[4:5], v[6:7], v[30:31]
	v_mov_b32_e32 v4, s30
	s_add_co_i32 s30, s29, 0xfffffeb0
	ds_load_b64 v[32:33], v4
	v_mov_b32_e32 v4, s30
	s_add_co_i32 s30, s29, 0xfffffe18
	s_addk_co_i32 s29, 0xfe08
	v_mov_b32_e32 v25, s30
	ds_load_2addr_b64 v[4:7], v4 offset1:1
	s_wait_dscnt 0x1
	v_fma_f64 v[2:3], -v[34:35], v[32:33], v[2:3]
	v_div_fixup_f64 v[36:37], v[30:31], v[26:27], v[28:29]
	s_wait_dscnt 0x0
	s_delay_alu instid0(VALU_DEP_1) | instskip(NEXT) | instid1(VALU_DEP_1)
	v_fma_f64 v[2:3], -v[36:37], v[6:7], v[2:3]
	v_div_scale_f64 v[6:7], null, v[4:5], v[4:5], v[2:3]
	v_div_scale_f64 v[28:29], vcc_lo, v[2:3], v[4:5], v[2:3]
	s_delay_alu instid0(VALU_DEP_2) | instskip(SKIP_1) | instid1(TRANS32_DEP_1)
	v_rcp_f64_e32 v[38:39], v[6:7]
	v_nop
	v_fma_f64 v[26:27], -v[6:7], v[38:39], 1.0
	s_delay_alu instid0(VALU_DEP_1) | instskip(NEXT) | instid1(VALU_DEP_1)
	v_fmac_f64_e32 v[38:39], v[38:39], v[26:27]
	v_fma_f64 v[26:27], -v[6:7], v[38:39], 1.0
	s_delay_alu instid0(VALU_DEP_1) | instskip(NEXT) | instid1(VALU_DEP_1)
	v_fmac_f64_e32 v[38:39], v[38:39], v[26:27]
	v_mul_f64_e32 v[40:41], v[28:29], v[38:39]
	s_delay_alu instid0(VALU_DEP_1)
	v_fma_f64 v[6:7], -v[6:7], v[40:41], v[28:29]
	ds_load_2addr_b64 v[26:29], v25 offset1:1
	v_mov_b32_e32 v25, s29
	s_add_co_i32 s29, s28, -4
	s_cmp_lt_i32 s28, 7
	ds_load_2addr_b64 v[30:33], v25 offset1:1
	s_wait_dscnt 0x1
	v_fma_f64 v[0:1], -v[34:35], v[28:29], v[0:1]
	v_div_fmas_f64 v[6:7], v[6:7], v[38:39], v[40:41]
	s_delay_alu instid0(VALU_DEP_2) | instskip(NEXT) | instid1(VALU_DEP_2)
	v_fma_f64 v[0:1], -v[36:37], v[26:27], v[0:1]
	v_div_fixup_f64 v[2:3], v[6:7], v[4:5], v[2:3]
	s_wait_dscnt 0x0
	s_delay_alu instid0(VALU_DEP_1) | instskip(NEXT) | instid1(VALU_DEP_1)
	v_fma_f64 v[0:1], -v[2:3], v[32:33], v[0:1]
	v_div_scale_f64 v[4:5], null, v[30:31], v[30:31], v[0:1]
	s_delay_alu instid0(VALU_DEP_1) | instskip(SKIP_1) | instid1(TRANS32_DEP_1)
	v_rcp_f64_e32 v[6:7], v[4:5]
	v_nop
	v_fma_f64 v[26:27], -v[4:5], v[6:7], 1.0
	s_delay_alu instid0(VALU_DEP_1) | instskip(NEXT) | instid1(VALU_DEP_1)
	v_fmac_f64_e32 v[6:7], v[6:7], v[26:27]
	v_fma_f64 v[26:27], -v[4:5], v[6:7], 1.0
	s_delay_alu instid0(VALU_DEP_1) | instskip(SKIP_1) | instid1(VALU_DEP_1)
	v_fmac_f64_e32 v[6:7], v[6:7], v[26:27]
	v_div_scale_f64 v[26:27], vcc_lo, v[0:1], v[30:31], v[0:1]
	v_mul_f64_e32 v[28:29], v[26:27], v[6:7]
	s_delay_alu instid0(VALU_DEP_1) | instskip(NEXT) | instid1(VALU_DEP_1)
	v_fma_f64 v[4:5], -v[4:5], v[28:29], v[26:27]
	v_div_fmas_f64 v[4:5], v[4:5], v[6:7], v[28:29]
	s_delay_alu instid0(VALU_DEP_1)
	v_div_fixup_f64 v[0:1], v[4:5], v[30:31], v[0:1]
	ds_store_b64 v21, v[34:35]
	ds_store_b64 v22, v[36:37]
	;; [unrolled: 1-line block ×4, first 2 shown]
	s_cbranch_scc1 .LBB91_53
; %bb.52:                               ;   in Loop: Header=BB91_49 Depth=2
	s_mov_b32 s28, s29
	s_branch .LBB91_49
.LBB91_53:                              ;   in Loop: Header=BB91_3 Depth=1
	s_cmp_lt_i32 s29, 0
	s_cbranch_scc1 .LBB91_66
; %bb.54:                               ;   in Loop: Header=BB91_3 Depth=1
	s_bitcmp1_b32 s29, 0
	s_cselect_b32 s27, -1, 0
	s_delay_alu instid0(SALU_CYCLE_1)
	s_and_b32 vcc_lo, exec_lo, s27
	s_mov_b32 s27, s29
	s_cbranch_vccnz .LBB91_59
; %bb.55:                               ;   in Loop: Header=BB91_3 Depth=1
	v_mad_u32 v2, 0xa0, s29, v18
	s_cmp_le_i32 s25, s29
	ds_load_b64 v[0:1], v2
	s_cbranch_scc1 .LBB91_58
; %bb.56:                               ;   in Loop: Header=BB91_3 Depth=1
	v_mov_b32_e32 v3, v9
	s_mul_i32 s27, s29, 0xa0
	s_mov_b32 s28, s25
	s_add_co_i32 s27, s20, s27
.LBB91_57:                              ;   Parent Loop BB91_3 Depth=1
                                        ; =>  This Inner Loop Header: Depth=2
	s_delay_alu instid0(SALU_CYCLE_1)
	v_mov_b32_e32 v6, s27
	s_add_co_i32 s28, s28, -1
	s_add_co_i32 s27, s27, -8
	s_cmp_gt_u32 s28, s29
	ds_load_b64 v[4:5], v3
	ds_load_b64 v[6:7], v6
	v_add_nc_u32_e32 v3, 0xffffff60, v3
	s_wait_dscnt 0x0
	v_fma_f64 v[0:1], -v[4:5], v[6:7], v[0:1]
	s_cbranch_scc1 .LBB91_57
.LBB91_58:                              ;   in Loop: Header=BB91_3 Depth=1
	s_mul_i32 s27, s29, 0xa8
	s_delay_alu instid0(SALU_CYCLE_1) | instskip(SKIP_4) | instid1(VALU_DEP_1)
	v_mov_b32_e32 v3, s27
	s_add_co_i32 s27, s29, -1
	ds_load_b64 v[4:5], v3
	s_wait_dscnt 0x0
	v_div_scale_f64 v[6:7], null, v[4:5], v[4:5], v[0:1]
	v_rcp_f64_e32 v[22:23], v[6:7]
	v_nop
	s_delay_alu instid0(TRANS32_DEP_1) | instskip(NEXT) | instid1(VALU_DEP_1)
	v_fma_f64 v[24:25], -v[6:7], v[22:23], 1.0
	v_fmac_f64_e32 v[22:23], v[22:23], v[24:25]
	s_delay_alu instid0(VALU_DEP_1) | instskip(NEXT) | instid1(VALU_DEP_1)
	v_fma_f64 v[24:25], -v[6:7], v[22:23], 1.0
	v_fmac_f64_e32 v[22:23], v[22:23], v[24:25]
	v_div_scale_f64 v[24:25], vcc_lo, v[0:1], v[4:5], v[0:1]
	s_delay_alu instid0(VALU_DEP_1) | instskip(NEXT) | instid1(VALU_DEP_1)
	v_mul_f64_e32 v[26:27], v[24:25], v[22:23]
	v_fma_f64 v[6:7], -v[6:7], v[26:27], v[24:25]
	s_delay_alu instid0(VALU_DEP_1) | instskip(NEXT) | instid1(VALU_DEP_1)
	v_div_fmas_f64 v[6:7], v[6:7], v[22:23], v[26:27]
	v_div_fixup_f64 v[0:1], v[6:7], v[4:5], v[0:1]
	ds_store_b64 v2, v[0:1]
.LBB91_59:                              ;   in Loop: Header=BB91_3 Depth=1
	s_cmp_eq_u32 s29, 0
	s_cbranch_scc1 .LBB91_66
; %bb.60:                               ;   in Loop: Header=BB91_3 Depth=1
	s_mul_i32 s29, s27, 0xa0
	s_delay_alu instid0(SALU_CYCLE_1)
	s_add_co_i32 s28, s20, s29
	s_add_co_i32 s29, s21, s29
	s_branch .LBB91_62
.LBB91_61:                              ;   in Loop: Header=BB91_62 Depth=2
	s_addk_co_i32 s30, 0xff58
	s_add_co_i32 s27, s27, -2
	v_mov_b32_e32 v0, s30
	s_addk_co_i32 s28, 0xfec0
	s_addk_co_i32 s29, 0xfec0
	s_cmp_eq_u32 s31, 0
	ds_load_b64 v[0:1], v0
	s_wait_dscnt 0x0
	v_div_scale_f64 v[6:7], null, v[0:1], v[0:1], v[2:3]
	s_delay_alu instid0(VALU_DEP_1) | instskip(SKIP_1) | instid1(TRANS32_DEP_1)
	v_rcp_f64_e32 v[22:23], v[6:7]
	v_nop
	v_fma_f64 v[24:25], -v[6:7], v[22:23], 1.0
	s_delay_alu instid0(VALU_DEP_1) | instskip(NEXT) | instid1(VALU_DEP_1)
	v_fmac_f64_e32 v[22:23], v[22:23], v[24:25]
	v_fma_f64 v[24:25], -v[6:7], v[22:23], 1.0
	s_delay_alu instid0(VALU_DEP_1) | instskip(SKIP_1) | instid1(VALU_DEP_1)
	v_fmac_f64_e32 v[22:23], v[22:23], v[24:25]
	v_div_scale_f64 v[24:25], vcc_lo, v[2:3], v[0:1], v[2:3]
	v_mul_f64_e32 v[26:27], v[24:25], v[22:23]
	s_delay_alu instid0(VALU_DEP_1) | instskip(NEXT) | instid1(VALU_DEP_1)
	v_fma_f64 v[6:7], -v[6:7], v[26:27], v[24:25]
	v_div_fmas_f64 v[6:7], v[6:7], v[22:23], v[26:27]
	s_delay_alu instid0(VALU_DEP_1)
	v_div_fixup_f64 v[0:1], v[6:7], v[0:1], v[2:3]
	ds_store_b64 v5, v[0:1]
	s_cbranch_scc1 .LBB91_66
.LBB91_62:                              ;   Parent Loop BB91_3 Depth=1
                                        ; =>  This Loop Header: Depth=2
                                        ;       Child Loop BB91_63 Depth 3
                                        ;       Child Loop BB91_65 Depth 3
	v_mad_u32 v4, 0xa0, s27, v18
	v_mov_b32_e32 v2, v9
	s_cmp_le_i32 s25, s27
	s_mov_b32 s30, s28
	s_mov_b32 s31, s25
	ds_load_b64 v[0:1], v4
	s_cbranch_scc1 .LBB91_64
.LBB91_63:                              ;   Parent Loop BB91_3 Depth=1
                                        ;     Parent Loop BB91_62 Depth=2
                                        ; =>    This Inner Loop Header: Depth=3
	v_mov_b32_e32 v3, s30
	s_add_co_i32 s31, s31, -1
	s_add_co_i32 s30, s30, -8
	s_cmp_le_u32 s31, s27
	ds_load_b64 v[6:7], v2
	ds_load_b64 v[22:23], v3
	v_add_nc_u32_e32 v2, 0xffffff60, v2
	s_wait_dscnt 0x0
	v_fma_f64 v[0:1], -v[6:7], v[22:23], v[0:1]
	s_cbranch_scc0 .LBB91_63
.LBB91_64:                              ;   in Loop: Header=BB91_62 Depth=2
	s_mul_i32 s30, s27, 0xa8
	s_add_co_i32 s31, s27, -1
	v_dual_mov_b32 v2, s30 :: v_dual_add_nc_u32 v5, 0xffffff60, v4
	s_cmp_le_i32 s1, s27
	s_mov_b32 s33, s29
	s_mov_b32 s34, s25
	ds_load_b64 v[6:7], v2
	ds_load_b64 v[2:3], v5
	s_wait_dscnt 0x1
	v_div_scale_f64 v[22:23], null, v[6:7], v[6:7], v[0:1]
	s_delay_alu instid0(VALU_DEP_1) | instskip(SKIP_1) | instid1(TRANS32_DEP_1)
	v_rcp_f64_e32 v[24:25], v[22:23]
	v_nop
	v_fma_f64 v[26:27], -v[22:23], v[24:25], 1.0
	s_delay_alu instid0(VALU_DEP_1) | instskip(NEXT) | instid1(VALU_DEP_1)
	v_fmac_f64_e32 v[24:25], v[24:25], v[26:27]
	v_fma_f64 v[26:27], -v[22:23], v[24:25], 1.0
	s_delay_alu instid0(VALU_DEP_1) | instskip(SKIP_1) | instid1(VALU_DEP_1)
	v_fmac_f64_e32 v[24:25], v[24:25], v[26:27]
	v_div_scale_f64 v[26:27], vcc_lo, v[0:1], v[6:7], v[0:1]
	v_mul_f64_e32 v[28:29], v[26:27], v[24:25]
	s_delay_alu instid0(VALU_DEP_1) | instskip(NEXT) | instid1(VALU_DEP_1)
	v_fma_f64 v[22:23], -v[22:23], v[28:29], v[26:27]
	v_div_fmas_f64 v[22:23], v[22:23], v[24:25], v[28:29]
	s_delay_alu instid0(VALU_DEP_1)
	v_div_fixup_f64 v[6:7], v[22:23], v[6:7], v[0:1]
	v_mov_b32_e32 v0, v9
	ds_store_b64 v4, v[6:7]
	s_cbranch_scc1 .LBB91_61
.LBB91_65:                              ;   Parent Loop BB91_3 Depth=1
                                        ;     Parent Loop BB91_62 Depth=2
                                        ; =>    This Inner Loop Header: Depth=3
	v_mov_b32_e32 v1, s33
	s_add_co_i32 s34, s34, -1
	s_add_co_i32 s33, s33, -8
	s_cmp_gt_u32 s34, s31
	ds_load_b64 v[6:7], v0
	ds_load_b64 v[22:23], v1
	v_add_nc_u32_e32 v0, 0xffffff60, v0
	s_wait_dscnt 0x0
	v_fma_f64 v[2:3], -v[6:7], v[22:23], v[2:3]
	s_cbranch_scc1 .LBB91_65
	s_branch .LBB91_61
.LBB91_66:                              ;   in Loop: Header=BB91_3 Depth=1
	s_mov_b32 s27, 0
.LBB91_67:                              ;   in Loop: Header=BB91_3 Depth=1
	s_delay_alu instid0(SALU_CYCLE_1)
	s_and_not1_b32 vcc_lo, exec_lo, s27
	s_cbranch_vccnz .LBB91_79
; %bb.68:                               ;   in Loop: Header=BB91_3 Depth=1
	s_and_not1_b32 vcc_lo, exec_lo, s22
	s_mov_b32 s29, 0
	s_cbranch_vccnz .LBB91_74
; %bb.69:                               ;   in Loop: Header=BB91_3 Depth=1
	s_mov_b32 s27, 0
	s_mov_b32 s28, 0
.LBB91_70:                              ;   Parent Loop BB91_3 Depth=1
                                        ; =>  This Loop Header: Depth=2
                                        ;       Child Loop BB91_71 Depth 3
	s_delay_alu instid0(SALU_CYCLE_1)
	s_mul_i32 s29, s28, 20
	v_mov_b32_e32 v22, v18
	v_lshl_add_u32 v21, s29, 3, v18
	s_cmp_eq_u32 s28, 0
	s_mov_b32 s30, s27
	s_mov_b32 s31, s28
	ds_load_2addr_b64 v[4:7], v21 offset1:20
	ds_load_2addr_b64 v[0:3], v21 offset0:40 offset1:60
	s_cbranch_scc1 .LBB91_72
.LBB91_71:                              ;   Parent Loop BB91_3 Depth=1
                                        ;     Parent Loop BB91_70 Depth=2
                                        ; =>    This Inner Loop Header: Depth=3
	v_mov_b32_e32 v23, s30
	s_add_co_i32 s31, s31, -1
	s_add_co_i32 s30, s30, 8
	s_cmp_eq_u32 s31, 0
	ds_load_b64 v[32:33], v22
	ds_load_2addr_b64 v[24:27], v23 offset1:20
	ds_load_2addr_b64 v[28:31], v23 offset0:40 offset1:60
	v_add_nc_u32_e32 v22, 0xa0, v22
	s_wait_dscnt 0x1
	v_fma_f64 v[4:5], -v[32:33], v[24:25], v[4:5]
	v_fma_f64 v[6:7], -v[32:33], v[26:27], v[6:7]
	s_wait_dscnt 0x0
	v_fma_f64 v[0:1], -v[32:33], v[28:29], v[0:1]
	v_fma_f64 v[2:3], -v[32:33], v[30:31], v[2:3]
	s_cbranch_scc0 .LBB91_71
.LBB91_72:                              ;   in Loop: Header=BB91_70 Depth=2
	s_mul_i32 s30, s28, 0xa8
	s_lshl_b32 s29, s29, 3
	v_mov_b32_e32 v22, s30
	s_lshl_b32 s30, s28, 3
	s_addk_co_i32 s27, 0x280
	s_add_co_i32 s29, s29, s30
	s_delay_alu instid0(SALU_CYCLE_1)
	v_mov_b32_e32 v38, s29
	ds_load_b64 v[26:27], v22
	s_add_co_i32 s29, s28, 4
	s_add_co_i32 s28, s28, 7
	ds_load_b128 v[22:25], v38 offset:160
	s_cmp_ge_i32 s28, s1
	s_wait_dscnt 0x1
	v_div_scale_f64 v[28:29], null, v[26:27], v[26:27], v[4:5]
	v_div_scale_f64 v[34:35], vcc_lo, v[4:5], v[26:27], v[4:5]
	s_delay_alu instid0(VALU_DEP_2) | instskip(SKIP_1) | instid1(TRANS32_DEP_1)
	v_rcp_f64_e32 v[30:31], v[28:29]
	v_nop
	v_fma_f64 v[32:33], -v[28:29], v[30:31], 1.0
	s_delay_alu instid0(VALU_DEP_1) | instskip(NEXT) | instid1(VALU_DEP_1)
	v_fmac_f64_e32 v[30:31], v[30:31], v[32:33]
	v_fma_f64 v[32:33], -v[28:29], v[30:31], 1.0
	s_delay_alu instid0(VALU_DEP_1) | instskip(NEXT) | instid1(VALU_DEP_1)
	v_fmac_f64_e32 v[30:31], v[30:31], v[32:33]
	v_mul_f64_e32 v[32:33], v[34:35], v[30:31]
	s_delay_alu instid0(VALU_DEP_1) | instskip(NEXT) | instid1(VALU_DEP_1)
	v_fma_f64 v[28:29], -v[28:29], v[32:33], v[34:35]
	v_div_fmas_f64 v[28:29], v[28:29], v[30:31], v[32:33]
	s_delay_alu instid0(VALU_DEP_1) | instskip(SKIP_1) | instid1(VALU_DEP_1)
	v_div_fixup_f64 v[26:27], v[28:29], v[26:27], v[4:5]
	s_wait_dscnt 0x0
	v_fma_f64 v[22:23], -v[26:27], v[22:23], v[6:7]
	s_delay_alu instid0(VALU_DEP_1) | instskip(SKIP_1) | instid1(VALU_DEP_2)
	v_div_scale_f64 v[4:5], null, v[24:25], v[24:25], v[22:23]
	v_div_scale_f64 v[30:31], vcc_lo, v[22:23], v[24:25], v[22:23]
	v_rcp_f64_e32 v[6:7], v[4:5]
	v_nop
	s_delay_alu instid0(TRANS32_DEP_1) | instskip(NEXT) | instid1(VALU_DEP_1)
	v_fma_f64 v[28:29], -v[4:5], v[6:7], 1.0
	v_fmac_f64_e32 v[6:7], v[6:7], v[28:29]
	s_delay_alu instid0(VALU_DEP_1) | instskip(NEXT) | instid1(VALU_DEP_1)
	v_fma_f64 v[28:29], -v[4:5], v[6:7], 1.0
	v_fmac_f64_e32 v[6:7], v[6:7], v[28:29]
	s_delay_alu instid0(VALU_DEP_1) | instskip(NEXT) | instid1(VALU_DEP_1)
	v_mul_f64_e32 v[28:29], v[30:31], v[6:7]
	v_fma_f64 v[4:5], -v[4:5], v[28:29], v[30:31]
	s_delay_alu instid0(VALU_DEP_1)
	v_div_fmas_f64 v[28:29], v[4:5], v[6:7], v[28:29]
	ds_load_b128 v[4:7], v38 offset:320
	ds_load_b64 v[30:31], v38 offset:336
	s_wait_dscnt 0x1
	v_fma_f64 v[0:1], -v[26:27], v[4:5], v[0:1]
	v_div_fixup_f64 v[28:29], v[28:29], v[24:25], v[22:23]
	s_delay_alu instid0(VALU_DEP_1) | instskip(SKIP_1) | instid1(VALU_DEP_1)
	v_fma_f64 v[0:1], -v[28:29], v[6:7], v[0:1]
	s_wait_dscnt 0x0
	v_div_scale_f64 v[4:5], null, v[30:31], v[30:31], v[0:1]
	v_div_scale_f64 v[22:23], vcc_lo, v[0:1], v[30:31], v[0:1]
	s_delay_alu instid0(VALU_DEP_2) | instskip(SKIP_1) | instid1(TRANS32_DEP_1)
	v_rcp_f64_e32 v[32:33], v[4:5]
	v_nop
	v_fma_f64 v[6:7], -v[4:5], v[32:33], 1.0
	s_delay_alu instid0(VALU_DEP_1) | instskip(NEXT) | instid1(VALU_DEP_1)
	v_fmac_f64_e32 v[32:33], v[32:33], v[6:7]
	v_fma_f64 v[6:7], -v[4:5], v[32:33], 1.0
	s_delay_alu instid0(VALU_DEP_1) | instskip(NEXT) | instid1(VALU_DEP_1)
	v_fmac_f64_e32 v[32:33], v[32:33], v[6:7]
	v_mul_f64_e32 v[34:35], v[22:23], v[32:33]
	s_delay_alu instid0(VALU_DEP_1)
	v_fma_f64 v[36:37], -v[4:5], v[34:35], v[22:23]
	ds_load_b128 v[4:7], v38 offset:480
	ds_load_b128 v[22:25], v38 offset:496
	s_wait_dscnt 0x1
	v_fma_f64 v[2:3], -v[26:27], v[4:5], v[2:3]
	v_div_fmas_f64 v[4:5], v[36:37], v[32:33], v[34:35]
	s_delay_alu instid0(VALU_DEP_2) | instskip(NEXT) | instid1(VALU_DEP_2)
	v_fma_f64 v[2:3], -v[28:29], v[6:7], v[2:3]
	v_div_fixup_f64 v[0:1], v[4:5], v[30:31], v[0:1]
	s_wait_dscnt 0x0
	s_delay_alu instid0(VALU_DEP_1) | instskip(NEXT) | instid1(VALU_DEP_1)
	v_fma_f64 v[2:3], -v[0:1], v[22:23], v[2:3]
	v_div_scale_f64 v[4:5], null, v[24:25], v[24:25], v[2:3]
	s_delay_alu instid0(VALU_DEP_1) | instskip(SKIP_1) | instid1(TRANS32_DEP_1)
	v_rcp_f64_e32 v[6:7], v[4:5]
	v_nop
	v_fma_f64 v[22:23], -v[4:5], v[6:7], 1.0
	s_delay_alu instid0(VALU_DEP_1) | instskip(NEXT) | instid1(VALU_DEP_1)
	v_fmac_f64_e32 v[6:7], v[6:7], v[22:23]
	v_fma_f64 v[22:23], -v[4:5], v[6:7], 1.0
	s_delay_alu instid0(VALU_DEP_1) | instskip(SKIP_1) | instid1(VALU_DEP_1)
	v_fmac_f64_e32 v[6:7], v[6:7], v[22:23]
	v_div_scale_f64 v[22:23], vcc_lo, v[2:3], v[24:25], v[2:3]
	v_mul_f64_e32 v[30:31], v[22:23], v[6:7]
	s_delay_alu instid0(VALU_DEP_1) | instskip(NEXT) | instid1(VALU_DEP_1)
	v_fma_f64 v[4:5], -v[4:5], v[30:31], v[22:23]
	v_div_fmas_f64 v[4:5], v[4:5], v[6:7], v[30:31]
	s_delay_alu instid0(VALU_DEP_1)
	v_div_fixup_f64 v[2:3], v[4:5], v[24:25], v[2:3]
	ds_store_2addr_b64 v21, v[26:27], v[28:29] offset1:20
	ds_store_2addr_b64 v21, v[0:1], v[2:3] offset0:40 offset1:60
	s_cbranch_scc1 .LBB91_74
; %bb.73:                               ;   in Loop: Header=BB91_70 Depth=2
	s_mov_b32 s28, s29
	s_branch .LBB91_70
.LBB91_74:                              ;   in Loop: Header=BB91_3 Depth=1
	s_cmp_ge_i32 s29, s1
	s_cbranch_scc1 .LBB91_79
; %bb.75:                               ;   in Loop: Header=BB91_3 Depth=1
	s_mul_i32 s27, s29, 0xa0
	s_branch .LBB91_77
.LBB91_76:                              ;   in Loop: Header=BB91_77 Depth=2
	s_mul_i32 s28, s29, 0xa8
	s_add_co_i32 s29, s29, 1
	v_mov_b32_e32 v3, s28
	s_addk_co_i32 s27, 0xa0
	s_cmp_ge_i32 s29, s1
	ds_load_b64 v[4:5], v3
	s_wait_dscnt 0x0
	v_div_scale_f64 v[6:7], null, v[4:5], v[4:5], v[0:1]
	s_delay_alu instid0(VALU_DEP_1) | instskip(SKIP_1) | instid1(TRANS32_DEP_1)
	v_rcp_f64_e32 v[22:23], v[6:7]
	v_nop
	v_fma_f64 v[24:25], -v[6:7], v[22:23], 1.0
	s_delay_alu instid0(VALU_DEP_1) | instskip(NEXT) | instid1(VALU_DEP_1)
	v_fmac_f64_e32 v[22:23], v[22:23], v[24:25]
	v_fma_f64 v[24:25], -v[6:7], v[22:23], 1.0
	s_delay_alu instid0(VALU_DEP_1) | instskip(SKIP_1) | instid1(VALU_DEP_1)
	v_fmac_f64_e32 v[22:23], v[22:23], v[24:25]
	v_div_scale_f64 v[24:25], vcc_lo, v[0:1], v[4:5], v[0:1]
	v_mul_f64_e32 v[26:27], v[24:25], v[22:23]
	s_delay_alu instid0(VALU_DEP_1) | instskip(NEXT) | instid1(VALU_DEP_1)
	v_fma_f64 v[6:7], -v[6:7], v[26:27], v[24:25]
	v_div_fmas_f64 v[6:7], v[6:7], v[22:23], v[26:27]
	s_delay_alu instid0(VALU_DEP_1)
	v_div_fixup_f64 v[0:1], v[6:7], v[4:5], v[0:1]
	ds_store_b64 v2, v[0:1]
	s_cbranch_scc1 .LBB91_79
.LBB91_77:                              ;   Parent Loop BB91_3 Depth=1
                                        ; =>  This Loop Header: Depth=2
                                        ;       Child Loop BB91_78 Depth 3
	v_mad_u32 v2, 0xa0, s29, v18
	v_mov_b32_e32 v3, v18
	s_cmp_eq_u32 s29, 0
	s_mov_b32 s28, s27
	s_mov_b32 s30, s29
	ds_load_b64 v[0:1], v2
	s_cbranch_scc1 .LBB91_76
.LBB91_78:                              ;   Parent Loop BB91_3 Depth=1
                                        ;     Parent Loop BB91_77 Depth=2
                                        ; =>    This Inner Loop Header: Depth=3
	v_mov_b32_e32 v6, s28
	s_add_co_i32 s30, s30, -1
	s_add_co_i32 s28, s28, 8
	s_cmp_eq_u32 s30, 0
	ds_load_b64 v[4:5], v3
	ds_load_b64 v[6:7], v6
	v_add_nc_u32_e32 v3, 0xa0, v3
	s_wait_dscnt 0x0
	v_fma_f64 v[0:1], -v[4:5], v[6:7], v[0:1]
	s_cbranch_scc0 .LBB91_78
	s_branch .LBB91_76
.LBB91_79:                              ;   in Loop: Header=BB91_3 Depth=1
	s_and_saveexec_b32 s27, s26
	s_cbranch_execz .LBB91_2
; %bb.80:                               ;   in Loop: Header=BB91_3 Depth=1
	v_mov_b32_e32 v0, v18
	s_mov_b32 s28, s24
.LBB91_81:                              ;   Parent Loop BB91_3 Depth=1
                                        ; =>  This Inner Loop Header: Depth=2
	ds_load_b64 v[2:3], v0
	v_add_nc_u32_e32 v0, 0xa0, v0
	s_add_co_i32 s28, s28, -1
	s_delay_alu instid0(SALU_CYCLE_1)
	s_cmp_lg_u32 s28, 0
	s_wait_dscnt 0x0
	global_store_b64 v[16:17], v[2:3], off
	s_wait_xcnt 0x0
	v_add_nc_u64_e32 v[16:17], s[6:7], v[16:17]
	s_cbranch_scc1 .LBB91_81
	s_branch .LBB91_2
.LBB91_82:
	s_endpgm
	.section	.rodata,"a",@progbits
	.p2align	6, 0x0
	.amdhsa_kernel _ZL31rocblas_trsm_small_right_deviceIddPKdPdLi20EEv13rocblas_fill_18rocblas_operation_17rocblas_diagonal_iiT0_T1_lilT2_lili
		.amdhsa_group_segment_fixed_size 6400
		.amdhsa_private_segment_fixed_size 0
		.amdhsa_kernarg_size 360
		.amdhsa_user_sgpr_count 2
		.amdhsa_user_sgpr_dispatch_ptr 0
		.amdhsa_user_sgpr_queue_ptr 0
		.amdhsa_user_sgpr_kernarg_segment_ptr 1
		.amdhsa_user_sgpr_dispatch_id 0
		.amdhsa_user_sgpr_kernarg_preload_length 0
		.amdhsa_user_sgpr_kernarg_preload_offset 0
		.amdhsa_user_sgpr_private_segment_size 0
		.amdhsa_wavefront_size32 1
		.amdhsa_uses_dynamic_stack 0
		.amdhsa_enable_private_segment 0
		.amdhsa_system_sgpr_workgroup_id_x 1
		.amdhsa_system_sgpr_workgroup_id_y 0
		.amdhsa_system_sgpr_workgroup_id_z 1
		.amdhsa_system_sgpr_workgroup_info 0
		.amdhsa_system_vgpr_workitem_id 0
		.amdhsa_next_free_vgpr 44
		.amdhsa_next_free_sgpr 38
		.amdhsa_named_barrier_count 0
		.amdhsa_reserve_vcc 1
		.amdhsa_float_round_mode_32 0
		.amdhsa_float_round_mode_16_64 0
		.amdhsa_float_denorm_mode_32 3
		.amdhsa_float_denorm_mode_16_64 3
		.amdhsa_fp16_overflow 0
		.amdhsa_memory_ordered 1
		.amdhsa_forward_progress 1
		.amdhsa_inst_pref_size 49
		.amdhsa_round_robin_scheduling 0
		.amdhsa_exception_fp_ieee_invalid_op 0
		.amdhsa_exception_fp_denorm_src 0
		.amdhsa_exception_fp_ieee_div_zero 0
		.amdhsa_exception_fp_ieee_overflow 0
		.amdhsa_exception_fp_ieee_underflow 0
		.amdhsa_exception_fp_ieee_inexact 0
		.amdhsa_exception_int_div_zero 0
	.end_amdhsa_kernel
	.section	.text._ZL31rocblas_trsm_small_right_deviceIddPKdPdLi20EEv13rocblas_fill_18rocblas_operation_17rocblas_diagonal_iiT0_T1_lilT2_lili,"axG",@progbits,_ZL31rocblas_trsm_small_right_deviceIddPKdPdLi20EEv13rocblas_fill_18rocblas_operation_17rocblas_diagonal_iiT0_T1_lilT2_lili,comdat
.Lfunc_end91:
	.size	_ZL31rocblas_trsm_small_right_deviceIddPKdPdLi20EEv13rocblas_fill_18rocblas_operation_17rocblas_diagonal_iiT0_T1_lilT2_lili, .Lfunc_end91-_ZL31rocblas_trsm_small_right_deviceIddPKdPdLi20EEv13rocblas_fill_18rocblas_operation_17rocblas_diagonal_iiT0_T1_lilT2_lili
                                        ; -- End function
	.set _ZL31rocblas_trsm_small_right_deviceIddPKdPdLi20EEv13rocblas_fill_18rocblas_operation_17rocblas_diagonal_iiT0_T1_lilT2_lili.num_vgpr, 44
	.set _ZL31rocblas_trsm_small_right_deviceIddPKdPdLi20EEv13rocblas_fill_18rocblas_operation_17rocblas_diagonal_iiT0_T1_lilT2_lili.num_agpr, 0
	.set _ZL31rocblas_trsm_small_right_deviceIddPKdPdLi20EEv13rocblas_fill_18rocblas_operation_17rocblas_diagonal_iiT0_T1_lilT2_lili.numbered_sgpr, 38
	.set _ZL31rocblas_trsm_small_right_deviceIddPKdPdLi20EEv13rocblas_fill_18rocblas_operation_17rocblas_diagonal_iiT0_T1_lilT2_lili.num_named_barrier, 0
	.set _ZL31rocblas_trsm_small_right_deviceIddPKdPdLi20EEv13rocblas_fill_18rocblas_operation_17rocblas_diagonal_iiT0_T1_lilT2_lili.private_seg_size, 0
	.set _ZL31rocblas_trsm_small_right_deviceIddPKdPdLi20EEv13rocblas_fill_18rocblas_operation_17rocblas_diagonal_iiT0_T1_lilT2_lili.uses_vcc, 1
	.set _ZL31rocblas_trsm_small_right_deviceIddPKdPdLi20EEv13rocblas_fill_18rocblas_operation_17rocblas_diagonal_iiT0_T1_lilT2_lili.uses_flat_scratch, 0
	.set _ZL31rocblas_trsm_small_right_deviceIddPKdPdLi20EEv13rocblas_fill_18rocblas_operation_17rocblas_diagonal_iiT0_T1_lilT2_lili.has_dyn_sized_stack, 0
	.set _ZL31rocblas_trsm_small_right_deviceIddPKdPdLi20EEv13rocblas_fill_18rocblas_operation_17rocblas_diagonal_iiT0_T1_lilT2_lili.has_recursion, 0
	.set _ZL31rocblas_trsm_small_right_deviceIddPKdPdLi20EEv13rocblas_fill_18rocblas_operation_17rocblas_diagonal_iiT0_T1_lilT2_lili.has_indirect_call, 0
	.section	.AMDGPU.csdata,"",@progbits
; Kernel info:
; codeLenInByte = 6204
; TotalNumSgprs: 40
; NumVgprs: 44
; ScratchSize: 0
; MemoryBound: 0
; FloatMode: 240
; IeeeMode: 1
; LDSByteSize: 6400 bytes/workgroup (compile time only)
; SGPRBlocks: 0
; VGPRBlocks: 2
; NumSGPRsForWavesPerEU: 40
; NumVGPRsForWavesPerEU: 44
; NamedBarCnt: 0
; Occupancy: 13
; WaveLimiterHint : 0
; COMPUTE_PGM_RSRC2:SCRATCH_EN: 0
; COMPUTE_PGM_RSRC2:USER_SGPR: 2
; COMPUTE_PGM_RSRC2:TRAP_HANDLER: 0
; COMPUTE_PGM_RSRC2:TGID_X_EN: 1
; COMPUTE_PGM_RSRC2:TGID_Y_EN: 0
; COMPUTE_PGM_RSRC2:TGID_Z_EN: 1
; COMPUTE_PGM_RSRC2:TIDIG_COMP_CNT: 0
	.section	.text._ZL38rocblas_trsm_small_left_device_sharedBILi24ELi24ELb0EddPKdPdEv13rocblas_fill_18rocblas_operation_17rocblas_diagonal_iiT3_T4_lilT5_lili,"axG",@progbits,_ZL38rocblas_trsm_small_left_device_sharedBILi24ELi24ELb0EddPKdPdEv13rocblas_fill_18rocblas_operation_17rocblas_diagonal_iiT3_T4_lilT5_lili,comdat
	.globl	_ZL38rocblas_trsm_small_left_device_sharedBILi24ELi24ELb0EddPKdPdEv13rocblas_fill_18rocblas_operation_17rocblas_diagonal_iiT3_T4_lilT5_lili ; -- Begin function _ZL38rocblas_trsm_small_left_device_sharedBILi24ELi24ELb0EddPKdPdEv13rocblas_fill_18rocblas_operation_17rocblas_diagonal_iiT3_T4_lilT5_lili
	.p2align	8
	.type	_ZL38rocblas_trsm_small_left_device_sharedBILi24ELi24ELb0EddPKdPdEv13rocblas_fill_18rocblas_operation_17rocblas_diagonal_iiT3_T4_lilT5_lili,@function
_ZL38rocblas_trsm_small_left_device_sharedBILi24ELi24ELb0EddPKdPdEv13rocblas_fill_18rocblas_operation_17rocblas_diagonal_iiT3_T4_lilT5_lili: ; @_ZL38rocblas_trsm_small_left_device_sharedBILi24ELi24ELb0EddPKdPdEv13rocblas_fill_18rocblas_operation_17rocblas_diagonal_iiT3_T4_lilT5_lili
; %bb.0:
	s_load_b32 s19, s[0:1], 0x60
	s_bfe_u32 s2, ttmp6, 0x40014
	s_lshr_b32 s3, ttmp7, 16
	s_add_co_i32 s2, s2, 1
	s_bfe_u32 s5, ttmp6, 0x40008
	s_mul_i32 s4, s3, s2
	s_getreg_b32 s2, hwreg(HW_REG_IB_STS2, 6, 4)
	s_add_co_i32 s5, s5, s4
	s_cmp_eq_u32 s2, 0
	s_cselect_b32 s23, s3, s5
	s_wait_kmcnt 0x0
	s_cmp_ge_u32 s23, s19
	s_cbranch_scc1 .LBB92_57
; %bb.1:
	s_clause 0x4
	s_load_b96 s[16:18], s[0:1], 0x28
	s_load_b96 s[20:22], s[0:1], 0x48
	s_load_b128 s[12:15], s[0:1], 0x4
	s_load_b32 s3, s[0:1], 0x68
	s_load_b64 s[26:27], s[0:1], 0x58
	s_bfe_u32 s8, ttmp6, 0x4000c
	s_load_b128 s[4:7], s[0:1], 0x18
	s_add_co_i32 s8, s8, 1
	s_and_b32 s24, ttmp6, 15
	s_mul_i32 s25, ttmp9, s8
	s_load_b128 s[8:11], s[0:1], 0x38
	s_wait_xcnt 0x0
	s_add_co_i32 s0, s24, s25
	v_dual_mov_b32 v3, 0 :: v_dual_lshlrev_b32 v2, 3, v0
	s_delay_alu instid0(VALU_DEP_1)
	v_or_b32_e32 v10, 0x1200, v2
	s_wait_kmcnt 0x0
	s_ashr_i32 s29, s18, 31
	s_ashr_i32 s25, s22, 31
	s_min_i32 s1, s14, 24
	s_add_co_i32 s3, s3, -1
	s_add_co_i32 s24, s1, -1
	s_cmp_eq_u32 s2, 0
	s_mov_b32 s28, s18
	s_cselect_b32 s0, ttmp9, s0
	s_delay_alu instid0(SALU_CYCLE_1) | instskip(NEXT) | instid1(SALU_CYCLE_1)
	s_mul_i32 s2, s0, 0xffffffe8
	s_add_co_i32 s15, s15, s2
	s_cmp_ge_u32 s0, s3
	s_mul_i32 s2, s0, 24
	s_cselect_b32 s0, s15, 24
	s_ashr_i32 s3, s2, 31
	s_cmp_lg_u32 s13, 0x84
	v_lshl_add_u64 v[6:7], s[2:3], 3, v[2:3]
	s_cselect_b32 s13, -1, 0
	s_cmp_gt_i32 s14, 0
	v_cmp_gt_i32_e32 vcc_lo, s0, v0
	s_cselect_b32 s14, -1, 0
	s_cmp_lg_u32 s12, 0x6f
	v_cmp_gt_i32_e64 s0, s1, v0
	s_cselect_b32 s12, -1, 0
	s_lshl_b64 s[2:3], s[20:21], 3
	s_mul_i32 s15, s1, 0xc0
	s_add_nc_u64 s[2:3], s[10:11], s[2:3]
	s_and_b32 s14, vcc_lo, s14
	v_mad_nc_u64_u32 v[4:5], v6, s22, s[2:3]
	s_lshl_b64 s[2:3], s[16:17], 3
	s_lshl_b64 s[10:11], s[26:27], 3
	s_add_nc_u64 s[2:3], s[6:7], s[2:3]
	s_lshl_b64 s[6:7], s[28:29], 3
	s_addk_co_i32 s15, 0xff40
	s_delay_alu instid0(VALU_DEP_1) | instskip(SKIP_1) | instid1(VALU_DEP_2)
	v_mad_u32 v1, v7, s22, v5
	v_mul_u32_u24_e32 v7, 0xc0, v0
	v_mad_u32 v5, v6, s25, v1
	v_add_nc_u64_e32 v[0:1], s[2:3], v[2:3]
	s_delay_alu instid0(VALU_DEP_3)
	v_add_nc_u32_e32 v3, v2, v7
	s_lshl_b64 s[2:3], s[8:9], 3
	s_get_pc_i64 s[8:9]
	s_add_nc_u64 s[8:9], s[8:9], __const._ZL38rocblas_trsm_small_left_device_sharedBILi24ELi24ELb0EddPKdPdEv13rocblas_fill_18rocblas_operation_17rocblas_diagonal_iiT3_T4_lilT5_lili.step_sizes@rel64+4
	s_branch .LBB92_3
.LBB92_2:                               ;   in Loop: Header=BB92_3 Depth=1
	s_or_b32 exec_lo, exec_lo, s16
	s_add_co_i32 s23, s23, 0x10000
	s_delay_alu instid0(SALU_CYCLE_1)
	s_cmp_lt_u32 s23, s19
	s_cbranch_scc0 .LBB92_57
.LBB92_3:                               ; =>This Loop Header: Depth=1
                                        ;     Child Loop BB92_5 Depth 2
                                        ;     Child Loop BB92_11 Depth 2
	;; [unrolled: 1-line block ×3, first 2 shown]
                                        ;       Child Loop BB92_18 Depth 3
                                        ;         Child Loop BB92_19 Depth 4
                                        ;         Child Loop BB92_22 Depth 4
                                        ;           Child Loop BB92_23 Depth 5
                                        ;         Child Loop BB92_27 Depth 4
                                        ;           Child Loop BB92_29 Depth 5
                                        ;     Child Loop BB92_37 Depth 2
                                        ;       Child Loop BB92_40 Depth 3
                                        ;         Child Loop BB92_41 Depth 4
                                        ;         Child Loop BB92_43 Depth 4
                                        ;           Child Loop BB92_44 Depth 5
                                        ;         Child Loop BB92_48 Depth 4
                                        ;           Child Loop BB92_50 Depth 5
                                        ;     Child Loop BB92_56 Depth 2
	s_and_saveexec_b32 s16, s0
	s_cbranch_execz .LBB92_9
; %bb.4:                                ;   in Loop: Header=BB92_3 Depth=1
	v_mad_nc_u64_u32 v[6:7], s2, s23, v[0:1]
	v_mov_b32_e32 v8, v2
	s_mov_b32 s17, s1
	s_delay_alu instid0(VALU_DEP_2)
	v_mad_u32 v7, s3, s23, v7
.LBB92_5:                               ;   Parent Loop BB92_3 Depth=1
                                        ; =>  This Inner Loop Header: Depth=2
	global_load_b64 v[12:13], v[6:7], off
	s_wait_xcnt 0x0
	v_add_nc_u64_e32 v[6:7], s[6:7], v[6:7]
	s_add_co_i32 s17, s17, -1
	s_delay_alu instid0(SALU_CYCLE_1)
	s_cmp_eq_u32 s17, 0
	s_wait_loadcnt 0x0
	ds_store_b64 v8, v[12:13]
	v_add_nc_u32_e32 v8, 0xc0, v8
	s_cbranch_scc0 .LBB92_5
; %bb.6:                                ;   in Loop: Header=BB92_3 Depth=1
	v_mov_b64_e32 v[6:7], 1.0
	s_and_b32 vcc_lo, exec_lo, s13
	s_cbranch_vccz .LBB92_8
; %bb.7:                                ;   in Loop: Header=BB92_3 Depth=1
	ds_load_b64 v[6:7], v3
	s_wait_dscnt 0x0
	v_div_scale_f64 v[8:9], null, v[6:7], v[6:7], 1.0
	s_delay_alu instid0(VALU_DEP_1) | instskip(SKIP_1) | instid1(TRANS32_DEP_1)
	v_rcp_f64_e32 v[12:13], v[8:9]
	v_nop
	v_fma_f64 v[14:15], -v[8:9], v[12:13], 1.0
	s_delay_alu instid0(VALU_DEP_1) | instskip(NEXT) | instid1(VALU_DEP_1)
	v_fmac_f64_e32 v[12:13], v[12:13], v[14:15]
	v_fma_f64 v[14:15], -v[8:9], v[12:13], 1.0
	s_delay_alu instid0(VALU_DEP_1) | instskip(SKIP_1) | instid1(VALU_DEP_1)
	v_fmac_f64_e32 v[12:13], v[12:13], v[14:15]
	v_div_scale_f64 v[14:15], vcc_lo, 1.0, v[6:7], 1.0
	v_mul_f64_e32 v[16:17], v[14:15], v[12:13]
	s_delay_alu instid0(VALU_DEP_1) | instskip(NEXT) | instid1(VALU_DEP_1)
	v_fma_f64 v[8:9], -v[8:9], v[16:17], v[14:15]
	v_div_fmas_f64 v[8:9], v[8:9], v[12:13], v[16:17]
	s_delay_alu instid0(VALU_DEP_1)
	v_div_fixup_f64 v[6:7], v[8:9], v[6:7], 1.0
.LBB92_8:                               ;   in Loop: Header=BB92_3 Depth=1
	ds_store_b64 v3, v[6:7]
.LBB92_9:                               ;   in Loop: Header=BB92_3 Depth=1
	s_or_b32 exec_lo, exec_lo, s16
	s_delay_alu instid0(VALU_DEP_3) | instskip(NEXT) | instid1(VALU_DEP_1)
	v_mad_nc_u64_u32 v[6:7], s10, s23, v[4:5]
	v_mad_u32 v7, s11, s23, v7
	s_and_saveexec_b32 s16, s14
	s_cbranch_execz .LBB92_12
; %bb.10:                               ;   in Loop: Header=BB92_3 Depth=1
	s_delay_alu instid0(VALU_DEP_1)
	v_mov_b64_e32 v[8:9], v[6:7]
	v_mov_b32_e32 v11, v10
	s_mov_b32 s17, s1
.LBB92_11:                              ;   Parent Loop BB92_3 Depth=1
                                        ; =>  This Inner Loop Header: Depth=2
	global_load_b64 v[12:13], v[8:9], off
	s_wait_xcnt 0x0
	v_add_nc_u64_e32 v[8:9], 8, v[8:9]
	s_add_co_i32 s17, s17, -1
	s_delay_alu instid0(SALU_CYCLE_1)
	s_cmp_lg_u32 s17, 0
	s_wait_loadcnt 0x0
	v_mul_f64_e32 v[12:13], s[4:5], v[12:13]
	ds_store_b64 v11, v[12:13]
	v_add_nc_u32_e32 v11, 0xc0, v11
	s_cbranch_scc1 .LBB92_11
.LBB92_12:                              ;   in Loop: Header=BB92_3 Depth=1
	s_or_b32 exec_lo, exec_lo, s16
	s_delay_alu instid0(SALU_CYCLE_1)
	s_and_not1_b32 vcc_lo, exec_lo, s12
	s_mov_b32 s16, -1
	s_wait_dscnt 0x0
	; wave barrier
	s_cbranch_vccnz .LBB92_34
; %bb.13:                               ;   in Loop: Header=BB92_3 Depth=1
	s_mov_b32 s17, 0
	s_mov_b32 s16, 0
	s_branch .LBB92_15
.LBB92_14:                              ;   in Loop: Header=BB92_15 Depth=2
	s_cmp_lt_i32 s16, s1
	s_cselect_b32 s18, -1, 0
	s_add_co_i32 s20, s17, 1
	s_cmp_lt_u32 s17, 2
	s_wait_xcnt 0x0
	s_cselect_b32 s17, -1, 0
	s_delay_alu instid0(SALU_CYCLE_1) | instskip(NEXT) | instid1(SALU_CYCLE_1)
	s_and_b32 s17, s18, s17
	s_and_b32 vcc_lo, exec_lo, s17
	s_mov_b32 s17, s20
	s_cbranch_vccz .LBB92_33
.LBB92_15:                              ;   Parent Loop BB92_3 Depth=1
                                        ; =>  This Loop Header: Depth=2
                                        ;       Child Loop BB92_18 Depth 3
                                        ;         Child Loop BB92_19 Depth 4
                                        ;         Child Loop BB92_22 Depth 4
                                        ;           Child Loop BB92_23 Depth 5
                                        ;         Child Loop BB92_27 Depth 4
                                        ;           Child Loop BB92_29 Depth 5
	s_load_b32 s18, s[8:9], s17 offset:0x0 scale_offset
	s_wait_kmcnt 0x0
	s_add_co_i32 s20, s18, -1
	s_delay_alu instid0(SALU_CYCLE_1) | instskip(NEXT) | instid1(SALU_CYCLE_1)
	s_add_co_i32 s21, s20, s16
	s_cmp_ge_i32 s21, s1
	s_cbranch_scc1 .LBB92_14
; %bb.16:                               ;   in Loop: Header=BB92_15 Depth=2
	s_mul_i32 s21, s16, 0xc0
	s_max_i32 s22, s18, 1
	v_add_nc_u32_e32 v11, s21, v10
	s_mul_i32 s25, s18, 0xc0
	s_mul_i32 s26, s16, 0xc8
	s_mul_i32 s27, s18, 0xc8
	s_branch .LBB92_18
.LBB92_17:                              ;   in Loop: Header=BB92_18 Depth=3
	s_add_co_i32 s16, s16, s18
	v_add_nc_u32_e32 v11, s25, v11
	s_add_co_i32 s28, s20, s16
	s_add_co_i32 s21, s21, s25
	;; [unrolled: 1-line block ×3, first 2 shown]
	s_cmp_ge_i32 s28, s1
	s_cbranch_scc1 .LBB92_14
.LBB92_18:                              ;   Parent Loop BB92_3 Depth=1
                                        ;     Parent Loop BB92_15 Depth=2
                                        ; =>    This Loop Header: Depth=3
                                        ;         Child Loop BB92_19 Depth 4
                                        ;         Child Loop BB92_22 Depth 4
                                        ;           Child Loop BB92_23 Depth 5
                                        ;         Child Loop BB92_27 Depth 4
                                        ;           Child Loop BB92_29 Depth 5
	s_wait_xcnt 0x0
	v_mov_b32_e32 v8, v11
	s_mov_b32 s28, 0
	s_mov_b32 s29, s22
.LBB92_19:                              ;   Parent Loop BB92_3 Depth=1
                                        ;     Parent Loop BB92_15 Depth=2
                                        ;       Parent Loop BB92_18 Depth=3
                                        ; =>      This Inner Loop Header: Depth=4
	ds_load_b64 v[12:13], v8
	v_add_nc_u32_e32 v8, 0xc0, v8
	s_add_co_i32 s29, s29, -1
	s_wait_dscnt 0x0
	scratch_store_b64 off, v[12:13], s28
	s_wait_xcnt 0x0
	s_add_co_i32 s28, s28, 8
	s_cmp_eq_u32 s29, 0
	s_cbranch_scc0 .LBB92_19
; %bb.20:                               ;   in Loop: Header=BB92_18 Depth=3
	s_cmp_lt_i32 s16, 1
	s_cbranch_scc1 .LBB92_25
; %bb.21:                               ;   in Loop: Header=BB92_18 Depth=3
	s_mov_b32 s28, 0
	s_mov_b32 s29, s21
.LBB92_22:                              ;   Parent Loop BB92_3 Depth=1
                                        ;     Parent Loop BB92_15 Depth=2
                                        ;       Parent Loop BB92_18 Depth=3
                                        ; =>      This Loop Header: Depth=4
                                        ;           Child Loop BB92_23 Depth 5
	v_mad_u32 v8, 0xc0, s28, v10
	s_mov_b32 s30, 0
	s_mov_b32 s31, s29
	;; [unrolled: 1-line block ×3, first 2 shown]
	ds_load_b64 v[8:9], v8
.LBB92_23:                              ;   Parent Loop BB92_3 Depth=1
                                        ;     Parent Loop BB92_15 Depth=2
                                        ;       Parent Loop BB92_18 Depth=3
                                        ;         Parent Loop BB92_22 Depth=4
                                        ; =>        This Inner Loop Header: Depth=5
	scratch_load_b64 v[12:13], off, s30
	v_mov_b32_e32 v14, s31
	s_add_co_i32 s33, s33, -1
	s_addk_co_i32 s31, 0xc0
	ds_load_b64 v[14:15], v14
	s_wait_loadcnt_dscnt 0x0
	v_fma_f64 v[12:13], -v[8:9], v[14:15], v[12:13]
	scratch_store_b64 off, v[12:13], s30
	s_wait_xcnt 0x0
	s_add_co_i32 s30, s30, 8
	s_cmp_eq_u32 s33, 0
	s_cbranch_scc0 .LBB92_23
; %bb.24:                               ;   in Loop: Header=BB92_22 Depth=4
	s_add_co_i32 s28, s28, 1
	s_add_co_i32 s29, s29, 8
	s_cmp_eq_u32 s28, s16
	s_cbranch_scc0 .LBB92_22
.LBB92_25:                              ;   in Loop: Header=BB92_18 Depth=3
	s_mul_i32 s28, s16, 0xc0
	s_mov_b32 s29, 0
	s_mov_b32 s30, s26
	s_branch .LBB92_27
.LBB92_26:                              ;   in Loop: Header=BB92_27 Depth=4
	s_wait_xcnt 0x0
	s_mulk_i32 s33, 0xc8
	s_addk_co_i32 s30, 0xc0
	v_mov_b32_e32 v12, s33
	s_lshl_b32 s33, s29, 3
	s_add_co_i32 s29, s29, 1
	s_delay_alu instid0(SALU_CYCLE_1)
	s_cmp_eq_u32 s29, s22
	ds_load_b64 v[12:13], v12
	s_wait_loadcnt_dscnt 0x0
	v_dual_mul_f64 v[8:9], v[12:13], v[8:9] :: v_dual_add_nc_u32 v12, s31, v10
	scratch_store_b64 off, v[8:9], s33
	ds_store_b64 v12, v[8:9]
	s_cbranch_scc1 .LBB92_17
.LBB92_27:                              ;   Parent Loop BB92_3 Depth=1
                                        ;     Parent Loop BB92_15 Depth=2
                                        ;       Parent Loop BB92_18 Depth=3
                                        ; =>      This Loop Header: Depth=4
                                        ;           Child Loop BB92_29 Depth 5
	s_cmp_lg_u32 s29, 0
	s_cbranch_scc0 .LBB92_31
; %bb.28:                               ;   in Loop: Header=BB92_27 Depth=4
	s_lshl_b32 s34, s29, 3
	s_wait_xcnt 0x0
	s_add_co_i32 s33, s29, s16
	scratch_load_b64 v[8:9], off, s34
	s_mul_i32 s31, s33, 0xc0
	s_mov_b32 s35, 0
	s_mov_b32 s36, s30
	;; [unrolled: 1-line block ×3, first 2 shown]
.LBB92_29:                              ;   Parent Loop BB92_3 Depth=1
                                        ;     Parent Loop BB92_15 Depth=2
                                        ;       Parent Loop BB92_18 Depth=3
                                        ;         Parent Loop BB92_27 Depth=4
                                        ; =>        This Inner Loop Header: Depth=5
	scratch_load_b64 v[12:13], off, s35
	v_mov_b32_e32 v14, s36
	s_add_co_i32 s37, s37, -1
	s_wait_xcnt 0x0
	s_add_co_i32 s35, s35, 8
	s_add_co_i32 s36, s36, 8
	s_cmp_eq_u32 s37, 0
	ds_load_b64 v[14:15], v14
	s_wait_loadcnt_dscnt 0x0
	v_fma_f64 v[8:9], -v[12:13], v[14:15], v[8:9]
	scratch_store_b64 off, v[8:9], s34
	s_cbranch_scc0 .LBB92_29
; %bb.30:                               ;   in Loop: Header=BB92_27 Depth=4
	s_wait_xcnt 0x0
	s_branch .LBB92_26
.LBB92_31:                              ;   in Loop: Header=BB92_27 Depth=4
                                        ; implicit-def: $vgpr8_vgpr9
                                        ; implicit-def: $sgpr33
                                        ; implicit-def: $sgpr31
	s_cbranch_execz .LBB92_26
; %bb.32:                               ;   in Loop: Header=BB92_27 Depth=4
	scratch_load_b64 v[8:9], off, off
	s_mov_b32 s31, s28
	s_mov_b32 s33, s16
	s_branch .LBB92_26
.LBB92_33:                              ;   in Loop: Header=BB92_3 Depth=1
	s_mov_b32 s16, 0
.LBB92_34:                              ;   in Loop: Header=BB92_3 Depth=1
	s_delay_alu instid0(SALU_CYCLE_1)
	s_and_b32 vcc_lo, exec_lo, s16
	s_cbranch_vccz .LBB92_54
; %bb.35:                               ;   in Loop: Header=BB92_3 Depth=1
	s_mov_b32 s17, 0
	s_mov_b32 s16, s24
	s_branch .LBB92_37
.LBB92_36:                              ;   in Loop: Header=BB92_37 Depth=2
	s_cmp_gt_i32 s16, -1
	s_cselect_b32 s18, -1, 0
	s_add_co_i32 s20, s17, 1
	s_cmp_lt_u32 s17, 2
	s_wait_xcnt 0x0
	s_cselect_b32 s17, -1, 0
	s_delay_alu instid0(SALU_CYCLE_1) | instskip(NEXT) | instid1(SALU_CYCLE_1)
	s_and_b32 s17, s18, s17
	s_and_not1_b32 vcc_lo, exec_lo, s17
	s_mov_b32 s17, s20
	s_cbranch_vccnz .LBB92_54
.LBB92_37:                              ;   Parent Loop BB92_3 Depth=1
                                        ; =>  This Loop Header: Depth=2
                                        ;       Child Loop BB92_40 Depth 3
                                        ;         Child Loop BB92_41 Depth 4
                                        ;         Child Loop BB92_43 Depth 4
                                        ;           Child Loop BB92_44 Depth 5
                                        ;         Child Loop BB92_48 Depth 4
                                        ;           Child Loop BB92_50 Depth 5
	s_load_b32 s18, s[8:9], s17 offset:0x0 scale_offset
	s_wait_kmcnt 0x0
	s_add_co_i32 s20, s18, -1
	s_delay_alu instid0(SALU_CYCLE_1)
	s_cmp_lt_i32 s16, s20
	s_cbranch_scc1 .LBB92_36
; %bb.38:                               ;   in Loop: Header=BB92_37 Depth=2
	v_mad_u32 v11, 0xc0, s16, v10
	s_lshl_b32 s25, s16, 3
	s_lshl_b32 s26, s18, 3
	s_max_i32 s21, s18, 1
	s_mul_i32 s22, s18, 0xffffff40
	s_add_co_i32 s25, s15, s25
	s_sub_co_i32 s26, 0, s26
	s_mul_i32 s27, s16, 0xc8
	s_mul_i32 s28, s18, 0xffffff38
	s_branch .LBB92_40
.LBB92_39:                              ;   in Loop: Header=BB92_40 Depth=3
	v_add_nc_u32_e32 v11, s22, v11
	s_sub_co_i32 s16, s16, s18
	s_add_co_i32 s25, s25, s26
	s_add_co_i32 s27, s27, s28
	s_cmp_lt_i32 s16, s20
	s_cbranch_scc1 .LBB92_36
.LBB92_40:                              ;   Parent Loop BB92_3 Depth=1
                                        ;     Parent Loop BB92_37 Depth=2
                                        ; =>    This Loop Header: Depth=3
                                        ;         Child Loop BB92_41 Depth 4
                                        ;         Child Loop BB92_43 Depth 4
                                        ;           Child Loop BB92_44 Depth 5
                                        ;         Child Loop BB92_48 Depth 4
                                        ;           Child Loop BB92_50 Depth 5
	s_wait_xcnt 0x0
	v_mov_b32_e32 v8, v11
	s_mov_b32 s29, 0
	s_mov_b32 s30, s21
.LBB92_41:                              ;   Parent Loop BB92_3 Depth=1
                                        ;     Parent Loop BB92_37 Depth=2
                                        ;       Parent Loop BB92_40 Depth=3
                                        ; =>      This Inner Loop Header: Depth=4
	ds_load_b64 v[12:13], v8
	v_add_nc_u32_e32 v8, 0xffffff40, v8
	s_add_co_i32 s30, s30, -1
	s_wait_dscnt 0x0
	scratch_store_b64 off, v[12:13], s29
	s_wait_xcnt 0x0
	s_add_co_i32 s29, s29, 8
	s_cmp_eq_u32 s30, 0
	s_cbranch_scc0 .LBB92_41
; %bb.42:                               ;   in Loop: Header=BB92_40 Depth=3
	s_cmp_le_i32 s24, s16
	s_mov_b32 s29, s25
	s_mov_b32 s30, s24
	s_cbranch_scc1 .LBB92_46
.LBB92_43:                              ;   Parent Loop BB92_3 Depth=1
                                        ;     Parent Loop BB92_37 Depth=2
                                        ;       Parent Loop BB92_40 Depth=3
                                        ; =>      This Loop Header: Depth=4
                                        ;           Child Loop BB92_44 Depth 5
	v_mad_u32 v8, 0xc0, s30, v10
	s_mov_b32 s31, 0
	s_mov_b32 s33, s29
	;; [unrolled: 1-line block ×3, first 2 shown]
	ds_load_b64 v[8:9], v8
.LBB92_44:                              ;   Parent Loop BB92_3 Depth=1
                                        ;     Parent Loop BB92_37 Depth=2
                                        ;       Parent Loop BB92_40 Depth=3
                                        ;         Parent Loop BB92_43 Depth=4
                                        ; =>        This Inner Loop Header: Depth=5
	scratch_load_b64 v[12:13], off, s31
	v_mov_b32_e32 v14, s33
	s_add_co_i32 s34, s34, -1
	s_add_co_i32 s33, s33, -8
	ds_load_b64 v[14:15], v14
	s_wait_loadcnt_dscnt 0x0
	v_fma_f64 v[12:13], -v[8:9], v[14:15], v[12:13]
	scratch_store_b64 off, v[12:13], s31
	s_wait_xcnt 0x0
	s_add_co_i32 s31, s31, 8
	s_cmp_eq_u32 s34, 0
	s_cbranch_scc0 .LBB92_44
; %bb.45:                               ;   in Loop: Header=BB92_43 Depth=4
	s_add_co_i32 s30, s30, -1
	s_addk_co_i32 s29, 0xff40
	s_cmp_le_i32 s30, s16
	s_cbranch_scc0 .LBB92_43
.LBB92_46:                              ;   in Loop: Header=BB92_40 Depth=3
	s_mov_b32 s29, 0
	s_mov_b32 s30, s27
	s_branch .LBB92_48
.LBB92_47:                              ;   in Loop: Header=BB92_48 Depth=4
	s_mul_i32 s33, s31, 0xc8
	s_add_co_i32 s30, s30, -8
	v_mov_b32_e32 v12, s33
	ds_load_b64 v[12:13], v12
	s_wait_loadcnt_dscnt 0x0
	s_wait_xcnt 0x0
	v_mul_f64_e32 v[8:9], v[12:13], v[8:9]
	v_mad_u32 v12, 0xc0, s31, v10
	s_lshl_b32 s31, s29, 3
	s_add_co_i32 s29, s29, 1
	s_delay_alu instid0(SALU_CYCLE_1)
	s_cmp_eq_u32 s29, s21
	scratch_store_b64 off, v[8:9], s31
	ds_store_b64 v12, v[8:9]
	s_cbranch_scc1 .LBB92_39
.LBB92_48:                              ;   Parent Loop BB92_3 Depth=1
                                        ;     Parent Loop BB92_37 Depth=2
                                        ;       Parent Loop BB92_40 Depth=3
                                        ; =>      This Loop Header: Depth=4
                                        ;           Child Loop BB92_50 Depth 5
	s_cmp_lg_u32 s29, 0
	s_cbranch_scc0 .LBB92_52
; %bb.49:                               ;   in Loop: Header=BB92_48 Depth=4
	s_lshl_b32 s33, s29, 3
	s_wait_xcnt 0x0
	s_sub_co_i32 s31, s16, s29
	scratch_load_b64 v[8:9], off, s33
	s_mov_b32 s34, 0
	s_mov_b32 s35, s30
	;; [unrolled: 1-line block ×3, first 2 shown]
.LBB92_50:                              ;   Parent Loop BB92_3 Depth=1
                                        ;     Parent Loop BB92_37 Depth=2
                                        ;       Parent Loop BB92_40 Depth=3
                                        ;         Parent Loop BB92_48 Depth=4
                                        ; =>        This Inner Loop Header: Depth=5
	scratch_load_b64 v[12:13], off, s34
	v_mov_b32_e32 v14, s35
	s_add_co_i32 s36, s36, -1
	s_addk_co_i32 s35, 0xff40
	s_wait_xcnt 0x0
	s_add_co_i32 s34, s34, 8
	s_cmp_eq_u32 s36, 0
	ds_load_b64 v[14:15], v14
	s_wait_loadcnt_dscnt 0x0
	v_fma_f64 v[8:9], -v[12:13], v[14:15], v[8:9]
	scratch_store_b64 off, v[8:9], s33
	s_cbranch_scc0 .LBB92_50
; %bb.51:                               ;   in Loop: Header=BB92_48 Depth=4
	s_wait_xcnt 0x0
	s_branch .LBB92_47
.LBB92_52:                              ;   in Loop: Header=BB92_48 Depth=4
                                        ; implicit-def: $vgpr8_vgpr9
                                        ; implicit-def: $sgpr31
	s_cbranch_execz .LBB92_47
; %bb.53:                               ;   in Loop: Header=BB92_48 Depth=4
	scratch_load_b64 v[8:9], off, off
	s_mov_b32 s31, s16
	s_branch .LBB92_47
.LBB92_54:                              ;   in Loop: Header=BB92_3 Depth=1
	; wave barrier
	s_wait_storecnt_dscnt 0x0
	s_wait_xcnt 0x0
	s_and_saveexec_b32 s16, s14
	s_cbranch_execz .LBB92_2
; %bb.55:                               ;   in Loop: Header=BB92_3 Depth=1
	v_mov_b32_e32 v8, v10
	s_mov_b32 s17, s1
.LBB92_56:                              ;   Parent Loop BB92_3 Depth=1
                                        ; =>  This Inner Loop Header: Depth=2
	ds_load_b64 v[12:13], v8
	v_add_nc_u32_e32 v8, 0xc0, v8
	s_add_co_i32 s17, s17, -1
	s_delay_alu instid0(SALU_CYCLE_1)
	s_cmp_lg_u32 s17, 0
	s_wait_dscnt 0x0
	global_store_b64 v[6:7], v[12:13], off
	s_wait_xcnt 0x0
	v_add_nc_u64_e32 v[6:7], 8, v[6:7]
	s_cbranch_scc1 .LBB92_56
	s_branch .LBB92_2
.LBB92_57:
	s_endpgm
	.section	.rodata,"a",@progbits
	.p2align	6, 0x0
	.amdhsa_kernel _ZL38rocblas_trsm_small_left_device_sharedBILi24ELi24ELb0EddPKdPdEv13rocblas_fill_18rocblas_operation_17rocblas_diagonal_iiT3_T4_lilT5_lili
		.amdhsa_group_segment_fixed_size 9216
		.amdhsa_private_segment_fixed_size 208
		.amdhsa_kernarg_size 360
		.amdhsa_user_sgpr_count 2
		.amdhsa_user_sgpr_dispatch_ptr 0
		.amdhsa_user_sgpr_queue_ptr 0
		.amdhsa_user_sgpr_kernarg_segment_ptr 1
		.amdhsa_user_sgpr_dispatch_id 0
		.amdhsa_user_sgpr_kernarg_preload_length 0
		.amdhsa_user_sgpr_kernarg_preload_offset 0
		.amdhsa_user_sgpr_private_segment_size 0
		.amdhsa_wavefront_size32 1
		.amdhsa_uses_dynamic_stack 0
		.amdhsa_enable_private_segment 1
		.amdhsa_system_sgpr_workgroup_id_x 1
		.amdhsa_system_sgpr_workgroup_id_y 0
		.amdhsa_system_sgpr_workgroup_id_z 1
		.amdhsa_system_sgpr_workgroup_info 0
		.amdhsa_system_vgpr_workitem_id 0
		.amdhsa_next_free_vgpr 97
		.amdhsa_next_free_sgpr 38
		.amdhsa_named_barrier_count 0
		.amdhsa_reserve_vcc 1
		.amdhsa_float_round_mode_32 0
		.amdhsa_float_round_mode_16_64 0
		.amdhsa_float_denorm_mode_32 3
		.amdhsa_float_denorm_mode_16_64 3
		.amdhsa_fp16_overflow 0
		.amdhsa_memory_ordered 1
		.amdhsa_forward_progress 1
		.amdhsa_inst_pref_size 17
		.amdhsa_round_robin_scheduling 0
		.amdhsa_exception_fp_ieee_invalid_op 0
		.amdhsa_exception_fp_denorm_src 0
		.amdhsa_exception_fp_ieee_div_zero 0
		.amdhsa_exception_fp_ieee_overflow 0
		.amdhsa_exception_fp_ieee_underflow 0
		.amdhsa_exception_fp_ieee_inexact 0
		.amdhsa_exception_int_div_zero 0
	.end_amdhsa_kernel
	.section	.text._ZL38rocblas_trsm_small_left_device_sharedBILi24ELi24ELb0EddPKdPdEv13rocblas_fill_18rocblas_operation_17rocblas_diagonal_iiT3_T4_lilT5_lili,"axG",@progbits,_ZL38rocblas_trsm_small_left_device_sharedBILi24ELi24ELb0EddPKdPdEv13rocblas_fill_18rocblas_operation_17rocblas_diagonal_iiT3_T4_lilT5_lili,comdat
.Lfunc_end92:
	.size	_ZL38rocblas_trsm_small_left_device_sharedBILi24ELi24ELb0EddPKdPdEv13rocblas_fill_18rocblas_operation_17rocblas_diagonal_iiT3_T4_lilT5_lili, .Lfunc_end92-_ZL38rocblas_trsm_small_left_device_sharedBILi24ELi24ELb0EddPKdPdEv13rocblas_fill_18rocblas_operation_17rocblas_diagonal_iiT3_T4_lilT5_lili
                                        ; -- End function
	.set _ZL38rocblas_trsm_small_left_device_sharedBILi24ELi24ELb0EddPKdPdEv13rocblas_fill_18rocblas_operation_17rocblas_diagonal_iiT3_T4_lilT5_lili.num_vgpr, 18
	.set _ZL38rocblas_trsm_small_left_device_sharedBILi24ELi24ELb0EddPKdPdEv13rocblas_fill_18rocblas_operation_17rocblas_diagonal_iiT3_T4_lilT5_lili.num_agpr, 0
	.set _ZL38rocblas_trsm_small_left_device_sharedBILi24ELi24ELb0EddPKdPdEv13rocblas_fill_18rocblas_operation_17rocblas_diagonal_iiT3_T4_lilT5_lili.numbered_sgpr, 38
	.set _ZL38rocblas_trsm_small_left_device_sharedBILi24ELi24ELb0EddPKdPdEv13rocblas_fill_18rocblas_operation_17rocblas_diagonal_iiT3_T4_lilT5_lili.num_named_barrier, 0
	.set _ZL38rocblas_trsm_small_left_device_sharedBILi24ELi24ELb0EddPKdPdEv13rocblas_fill_18rocblas_operation_17rocblas_diagonal_iiT3_T4_lilT5_lili.private_seg_size, 208
	.set _ZL38rocblas_trsm_small_left_device_sharedBILi24ELi24ELb0EddPKdPdEv13rocblas_fill_18rocblas_operation_17rocblas_diagonal_iiT3_T4_lilT5_lili.uses_vcc, 1
	.set _ZL38rocblas_trsm_small_left_device_sharedBILi24ELi24ELb0EddPKdPdEv13rocblas_fill_18rocblas_operation_17rocblas_diagonal_iiT3_T4_lilT5_lili.uses_flat_scratch, 0
	.set _ZL38rocblas_trsm_small_left_device_sharedBILi24ELi24ELb0EddPKdPdEv13rocblas_fill_18rocblas_operation_17rocblas_diagonal_iiT3_T4_lilT5_lili.has_dyn_sized_stack, 0
	.set _ZL38rocblas_trsm_small_left_device_sharedBILi24ELi24ELb0EddPKdPdEv13rocblas_fill_18rocblas_operation_17rocblas_diagonal_iiT3_T4_lilT5_lili.has_recursion, 0
	.set _ZL38rocblas_trsm_small_left_device_sharedBILi24ELi24ELb0EddPKdPdEv13rocblas_fill_18rocblas_operation_17rocblas_diagonal_iiT3_T4_lilT5_lili.has_indirect_call, 0
	.section	.AMDGPU.csdata,"",@progbits
; Kernel info:
; codeLenInByte = 2128
; TotalNumSgprs: 40
; NumVgprs: 18
; ScratchSize: 208
; MemoryBound: 0
; FloatMode: 240
; IeeeMode: 1
; LDSByteSize: 9216 bytes/workgroup (compile time only)
; SGPRBlocks: 0
; VGPRBlocks: 6
; NumSGPRsForWavesPerEU: 40
; NumVGPRsForWavesPerEU: 97
; NamedBarCnt: 0
; Occupancy: 9
; WaveLimiterHint : 0
; COMPUTE_PGM_RSRC2:SCRATCH_EN: 1
; COMPUTE_PGM_RSRC2:USER_SGPR: 2
; COMPUTE_PGM_RSRC2:TRAP_HANDLER: 0
; COMPUTE_PGM_RSRC2:TGID_X_EN: 1
; COMPUTE_PGM_RSRC2:TGID_Y_EN: 0
; COMPUTE_PGM_RSRC2:TGID_Z_EN: 1
; COMPUTE_PGM_RSRC2:TIDIG_COMP_CNT: 0
	.section	.text._ZL30rocblas_trsm_small_left_deviceILi24ELi24ELb0EddPKdPdEv13rocblas_fill_18rocblas_operation_17rocblas_diagonal_iiT3_T4_lilT5_lili,"axG",@progbits,_ZL30rocblas_trsm_small_left_deviceILi24ELi24ELb0EddPKdPdEv13rocblas_fill_18rocblas_operation_17rocblas_diagonal_iiT3_T4_lilT5_lili,comdat
	.globl	_ZL30rocblas_trsm_small_left_deviceILi24ELi24ELb0EddPKdPdEv13rocblas_fill_18rocblas_operation_17rocblas_diagonal_iiT3_T4_lilT5_lili ; -- Begin function _ZL30rocblas_trsm_small_left_deviceILi24ELi24ELb0EddPKdPdEv13rocblas_fill_18rocblas_operation_17rocblas_diagonal_iiT3_T4_lilT5_lili
	.p2align	8
	.type	_ZL30rocblas_trsm_small_left_deviceILi24ELi24ELb0EddPKdPdEv13rocblas_fill_18rocblas_operation_17rocblas_diagonal_iiT3_T4_lilT5_lili,@function
_ZL30rocblas_trsm_small_left_deviceILi24ELi24ELb0EddPKdPdEv13rocblas_fill_18rocblas_operation_17rocblas_diagonal_iiT3_T4_lilT5_lili: ; @_ZL30rocblas_trsm_small_left_deviceILi24ELi24ELb0EddPKdPdEv13rocblas_fill_18rocblas_operation_17rocblas_diagonal_iiT3_T4_lilT5_lili
; %bb.0:
	s_load_b32 s28, s[0:1], 0x60
	s_bfe_u32 s2, ttmp6, 0x40014
	s_lshr_b32 s4, ttmp7, 16
	s_add_co_i32 s2, s2, 1
	s_bfe_u32 s5, ttmp6, 0x40008
	s_mul_i32 s2, s4, s2
	s_getreg_b32 s3, hwreg(HW_REG_IB_STS2, 6, 4)
	s_add_co_i32 s5, s5, s2
	s_cmp_eq_u32 s3, 0
	s_mov_b32 s19, 0
	s_cselect_b32 s2, s4, s5
	s_wait_kmcnt 0x0
	s_cmp_ge_u32 s2, s28
	s_cbranch_scc1 .LBB93_54
; %bb.1:
	s_clause 0x4
	s_load_b96 s[16:18], s[0:1], 0x28
	s_load_b96 s[24:26], s[0:1], 0x48
	s_load_b128 s[8:11], s[0:1], 0x4
	s_load_b32 s22, s[0:1], 0x68
	s_load_b64 s[20:21], s[0:1], 0x58
	s_bfe_u32 s12, ttmp6, 0x4000c
	s_and_b32 s23, ttmp6, 15
	s_add_co_i32 s12, s12, 1
	s_load_b128 s[4:7], s[0:1], 0x18
	s_mul_i32 s27, ttmp9, s12
	s_load_b128 s[12:15], s[0:1], 0x38
	s_wait_xcnt 0x0
	s_add_co_i32 s0, s23, s27
	v_mul_u32_u24_e32 v1, 0xc0, v0
	s_mov_b32 s35, 0
                                        ; implicit-def: $sgpr36
                                        ; implicit-def: $sgpr37
	s_wait_kmcnt 0x0
	s_ashr_i32 s23, s18, 31
	s_ashr_i32 s1, s26, 31
	s_min_i32 s29, s10, 24
	s_lshl_b64 s[24:25], s[24:25], 3
	s_add_co_i32 s10, s22, -1
	s_add_co_i32 s30, s29, -1
	s_cmp_eq_u32 s3, 0
	s_mov_b32 s22, s18
	s_cselect_b32 s3, ttmp9, s0
	s_mov_b32 s0, s26
	v_mad_u32 v2, s3, 24, v0
	s_add_nc_u64 s[14:15], s[14:15], s[24:25]
	s_mul_i32 s34, s29, 0xc0
	s_delay_alu instid0(VALU_DEP_1) | instskip(NEXT) | instid1(VALU_DEP_1)
	v_ashrrev_i32_e32 v3, 31, v2
	v_mul_u64_e32 v[4:5], s[0:1], v[2:3]
	s_mul_i32 s0, s3, 0xffffffe8
	v_lshlrev_b32_e32 v2, 3, v0
	s_add_co_i32 s1, s11, s0
	s_cmp_ge_u32 s3, s10
	v_mov_b32_e32 v3, 0
	s_cselect_b32 s1, s1, 24
	s_cmp_lg_u32 s9, 0x84
	v_add_nc_u32_e32 v14, v2, v1
	s_cselect_b32 s31, -1, 0
	s_cmp_lg_u32 s8, 0x6f
	v_cmp_gt_i32_e64 s0, s29, v0
	s_cselect_b32 s33, -1, 0
	s_lshl_b64 s[16:17], s[16:17], 3
	v_cmp_gt_i32_e64 s1, s1, v0
	s_add_nc_u64 s[6:7], s[6:7], s[16:17]
	s_lshl_b64 s[8:9], s[12:13], 3
	v_add_nc_u64_e32 v[0:1], s[6:7], v[2:3]
	s_lshl_b64 s[10:11], s[22:23], 3
	s_lshl_b64 s[12:13], s[20:21], 3
	s_addk_co_i32 s34, 0xff40
	s_get_pc_i64 s[6:7]
	s_add_nc_u64 s[6:7], s[6:7], __const._ZL30rocblas_trsm_small_left_deviceILi24ELi24ELb0EddPKdPdEv13rocblas_fill_18rocblas_operation_17rocblas_diagonal_iiT3_T4_lilT5_lili.step_sizes@rel64+4
	v_lshl_add_u64 v[4:5], v[4:5], 3, s[14:15]
	s_branch .LBB93_4
.LBB93_2:                               ;   in Loop: Header=BB93_4 Depth=1
	s_add_co_i32 s2, s2, 0x10000
	s_delay_alu instid0(SALU_CYCLE_1)
	s_cmp_ge_u32 s2, s28
	s_cselect_b32 s3, -1, 0
	s_and_not1_b32 s37, s37, exec_lo
	s_or_not1_b32 s14, s3, exec_lo
.LBB93_3:                               ;   in Loop: Header=BB93_4 Depth=1
	s_wait_xcnt 0x0
	s_or_b32 exec_lo, exec_lo, s38
	s_delay_alu instid0(SALU_CYCLE_1) | instskip(NEXT) | instid1(SALU_CYCLE_1)
	s_and_b32 s3, exec_lo, s14
	s_or_b32 s35, s3, s35
	s_and_not1_b32 s3, s36, exec_lo
	s_and_b32 s14, s37, exec_lo
	s_delay_alu instid0(SALU_CYCLE_1)
	s_or_b32 s36, s3, s14
	s_and_not1_b32 exec_lo, exec_lo, s35
	s_cbranch_execz .LBB93_53
.LBB93_4:                               ; =>This Loop Header: Depth=1
                                        ;     Child Loop BB93_6 Depth 2
                                        ;     Child Loop BB93_14 Depth 2
                                        ;       Child Loop BB93_17 Depth 3
                                        ;         Child Loop BB93_18 Depth 4
                                        ;         Child Loop BB93_21 Depth 4
                                        ;           Child Loop BB93_22 Depth 5
                                        ;         Child Loop BB93_26 Depth 4
                                        ;           Child Loop BB93_28 Depth 5
                                        ;     Child Loop BB93_36 Depth 2
                                        ;       Child Loop BB93_39 Depth 3
                                        ;         Child Loop BB93_40 Depth 4
                                        ;         Child Loop BB93_42 Depth 4
                                        ;           Child Loop BB93_43 Depth 5
                                        ;         Child Loop BB93_47 Depth 4
                                        ;           Child Loop BB93_49 Depth 5
	s_mov_b32 s3, s19
	s_and_saveexec_b32 s14, s0
	s_cbranch_execz .LBB93_10
; %bb.5:                                ;   in Loop: Header=BB93_4 Depth=1
	v_mad_nc_u64_u32 v[6:7], s8, s2, v[0:1]
	v_mov_b32_e32 v3, v2
	s_mov_b32 s15, s29
	s_delay_alu instid0(VALU_DEP_2)
	v_mad_u32 v7, s9, s2, v7
.LBB93_6:                               ;   Parent Loop BB93_4 Depth=1
                                        ; =>  This Inner Loop Header: Depth=2
	global_load_b64 v[8:9], v[6:7], off
	s_wait_xcnt 0x0
	v_add_nc_u64_e32 v[6:7], s[10:11], v[6:7]
	s_add_co_i32 s15, s15, -1
	s_delay_alu instid0(SALU_CYCLE_1)
	s_cmp_eq_u32 s15, 0
	s_wait_loadcnt 0x0
	ds_store_b64 v3, v[8:9]
	v_add_nc_u32_e32 v3, 0xc0, v3
	s_cbranch_scc0 .LBB93_6
; %bb.7:                                ;   in Loop: Header=BB93_4 Depth=1
	v_mov_b64_e32 v[6:7], 1.0
	s_and_b32 vcc_lo, exec_lo, s31
	s_cbranch_vccz .LBB93_9
; %bb.8:                                ;   in Loop: Header=BB93_4 Depth=1
	ds_load_b64 v[6:7], v14
	s_wait_dscnt 0x0
	v_div_scale_f64 v[8:9], null, v[6:7], v[6:7], 1.0
	s_delay_alu instid0(VALU_DEP_1) | instskip(SKIP_1) | instid1(TRANS32_DEP_1)
	v_rcp_f64_e32 v[10:11], v[8:9]
	v_nop
	v_fma_f64 v[12:13], -v[8:9], v[10:11], 1.0
	s_delay_alu instid0(VALU_DEP_1) | instskip(NEXT) | instid1(VALU_DEP_1)
	v_fmac_f64_e32 v[10:11], v[10:11], v[12:13]
	v_fma_f64 v[12:13], -v[8:9], v[10:11], 1.0
	s_delay_alu instid0(VALU_DEP_1) | instskip(SKIP_1) | instid1(VALU_DEP_1)
	v_fmac_f64_e32 v[10:11], v[10:11], v[12:13]
	v_div_scale_f64 v[12:13], vcc_lo, 1.0, v[6:7], 1.0
	v_mul_f64_e32 v[16:17], v[12:13], v[10:11]
	s_delay_alu instid0(VALU_DEP_1) | instskip(NEXT) | instid1(VALU_DEP_1)
	v_fma_f64 v[8:9], -v[8:9], v[16:17], v[12:13]
	v_div_fmas_f64 v[8:9], v[8:9], v[10:11], v[16:17]
	s_delay_alu instid0(VALU_DEP_1)
	v_div_fixup_f64 v[6:7], v[8:9], v[6:7], 1.0
.LBB93_9:                               ;   in Loop: Header=BB93_4 Depth=1
	ds_store_b64 v14, v[6:7]
.LBB93_10:                              ;   in Loop: Header=BB93_4 Depth=1
	s_or_b32 exec_lo, exec_lo, s14
	s_mov_b32 s14, -1
	s_or_b32 s37, s37, exec_lo
	s_wait_dscnt 0x0
	; wave barrier
	s_and_saveexec_b32 s38, s1
	s_cbranch_execz .LBB93_3
; %bb.11:                               ;   in Loop: Header=BB93_4 Depth=1
	s_mul_u64 s[14:15], s[20:21], s[2:3]
	s_and_not1_b32 vcc_lo, exec_lo, s33
	v_lshl_add_u64 v[6:7], s[14:15], 3, v[4:5]
	s_mul_u64 s[14:15], s[12:13], s[2:3]
	s_mov_b32 s3, -1
	s_cbranch_vccnz .LBB93_33
; %bb.12:                               ;   in Loop: Header=BB93_4 Depth=1
	v_add_nc_u64_e32 v[8:9], s[14:15], v[4:5]
	s_mov_b32 s3, 0
	s_mov_b32 s16, 0
	s_branch .LBB93_14
.LBB93_13:                              ;   in Loop: Header=BB93_14 Depth=2
	s_cmp_lt_i32 s16, s29
	s_cselect_b32 s17, -1, 0
	s_add_co_i32 s18, s3, 1
	s_cmp_lt_u32 s3, 2
	s_wait_xcnt 0x0
	s_cselect_b32 s3, -1, 0
	s_delay_alu instid0(SALU_CYCLE_1) | instskip(NEXT) | instid1(SALU_CYCLE_1)
	s_and_b32 s3, s17, s3
	s_and_b32 vcc_lo, exec_lo, s3
	s_mov_b32 s3, s18
	s_cbranch_vccz .LBB93_32
.LBB93_14:                              ;   Parent Loop BB93_4 Depth=1
                                        ; =>  This Loop Header: Depth=2
                                        ;       Child Loop BB93_17 Depth 3
                                        ;         Child Loop BB93_18 Depth 4
                                        ;         Child Loop BB93_21 Depth 4
                                        ;           Child Loop BB93_22 Depth 5
                                        ;         Child Loop BB93_26 Depth 4
                                        ;           Child Loop BB93_28 Depth 5
	s_load_b32 s22, s[6:7], s3 offset:0x0 scale_offset
	s_wait_kmcnt 0x0
	s_add_co_i32 s39, s22, -1
	s_delay_alu instid0(SALU_CYCLE_1) | instskip(NEXT) | instid1(SALU_CYCLE_1)
	s_add_co_i32 s17, s39, s16
	s_cmp_ge_i32 s17, s29
	s_cbranch_scc1 .LBB93_13
; %bb.15:                               ;   in Loop: Header=BB93_14 Depth=2
	s_ashr_i32 s17, s16, 31
	s_ashr_i32 s23, s22, 31
	v_lshl_add_u64 v[10:11], s[16:17], 3, v[8:9]
	s_max_i32 s40, s22, 1
	s_lshl_b64 s[24:25], s[22:23], 3
	s_mul_i32 s17, s16, 0xc0
	s_mul_i32 s23, s22, 0xc0
	;; [unrolled: 1-line block ×4, first 2 shown]
	s_branch .LBB93_17
.LBB93_16:                              ;   in Loop: Header=BB93_17 Depth=3
	v_add_nc_u64_e32 v[10:11], s[24:25], v[10:11]
	s_add_co_i32 s16, s16, s22
	s_add_co_i32 s17, s17, s23
	s_add_co_i32 s18, s39, s16
	s_add_co_i32 s41, s41, s42
	s_cmp_ge_i32 s18, s29
	s_cbranch_scc1 .LBB93_13
.LBB93_17:                              ;   Parent Loop BB93_4 Depth=1
                                        ;     Parent Loop BB93_14 Depth=2
                                        ; =>    This Loop Header: Depth=3
                                        ;         Child Loop BB93_18 Depth 4
                                        ;         Child Loop BB93_21 Depth 4
                                        ;           Child Loop BB93_22 Depth 5
                                        ;         Child Loop BB93_26 Depth 4
                                        ;           Child Loop BB93_28 Depth 5
	s_wait_xcnt 0x0
	v_mov_b64_e32 v[12:13], v[10:11]
	s_mov_b32 s18, 0
	s_mov_b32 s26, s40
.LBB93_18:                              ;   Parent Loop BB93_4 Depth=1
                                        ;     Parent Loop BB93_14 Depth=2
                                        ;       Parent Loop BB93_17 Depth=3
                                        ; =>      This Inner Loop Header: Depth=4
	global_load_b64 v[16:17], v[12:13], off
	s_wait_xcnt 0x0
	v_add_nc_u64_e32 v[12:13], 8, v[12:13]
	s_add_co_i32 s26, s26, -1
	s_wait_loadcnt 0x0
	v_mul_f64_e32 v[16:17], s[4:5], v[16:17]
	scratch_store_b64 off, v[16:17], s18
	s_wait_xcnt 0x0
	s_add_co_i32 s18, s18, 8
	s_cmp_eq_u32 s26, 0
	s_cbranch_scc0 .LBB93_18
; %bb.19:                               ;   in Loop: Header=BB93_17 Depth=3
	s_cmp_lt_i32 s16, 1
	s_cbranch_scc1 .LBB93_24
; %bb.20:                               ;   in Loop: Header=BB93_17 Depth=3
	s_mov_b32 s18, 0
	s_mov_b32 s26, s17
.LBB93_21:                              ;   Parent Loop BB93_4 Depth=1
                                        ;     Parent Loop BB93_14 Depth=2
                                        ;       Parent Loop BB93_17 Depth=3
                                        ; =>      This Loop Header: Depth=4
                                        ;           Child Loop BB93_22 Depth 5
	v_lshl_add_u64 v[12:13], s[18:19], 3, v[6:7]
	s_mov_b32 s27, 0
	s_mov_b32 s43, s26
	;; [unrolled: 1-line block ×3, first 2 shown]
	global_load_b64 v[12:13], v[12:13], off
.LBB93_22:                              ;   Parent Loop BB93_4 Depth=1
                                        ;     Parent Loop BB93_14 Depth=2
                                        ;       Parent Loop BB93_17 Depth=3
                                        ;         Parent Loop BB93_21 Depth=4
                                        ; =>        This Inner Loop Header: Depth=5
	scratch_load_b64 v[16:17], off, s27
	v_mov_b32_e32 v3, s43
	s_add_co_i32 s44, s44, -1
	s_addk_co_i32 s43, 0xc0
	ds_load_b64 v[18:19], v3
	s_wait_loadcnt_dscnt 0x0
	v_fma_f64 v[16:17], -v[12:13], v[18:19], v[16:17]
	scratch_store_b64 off, v[16:17], s27
	s_wait_xcnt 0x0
	s_add_co_i32 s27, s27, 8
	s_cmp_eq_u32 s44, 0
	s_cbranch_scc0 .LBB93_22
; %bb.23:                               ;   in Loop: Header=BB93_21 Depth=4
	s_add_co_i32 s18, s18, 1
	s_add_co_i32 s26, s26, 8
	s_cmp_eq_u32 s18, s16
	s_cbranch_scc0 .LBB93_21
.LBB93_24:                              ;   in Loop: Header=BB93_17 Depth=3
	s_mov_b32 s18, 0
	s_mov_b32 s43, s41
	s_branch .LBB93_26
.LBB93_25:                              ;   in Loop: Header=BB93_26 Depth=4
	s_mul_i32 s27, s26, 0xc8
	s_wait_xcnt 0x1
	s_lshl_b32 s44, s18, 3
	v_mov_b32_e32 v3, s27
	s_ashr_i32 s27, s26, 31
	s_add_co_i32 s18, s18, 1
	s_addk_co_i32 s43, 0xc0
	s_cmp_eq_u32 s18, s40
	s_wait_xcnt 0x0
	ds_load_b64 v[16:17], v3
	s_wait_loadcnt_dscnt 0x0
	v_mul_f64_e32 v[12:13], v[16:17], v[12:13]
	v_lshl_add_u64 v[16:17], s[26:27], 3, v[6:7]
	scratch_store_b64 off, v[12:13], s44
	global_store_b64 v[16:17], v[12:13], off
	s_cbranch_scc1 .LBB93_16
.LBB93_26:                              ;   Parent Loop BB93_4 Depth=1
                                        ;     Parent Loop BB93_14 Depth=2
                                        ;       Parent Loop BB93_17 Depth=3
                                        ; =>      This Loop Header: Depth=4
                                        ;           Child Loop BB93_28 Depth 5
	s_cmp_lg_u32 s18, 0
	s_cbranch_scc0 .LBB93_30
; %bb.27:                               ;   in Loop: Header=BB93_26 Depth=4
	s_lshl_b32 s27, s18, 3
	s_add_co_i32 s26, s18, s16
	scratch_load_b64 v[12:13], off, s27
	s_mov_b32 s44, 0
	s_mov_b32 s45, s43
	;; [unrolled: 1-line block ×3, first 2 shown]
.LBB93_28:                              ;   Parent Loop BB93_4 Depth=1
                                        ;     Parent Loop BB93_14 Depth=2
                                        ;       Parent Loop BB93_17 Depth=3
                                        ;         Parent Loop BB93_26 Depth=4
                                        ; =>        This Inner Loop Header: Depth=5
	scratch_load_b64 v[16:17], off, s44
	v_mov_b32_e32 v3, s45
	s_add_co_i32 s46, s46, -1
	s_wait_xcnt 0x0
	s_add_co_i32 s44, s44, 8
	s_add_co_i32 s45, s45, 8
	s_cmp_eq_u32 s46, 0
	ds_load_b64 v[18:19], v3
	s_wait_loadcnt_dscnt 0x0
	v_fma_f64 v[12:13], -v[16:17], v[18:19], v[12:13]
	scratch_store_b64 off, v[12:13], s27
	s_cbranch_scc0 .LBB93_28
; %bb.29:                               ;   in Loop: Header=BB93_26 Depth=4
	s_wait_xcnt 0x0
	s_branch .LBB93_25
.LBB93_30:                              ;   in Loop: Header=BB93_26 Depth=4
                                        ; implicit-def: $vgpr12_vgpr13
                                        ; implicit-def: $sgpr26
	s_cbranch_execz .LBB93_25
; %bb.31:                               ;   in Loop: Header=BB93_26 Depth=4
	scratch_load_b64 v[12:13], off, off
	s_mov_b32 s26, s16
	s_branch .LBB93_25
.LBB93_32:                              ;   in Loop: Header=BB93_4 Depth=1
	s_mov_b32 s3, 0
.LBB93_33:                              ;   in Loop: Header=BB93_4 Depth=1
	s_delay_alu instid0(SALU_CYCLE_1)
	s_and_b32 vcc_lo, exec_lo, s3
	s_cbranch_vccz .LBB93_2
; %bb.34:                               ;   in Loop: Header=BB93_4 Depth=1
	v_add_nc_u64_e32 v[8:9], s[14:15], v[4:5]
	s_mov_b32 s3, 0
	s_mov_b32 s14, s30
	s_branch .LBB93_36
.LBB93_35:                              ;   in Loop: Header=BB93_36 Depth=2
	s_cmp_gt_i32 s14, -1
	s_cselect_b32 s15, -1, 0
	s_add_co_i32 s16, s3, 1
	s_cmp_lt_u32 s3, 2
	s_wait_xcnt 0x0
	s_cselect_b32 s3, -1, 0
	s_delay_alu instid0(SALU_CYCLE_1) | instskip(NEXT) | instid1(SALU_CYCLE_1)
	s_and_b32 s3, s15, s3
	s_and_not1_b32 vcc_lo, exec_lo, s3
	s_mov_b32 s3, s16
	s_cbranch_vccnz .LBB93_2
.LBB93_36:                              ;   Parent Loop BB93_4 Depth=1
                                        ; =>  This Loop Header: Depth=2
                                        ;       Child Loop BB93_39 Depth 3
                                        ;         Child Loop BB93_40 Depth 4
                                        ;         Child Loop BB93_42 Depth 4
                                        ;           Child Loop BB93_43 Depth 5
                                        ;         Child Loop BB93_47 Depth 4
                                        ;           Child Loop BB93_49 Depth 5
	s_load_b32 s18, s[6:7], s3 offset:0x0 scale_offset
	s_wait_kmcnt 0x0
	s_add_co_i32 s24, s18, -1
	s_delay_alu instid0(SALU_CYCLE_1)
	s_cmp_lt_i32 s14, s24
	s_cbranch_scc1 .LBB93_35
; %bb.37:                               ;   in Loop: Header=BB93_36 Depth=2
	s_lshl_b32 s15, s14, 3
	s_lshl_b32 s16, s18, 3
	s_max_i32 s25, s18, 1
	s_add_co_i32 s26, s34, s15
	s_sub_co_i32 s27, 0, s16
	s_mul_i32 s39, s14, 0xc8
	s_mul_i32 s40, s18, 0xffffff38
	s_branch .LBB93_39
.LBB93_38:                              ;   in Loop: Header=BB93_39 Depth=3
	s_sub_co_i32 s14, s14, s18
	s_add_co_i32 s26, s26, s27
	s_add_co_i32 s39, s39, s40
	s_cmp_lt_i32 s14, s24
	s_cbranch_scc1 .LBB93_35
.LBB93_39:                              ;   Parent Loop BB93_4 Depth=1
                                        ;     Parent Loop BB93_36 Depth=2
                                        ; =>    This Loop Header: Depth=3
                                        ;         Child Loop BB93_40 Depth 4
                                        ;         Child Loop BB93_42 Depth 4
                                        ;           Child Loop BB93_43 Depth 5
                                        ;         Child Loop BB93_47 Depth 4
                                        ;           Child Loop BB93_49 Depth 5
	s_ashr_i32 s15, s14, 31
	s_mov_b32 s16, 0
	s_wait_xcnt 0x0
	v_lshl_add_u64 v[10:11], s[14:15], 3, v[8:9]
	s_mov_b32 s17, s25
.LBB93_40:                              ;   Parent Loop BB93_4 Depth=1
                                        ;     Parent Loop BB93_36 Depth=2
                                        ;       Parent Loop BB93_39 Depth=3
                                        ; =>      This Inner Loop Header: Depth=4
	global_load_b64 v[12:13], v[10:11], off
	s_wait_xcnt 0x0
	v_add_nc_u64_e32 v[10:11], -8, v[10:11]
	s_add_co_i32 s17, s17, -1
	s_wait_loadcnt 0x0
	v_mul_f64_e32 v[12:13], s[4:5], v[12:13]
	scratch_store_b64 off, v[12:13], s16
	s_wait_xcnt 0x0
	s_add_co_i32 s16, s16, 8
	s_cmp_eq_u32 s17, 0
	s_cbranch_scc0 .LBB93_40
; %bb.41:                               ;   in Loop: Header=BB93_39 Depth=3
	s_cmp_le_i32 s30, s14
	s_mov_b32 s22, s26
	s_mov_b32 s16, s30
	s_cbranch_scc1 .LBB93_45
.LBB93_42:                              ;   Parent Loop BB93_4 Depth=1
                                        ;     Parent Loop BB93_36 Depth=2
                                        ;       Parent Loop BB93_39 Depth=3
                                        ; =>      This Loop Header: Depth=4
                                        ;           Child Loop BB93_43 Depth 5
	s_ashr_i32 s17, s16, 31
	s_mov_b32 s23, s22
	v_lshl_add_u64 v[10:11], s[16:17], 3, v[6:7]
	s_mov_b32 s17, 0
	s_mov_b32 s41, s25
	global_load_b64 v[10:11], v[10:11], off
.LBB93_43:                              ;   Parent Loop BB93_4 Depth=1
                                        ;     Parent Loop BB93_36 Depth=2
                                        ;       Parent Loop BB93_39 Depth=3
                                        ;         Parent Loop BB93_42 Depth=4
                                        ; =>        This Inner Loop Header: Depth=5
	scratch_load_b64 v[12:13], off, s17
	v_mov_b32_e32 v3, s23
	s_add_co_i32 s41, s41, -1
	s_add_co_i32 s23, s23, -8
	ds_load_b64 v[16:17], v3
	s_wait_loadcnt_dscnt 0x0
	v_fma_f64 v[12:13], -v[10:11], v[16:17], v[12:13]
	scratch_store_b64 off, v[12:13], s17
	s_wait_xcnt 0x0
	s_add_co_i32 s17, s17, 8
	s_cmp_eq_u32 s41, 0
	s_cbranch_scc0 .LBB93_43
; %bb.44:                               ;   in Loop: Header=BB93_42 Depth=4
	s_add_co_i32 s16, s16, -1
	s_addk_co_i32 s22, 0xff40
	s_cmp_le_i32 s16, s14
	s_cbranch_scc0 .LBB93_42
.LBB93_45:                              ;   in Loop: Header=BB93_39 Depth=3
	s_mov_b32 s41, 0
	s_mov_b32 s42, s39
	s_branch .LBB93_47
.LBB93_46:                              ;   in Loop: Header=BB93_47 Depth=4
	s_wait_xcnt 0x1
	s_mulk_i32 s22, 0xc8
	s_add_co_i32 s42, s42, -8
	v_mov_b32_e32 v3, s22
	s_lshl_b32 s22, s41, 3
	s_add_co_i32 s41, s41, 1
	s_delay_alu instid0(SALU_CYCLE_1)
	s_cmp_eq_u32 s41, s25
	s_wait_xcnt 0x0
	ds_load_b64 v[12:13], v3
	s_wait_loadcnt_dscnt 0x0
	v_mul_f64_e32 v[10:11], v[12:13], v[10:11]
	v_lshl_add_u64 v[12:13], s[16:17], 3, v[6:7]
	scratch_store_b64 off, v[10:11], s22
	global_store_b64 v[12:13], v[10:11], off
	s_cbranch_scc1 .LBB93_38
.LBB93_47:                              ;   Parent Loop BB93_4 Depth=1
                                        ;     Parent Loop BB93_36 Depth=2
                                        ;       Parent Loop BB93_39 Depth=3
                                        ; =>      This Loop Header: Depth=4
                                        ;           Child Loop BB93_49 Depth 5
	s_cmp_lg_u32 s41, 0
	s_cbranch_scc0 .LBB93_51
; %bb.48:                               ;   in Loop: Header=BB93_47 Depth=4
	s_lshl_b32 s16, s41, 3
	s_mov_b32 s17, 0
	scratch_load_b64 v[10:11], off, s16
	s_mov_b32 s22, s42
	s_mov_b32 s23, s41
.LBB93_49:                              ;   Parent Loop BB93_4 Depth=1
                                        ;     Parent Loop BB93_36 Depth=2
                                        ;       Parent Loop BB93_39 Depth=3
                                        ;         Parent Loop BB93_47 Depth=4
                                        ; =>        This Inner Loop Header: Depth=5
	scratch_load_b64 v[12:13], off, s17
	v_mov_b32_e32 v3, s22
	s_add_co_i32 s23, s23, -1
	s_addk_co_i32 s22, 0xff40
	s_wait_xcnt 0x0
	s_add_co_i32 s17, s17, 8
	s_cmp_eq_u32 s23, 0
	ds_load_b64 v[16:17], v3
	s_wait_loadcnt_dscnt 0x0
	v_fma_f64 v[10:11], -v[12:13], v[16:17], v[10:11]
	scratch_store_b64 off, v[10:11], s16
	s_cbranch_scc0 .LBB93_49
; %bb.50:                               ;   in Loop: Header=BB93_47 Depth=4
	s_sub_co_i32 s22, s14, s41
	s_delay_alu instid0(SALU_CYCLE_1)
	s_ashr_i32 s23, s22, 31
	s_wait_xcnt 0x0
	s_mov_b64 s[16:17], s[22:23]
	s_branch .LBB93_46
.LBB93_51:                              ;   in Loop: Header=BB93_47 Depth=4
                                        ; implicit-def: $vgpr10_vgpr11
                                        ; implicit-def: $sgpr22
                                        ; implicit-def: $sgpr16_sgpr17
	s_cbranch_execz .LBB93_46
; %bb.52:                               ;   in Loop: Header=BB93_47 Depth=4
	scratch_load_b64 v[10:11], off, off
	s_mov_b64 s[16:17], s[14:15]
	s_mov_b32 s22, s14
	s_branch .LBB93_46
.LBB93_53:
	s_or_b32 exec_lo, exec_lo, s35
	s_and_saveexec_b32 s0, s36
	s_delay_alu instid0(SALU_CYCLE_1)
	s_xor_b32 s0, exec_lo, s0
.LBB93_54:
	s_endpgm
	.section	.rodata,"a",@progbits
	.p2align	6, 0x0
	.amdhsa_kernel _ZL30rocblas_trsm_small_left_deviceILi24ELi24ELb0EddPKdPdEv13rocblas_fill_18rocblas_operation_17rocblas_diagonal_iiT3_T4_lilT5_lili
		.amdhsa_group_segment_fixed_size 4608
		.amdhsa_private_segment_fixed_size 208
		.amdhsa_kernarg_size 360
		.amdhsa_user_sgpr_count 2
		.amdhsa_user_sgpr_dispatch_ptr 0
		.amdhsa_user_sgpr_queue_ptr 0
		.amdhsa_user_sgpr_kernarg_segment_ptr 1
		.amdhsa_user_sgpr_dispatch_id 0
		.amdhsa_user_sgpr_kernarg_preload_length 0
		.amdhsa_user_sgpr_kernarg_preload_offset 0
		.amdhsa_user_sgpr_private_segment_size 0
		.amdhsa_wavefront_size32 1
		.amdhsa_uses_dynamic_stack 0
		.amdhsa_enable_private_segment 1
		.amdhsa_system_sgpr_workgroup_id_x 1
		.amdhsa_system_sgpr_workgroup_id_y 0
		.amdhsa_system_sgpr_workgroup_id_z 1
		.amdhsa_system_sgpr_workgroup_info 0
		.amdhsa_system_vgpr_workitem_id 0
		.amdhsa_next_free_vgpr 20
		.amdhsa_next_free_sgpr 47
		.amdhsa_named_barrier_count 0
		.amdhsa_reserve_vcc 1
		.amdhsa_float_round_mode_32 0
		.amdhsa_float_round_mode_16_64 0
		.amdhsa_float_denorm_mode_32 3
		.amdhsa_float_denorm_mode_16_64 3
		.amdhsa_fp16_overflow 0
		.amdhsa_memory_ordered 1
		.amdhsa_forward_progress 1
		.amdhsa_inst_pref_size 16
		.amdhsa_round_robin_scheduling 0
		.amdhsa_exception_fp_ieee_invalid_op 0
		.amdhsa_exception_fp_denorm_src 0
		.amdhsa_exception_fp_ieee_div_zero 0
		.amdhsa_exception_fp_ieee_overflow 0
		.amdhsa_exception_fp_ieee_underflow 0
		.amdhsa_exception_fp_ieee_inexact 0
		.amdhsa_exception_int_div_zero 0
	.end_amdhsa_kernel
	.section	.text._ZL30rocblas_trsm_small_left_deviceILi24ELi24ELb0EddPKdPdEv13rocblas_fill_18rocblas_operation_17rocblas_diagonal_iiT3_T4_lilT5_lili,"axG",@progbits,_ZL30rocblas_trsm_small_left_deviceILi24ELi24ELb0EddPKdPdEv13rocblas_fill_18rocblas_operation_17rocblas_diagonal_iiT3_T4_lilT5_lili,comdat
.Lfunc_end93:
	.size	_ZL30rocblas_trsm_small_left_deviceILi24ELi24ELb0EddPKdPdEv13rocblas_fill_18rocblas_operation_17rocblas_diagonal_iiT3_T4_lilT5_lili, .Lfunc_end93-_ZL30rocblas_trsm_small_left_deviceILi24ELi24ELb0EddPKdPdEv13rocblas_fill_18rocblas_operation_17rocblas_diagonal_iiT3_T4_lilT5_lili
                                        ; -- End function
	.set _ZL30rocblas_trsm_small_left_deviceILi24ELi24ELb0EddPKdPdEv13rocblas_fill_18rocblas_operation_17rocblas_diagonal_iiT3_T4_lilT5_lili.num_vgpr, 20
	.set _ZL30rocblas_trsm_small_left_deviceILi24ELi24ELb0EddPKdPdEv13rocblas_fill_18rocblas_operation_17rocblas_diagonal_iiT3_T4_lilT5_lili.num_agpr, 0
	.set _ZL30rocblas_trsm_small_left_deviceILi24ELi24ELb0EddPKdPdEv13rocblas_fill_18rocblas_operation_17rocblas_diagonal_iiT3_T4_lilT5_lili.numbered_sgpr, 47
	.set _ZL30rocblas_trsm_small_left_deviceILi24ELi24ELb0EddPKdPdEv13rocblas_fill_18rocblas_operation_17rocblas_diagonal_iiT3_T4_lilT5_lili.num_named_barrier, 0
	.set _ZL30rocblas_trsm_small_left_deviceILi24ELi24ELb0EddPKdPdEv13rocblas_fill_18rocblas_operation_17rocblas_diagonal_iiT3_T4_lilT5_lili.private_seg_size, 208
	.set _ZL30rocblas_trsm_small_left_deviceILi24ELi24ELb0EddPKdPdEv13rocblas_fill_18rocblas_operation_17rocblas_diagonal_iiT3_T4_lilT5_lili.uses_vcc, 1
	.set _ZL30rocblas_trsm_small_left_deviceILi24ELi24ELb0EddPKdPdEv13rocblas_fill_18rocblas_operation_17rocblas_diagonal_iiT3_T4_lilT5_lili.uses_flat_scratch, 0
	.set _ZL30rocblas_trsm_small_left_deviceILi24ELi24ELb0EddPKdPdEv13rocblas_fill_18rocblas_operation_17rocblas_diagonal_iiT3_T4_lilT5_lili.has_dyn_sized_stack, 0
	.set _ZL30rocblas_trsm_small_left_deviceILi24ELi24ELb0EddPKdPdEv13rocblas_fill_18rocblas_operation_17rocblas_diagonal_iiT3_T4_lilT5_lili.has_recursion, 0
	.set _ZL30rocblas_trsm_small_left_deviceILi24ELi24ELb0EddPKdPdEv13rocblas_fill_18rocblas_operation_17rocblas_diagonal_iiT3_T4_lilT5_lili.has_indirect_call, 0
	.section	.AMDGPU.csdata,"",@progbits
; Kernel info:
; codeLenInByte = 2028
; TotalNumSgprs: 49
; NumVgprs: 20
; ScratchSize: 208
; MemoryBound: 0
; FloatMode: 240
; IeeeMode: 1
; LDSByteSize: 4608 bytes/workgroup (compile time only)
; SGPRBlocks: 0
; VGPRBlocks: 1
; NumSGPRsForWavesPerEU: 49
; NumVGPRsForWavesPerEU: 20
; NamedBarCnt: 0
; Occupancy: 16
; WaveLimiterHint : 0
; COMPUTE_PGM_RSRC2:SCRATCH_EN: 1
; COMPUTE_PGM_RSRC2:USER_SGPR: 2
; COMPUTE_PGM_RSRC2:TRAP_HANDLER: 0
; COMPUTE_PGM_RSRC2:TGID_X_EN: 1
; COMPUTE_PGM_RSRC2:TGID_Y_EN: 0
; COMPUTE_PGM_RSRC2:TGID_Z_EN: 1
; COMPUTE_PGM_RSRC2:TIDIG_COMP_CNT: 0
	.section	.text._ZL38rocblas_trsm_small_left_device_sharedBILi24ELi24ELb1EddPKdPdEv13rocblas_fill_18rocblas_operation_17rocblas_diagonal_iiT3_T4_lilT5_lili,"axG",@progbits,_ZL38rocblas_trsm_small_left_device_sharedBILi24ELi24ELb1EddPKdPdEv13rocblas_fill_18rocblas_operation_17rocblas_diagonal_iiT3_T4_lilT5_lili,comdat
	.globl	_ZL38rocblas_trsm_small_left_device_sharedBILi24ELi24ELb1EddPKdPdEv13rocblas_fill_18rocblas_operation_17rocblas_diagonal_iiT3_T4_lilT5_lili ; -- Begin function _ZL38rocblas_trsm_small_left_device_sharedBILi24ELi24ELb1EddPKdPdEv13rocblas_fill_18rocblas_operation_17rocblas_diagonal_iiT3_T4_lilT5_lili
	.p2align	8
	.type	_ZL38rocblas_trsm_small_left_device_sharedBILi24ELi24ELb1EddPKdPdEv13rocblas_fill_18rocblas_operation_17rocblas_diagonal_iiT3_T4_lilT5_lili,@function
_ZL38rocblas_trsm_small_left_device_sharedBILi24ELi24ELb1EddPKdPdEv13rocblas_fill_18rocblas_operation_17rocblas_diagonal_iiT3_T4_lilT5_lili: ; @_ZL38rocblas_trsm_small_left_device_sharedBILi24ELi24ELb1EddPKdPdEv13rocblas_fill_18rocblas_operation_17rocblas_diagonal_iiT3_T4_lilT5_lili
; %bb.0:
	s_load_b32 s19, s[0:1], 0x60
	s_bfe_u32 s2, ttmp6, 0x40014
	s_lshr_b32 s3, ttmp7, 16
	s_add_co_i32 s2, s2, 1
	s_bfe_u32 s5, ttmp6, 0x40008
	s_mul_i32 s4, s3, s2
	s_getreg_b32 s2, hwreg(HW_REG_IB_STS2, 6, 4)
	s_add_co_i32 s5, s5, s4
	s_cmp_eq_u32 s2, 0
	s_cselect_b32 s23, s3, s5
	s_wait_kmcnt 0x0
	s_cmp_ge_u32 s23, s19
	s_cbranch_scc1 .LBB94_57
; %bb.1:
	s_clause 0x4
	s_load_b96 s[16:18], s[0:1], 0x28
	s_load_b96 s[20:22], s[0:1], 0x48
	s_load_b128 s[12:15], s[0:1], 0x4
	s_load_b32 s3, s[0:1], 0x68
	s_load_b64 s[26:27], s[0:1], 0x58
	s_bfe_u32 s8, ttmp6, 0x4000c
	s_load_b128 s[4:7], s[0:1], 0x18
	s_add_co_i32 s8, s8, 1
	s_and_b32 s24, ttmp6, 15
	s_mul_i32 s25, ttmp9, s8
	s_load_b128 s[8:11], s[0:1], 0x38
	s_wait_xcnt 0x0
	s_add_co_i32 s0, s24, s25
	v_dual_mov_b32 v3, 0 :: v_dual_lshlrev_b32 v2, 3, v0
	s_delay_alu instid0(VALU_DEP_1)
	v_or_b32_e32 v10, 0x1200, v2
	s_wait_kmcnt 0x0
	s_ashr_i32 s29, s18, 31
	s_ashr_i32 s25, s22, 31
	s_min_i32 s1, s14, 24
	s_add_co_i32 s3, s3, -1
	s_add_co_i32 s24, s1, -1
	s_cmp_eq_u32 s2, 0
	s_mov_b32 s28, s18
	s_cselect_b32 s0, ttmp9, s0
	s_delay_alu instid0(SALU_CYCLE_1) | instskip(NEXT) | instid1(SALU_CYCLE_1)
	s_mul_i32 s2, s0, 0xffffffe8
	s_add_co_i32 s15, s15, s2
	s_cmp_ge_u32 s0, s3
	s_mul_i32 s2, s0, 24
	s_cselect_b32 s0, s15, 24
	s_ashr_i32 s3, s2, 31
	s_cmp_lg_u32 s13, 0x84
	v_lshl_add_u64 v[6:7], s[2:3], 3, v[2:3]
	s_cselect_b32 s13, -1, 0
	s_cmp_gt_i32 s14, 0
	v_cmp_gt_i32_e32 vcc_lo, s0, v0
	s_cselect_b32 s14, -1, 0
	s_cmp_lg_u32 s12, 0x6f
	v_cmp_gt_i32_e64 s0, s1, v0
	s_cselect_b32 s12, -1, 0
	s_lshl_b64 s[2:3], s[20:21], 3
	s_lshl_b32 s15, s1, 3
	s_add_nc_u64 s[2:3], s[10:11], s[2:3]
	s_and_b32 s14, vcc_lo, s14
	v_mad_nc_u64_u32 v[4:5], v6, s22, s[2:3]
	s_lshl_b64 s[2:3], s[16:17], 3
	s_lshl_b64 s[10:11], s[26:27], 3
	s_add_nc_u64 s[2:3], s[6:7], s[2:3]
	s_lshl_b64 s[6:7], s[28:29], 3
	s_add_co_i32 s15, s15, -8
	s_delay_alu instid0(VALU_DEP_1) | instskip(SKIP_1) | instid1(VALU_DEP_2)
	v_mad_u32 v1, v7, s22, v5
	v_mul_u32_u24_e32 v7, 0xc0, v0
	v_mad_u32 v5, v6, s25, v1
	v_add_nc_u64_e32 v[0:1], s[2:3], v[2:3]
	s_delay_alu instid0(VALU_DEP_3)
	v_add_nc_u32_e32 v3, v2, v7
	s_lshl_b64 s[2:3], s[8:9], 3
	s_get_pc_i64 s[8:9]
	s_add_nc_u64 s[8:9], s[8:9], __const._ZL38rocblas_trsm_small_left_device_sharedBILi24ELi24ELb1EddPKdPdEv13rocblas_fill_18rocblas_operation_17rocblas_diagonal_iiT3_T4_lilT5_lili.step_sizes@rel64+4
	s_branch .LBB94_3
.LBB94_2:                               ;   in Loop: Header=BB94_3 Depth=1
	s_or_b32 exec_lo, exec_lo, s16
	s_add_co_i32 s23, s23, 0x10000
	s_delay_alu instid0(SALU_CYCLE_1)
	s_cmp_lt_u32 s23, s19
	s_cbranch_scc0 .LBB94_57
.LBB94_3:                               ; =>This Loop Header: Depth=1
                                        ;     Child Loop BB94_5 Depth 2
                                        ;     Child Loop BB94_11 Depth 2
	;; [unrolled: 1-line block ×3, first 2 shown]
                                        ;       Child Loop BB94_18 Depth 3
                                        ;         Child Loop BB94_19 Depth 4
                                        ;         Child Loop BB94_21 Depth 4
                                        ;           Child Loop BB94_22 Depth 5
                                        ;         Child Loop BB94_26 Depth 4
                                        ;           Child Loop BB94_28 Depth 5
                                        ;     Child Loop BB94_36 Depth 2
                                        ;       Child Loop BB94_39 Depth 3
                                        ;         Child Loop BB94_40 Depth 4
                                        ;         Child Loop BB94_43 Depth 4
                                        ;           Child Loop BB94_44 Depth 5
                                        ;         Child Loop BB94_48 Depth 4
                                        ;           Child Loop BB94_50 Depth 5
                                        ;     Child Loop BB94_56 Depth 2
	s_and_saveexec_b32 s16, s0
	s_cbranch_execz .LBB94_9
; %bb.4:                                ;   in Loop: Header=BB94_3 Depth=1
	v_mad_nc_u64_u32 v[6:7], s2, s23, v[0:1]
	v_mov_b32_e32 v8, v2
	s_mov_b32 s17, s1
	s_delay_alu instid0(VALU_DEP_2)
	v_mad_u32 v7, s3, s23, v7
.LBB94_5:                               ;   Parent Loop BB94_3 Depth=1
                                        ; =>  This Inner Loop Header: Depth=2
	global_load_b64 v[12:13], v[6:7], off
	s_wait_xcnt 0x0
	v_add_nc_u64_e32 v[6:7], s[6:7], v[6:7]
	s_add_co_i32 s17, s17, -1
	s_delay_alu instid0(SALU_CYCLE_1)
	s_cmp_eq_u32 s17, 0
	s_wait_loadcnt 0x0
	ds_store_b64 v8, v[12:13]
	v_add_nc_u32_e32 v8, 0xc0, v8
	s_cbranch_scc0 .LBB94_5
; %bb.6:                                ;   in Loop: Header=BB94_3 Depth=1
	v_mov_b64_e32 v[6:7], 1.0
	s_and_b32 vcc_lo, exec_lo, s13
	s_cbranch_vccz .LBB94_8
; %bb.7:                                ;   in Loop: Header=BB94_3 Depth=1
	ds_load_b64 v[6:7], v3
	s_wait_dscnt 0x0
	v_div_scale_f64 v[8:9], null, v[6:7], v[6:7], 1.0
	s_delay_alu instid0(VALU_DEP_1) | instskip(SKIP_1) | instid1(TRANS32_DEP_1)
	v_rcp_f64_e32 v[12:13], v[8:9]
	v_nop
	v_fma_f64 v[14:15], -v[8:9], v[12:13], 1.0
	s_delay_alu instid0(VALU_DEP_1) | instskip(NEXT) | instid1(VALU_DEP_1)
	v_fmac_f64_e32 v[12:13], v[12:13], v[14:15]
	v_fma_f64 v[14:15], -v[8:9], v[12:13], 1.0
	s_delay_alu instid0(VALU_DEP_1) | instskip(SKIP_1) | instid1(VALU_DEP_1)
	v_fmac_f64_e32 v[12:13], v[12:13], v[14:15]
	v_div_scale_f64 v[14:15], vcc_lo, 1.0, v[6:7], 1.0
	v_mul_f64_e32 v[16:17], v[14:15], v[12:13]
	s_delay_alu instid0(VALU_DEP_1) | instskip(NEXT) | instid1(VALU_DEP_1)
	v_fma_f64 v[8:9], -v[8:9], v[16:17], v[14:15]
	v_div_fmas_f64 v[8:9], v[8:9], v[12:13], v[16:17]
	s_delay_alu instid0(VALU_DEP_1)
	v_div_fixup_f64 v[6:7], v[8:9], v[6:7], 1.0
.LBB94_8:                               ;   in Loop: Header=BB94_3 Depth=1
	ds_store_b64 v3, v[6:7]
.LBB94_9:                               ;   in Loop: Header=BB94_3 Depth=1
	s_or_b32 exec_lo, exec_lo, s16
	s_delay_alu instid0(VALU_DEP_3) | instskip(NEXT) | instid1(VALU_DEP_1)
	v_mad_nc_u64_u32 v[6:7], s10, s23, v[4:5]
	v_mad_u32 v7, s11, s23, v7
	s_and_saveexec_b32 s16, s14
	s_cbranch_execz .LBB94_12
; %bb.10:                               ;   in Loop: Header=BB94_3 Depth=1
	s_delay_alu instid0(VALU_DEP_1)
	v_mov_b64_e32 v[8:9], v[6:7]
	v_mov_b32_e32 v11, v10
	s_mov_b32 s17, s1
.LBB94_11:                              ;   Parent Loop BB94_3 Depth=1
                                        ; =>  This Inner Loop Header: Depth=2
	global_load_b64 v[12:13], v[8:9], off
	s_wait_xcnt 0x0
	v_add_nc_u64_e32 v[8:9], 8, v[8:9]
	s_add_co_i32 s17, s17, -1
	s_delay_alu instid0(SALU_CYCLE_1)
	s_cmp_lg_u32 s17, 0
	s_wait_loadcnt 0x0
	v_mul_f64_e32 v[12:13], s[4:5], v[12:13]
	ds_store_b64 v11, v[12:13]
	v_add_nc_u32_e32 v11, 0xc0, v11
	s_cbranch_scc1 .LBB94_11
.LBB94_12:                              ;   in Loop: Header=BB94_3 Depth=1
	s_or_b32 exec_lo, exec_lo, s16
	s_delay_alu instid0(SALU_CYCLE_1)
	s_and_not1_b32 vcc_lo, exec_lo, s12
	s_mov_b32 s16, -1
	s_wait_dscnt 0x0
	; wave barrier
	s_cbranch_vccnz .LBB94_33
; %bb.13:                               ;   in Loop: Header=BB94_3 Depth=1
	s_mov_b32 s17, 0
	s_mov_b32 s16, s24
	s_branch .LBB94_15
.LBB94_14:                              ;   in Loop: Header=BB94_15 Depth=2
	s_cmp_gt_i32 s16, -1
	s_cselect_b32 s18, -1, 0
	s_add_co_i32 s20, s17, 1
	s_cmp_lt_u32 s17, 2
	s_wait_xcnt 0x0
	s_cselect_b32 s17, -1, 0
	s_delay_alu instid0(SALU_CYCLE_1) | instskip(NEXT) | instid1(SALU_CYCLE_1)
	s_and_b32 s17, s18, s17
	s_and_b32 vcc_lo, exec_lo, s17
	s_mov_b32 s17, s20
	s_cbranch_vccz .LBB94_32
.LBB94_15:                              ;   Parent Loop BB94_3 Depth=1
                                        ; =>  This Loop Header: Depth=2
                                        ;       Child Loop BB94_18 Depth 3
                                        ;         Child Loop BB94_19 Depth 4
                                        ;         Child Loop BB94_21 Depth 4
                                        ;           Child Loop BB94_22 Depth 5
                                        ;         Child Loop BB94_26 Depth 4
                                        ;           Child Loop BB94_28 Depth 5
	s_load_b32 s18, s[8:9], s17 offset:0x0 scale_offset
	s_wait_kmcnt 0x0
	s_add_co_i32 s20, s18, -1
	s_delay_alu instid0(SALU_CYCLE_1)
	s_cmp_lt_i32 s16, s20
	s_cbranch_scc1 .LBB94_14
; %bb.16:                               ;   in Loop: Header=BB94_15 Depth=2
	s_mul_i32 s25, s16, 0xc0
	s_max_i32 s21, s18, 1
	v_add_nc_u32_e32 v11, s25, v10
	s_mul_i32 s22, s18, 0xffffff40
	s_add_co_i32 s25, s15, s25
	s_mul_i32 s26, s16, 0xc8
	s_mul_i32 s27, s18, 0xffffff38
	s_branch .LBB94_18
.LBB94_17:                              ;   in Loop: Header=BB94_18 Depth=3
	v_add_nc_u32_e32 v11, s22, v11
	s_sub_co_i32 s16, s16, s18
	s_add_co_i32 s25, s25, s22
	s_add_co_i32 s26, s26, s27
	s_cmp_lt_i32 s16, s20
	s_cbranch_scc1 .LBB94_14
.LBB94_18:                              ;   Parent Loop BB94_3 Depth=1
                                        ;     Parent Loop BB94_15 Depth=2
                                        ; =>    This Loop Header: Depth=3
                                        ;         Child Loop BB94_19 Depth 4
                                        ;         Child Loop BB94_21 Depth 4
                                        ;           Child Loop BB94_22 Depth 5
                                        ;         Child Loop BB94_26 Depth 4
                                        ;           Child Loop BB94_28 Depth 5
	s_wait_xcnt 0x0
	v_mov_b32_e32 v8, v11
	s_mov_b32 s28, 0
	s_mov_b32 s29, s21
.LBB94_19:                              ;   Parent Loop BB94_3 Depth=1
                                        ;     Parent Loop BB94_15 Depth=2
                                        ;       Parent Loop BB94_18 Depth=3
                                        ; =>      This Inner Loop Header: Depth=4
	ds_load_b64 v[12:13], v8
	v_add_nc_u32_e32 v8, 0xffffff40, v8
	s_add_co_i32 s29, s29, -1
	s_wait_dscnt 0x0
	scratch_store_b64 off, v[12:13], s28
	s_wait_xcnt 0x0
	s_add_co_i32 s28, s28, 8
	s_cmp_eq_u32 s29, 0
	s_cbranch_scc0 .LBB94_19
; %bb.20:                               ;   in Loop: Header=BB94_18 Depth=3
	s_cmp_le_i32 s24, s16
	s_mov_b32 s28, s25
	s_mov_b32 s29, s24
	s_cbranch_scc1 .LBB94_24
.LBB94_21:                              ;   Parent Loop BB94_3 Depth=1
                                        ;     Parent Loop BB94_15 Depth=2
                                        ;       Parent Loop BB94_18 Depth=3
                                        ; =>      This Loop Header: Depth=4
                                        ;           Child Loop BB94_22 Depth 5
	v_mad_u32 v8, 0xc0, s29, v10
	s_mov_b32 s30, 0
	s_mov_b32 s31, s28
	;; [unrolled: 1-line block ×3, first 2 shown]
	ds_load_b64 v[8:9], v8
.LBB94_22:                              ;   Parent Loop BB94_3 Depth=1
                                        ;     Parent Loop BB94_15 Depth=2
                                        ;       Parent Loop BB94_18 Depth=3
                                        ;         Parent Loop BB94_21 Depth=4
                                        ; =>        This Inner Loop Header: Depth=5
	scratch_load_b64 v[12:13], off, s30
	v_mov_b32_e32 v14, s31
	s_add_co_i32 s33, s33, -1
	s_addk_co_i32 s31, 0xff40
	ds_load_b64 v[14:15], v14
	s_wait_loadcnt_dscnt 0x0
	v_fma_f64 v[12:13], -v[8:9], v[14:15], v[12:13]
	scratch_store_b64 off, v[12:13], s30
	s_wait_xcnt 0x0
	s_add_co_i32 s30, s30, 8
	s_cmp_eq_u32 s33, 0
	s_cbranch_scc0 .LBB94_22
; %bb.23:                               ;   in Loop: Header=BB94_21 Depth=4
	s_add_co_i32 s29, s29, -1
	s_add_co_i32 s28, s28, -8
	s_cmp_le_i32 s29, s16
	s_cbranch_scc0 .LBB94_21
.LBB94_24:                              ;   in Loop: Header=BB94_18 Depth=3
	s_mul_i32 s28, s16, 0xc0
	s_mov_b32 s29, 0
	s_mov_b32 s30, s26
	s_branch .LBB94_26
.LBB94_25:                              ;   in Loop: Header=BB94_26 Depth=4
	s_wait_xcnt 0x0
	s_mulk_i32 s33, 0xc8
	s_addk_co_i32 s30, 0xff40
	v_mov_b32_e32 v12, s33
	s_lshl_b32 s33, s29, 3
	s_add_co_i32 s29, s29, 1
	s_delay_alu instid0(SALU_CYCLE_1)
	s_cmp_eq_u32 s29, s21
	ds_load_b64 v[12:13], v12
	s_wait_loadcnt_dscnt 0x0
	v_dual_mul_f64 v[8:9], v[12:13], v[8:9] :: v_dual_add_nc_u32 v12, s31, v10
	scratch_store_b64 off, v[8:9], s33
	ds_store_b64 v12, v[8:9]
	s_cbranch_scc1 .LBB94_17
.LBB94_26:                              ;   Parent Loop BB94_3 Depth=1
                                        ;     Parent Loop BB94_15 Depth=2
                                        ;       Parent Loop BB94_18 Depth=3
                                        ; =>      This Loop Header: Depth=4
                                        ;           Child Loop BB94_28 Depth 5
	s_cmp_lg_u32 s29, 0
	s_cbranch_scc0 .LBB94_30
; %bb.27:                               ;   in Loop: Header=BB94_26 Depth=4
	s_lshl_b32 s34, s29, 3
	s_wait_xcnt 0x0
	s_sub_co_i32 s33, s16, s29
	scratch_load_b64 v[8:9], off, s34
	s_mul_i32 s31, s33, 0xc0
	s_mov_b32 s35, 0
	s_mov_b32 s36, s30
	;; [unrolled: 1-line block ×3, first 2 shown]
.LBB94_28:                              ;   Parent Loop BB94_3 Depth=1
                                        ;     Parent Loop BB94_15 Depth=2
                                        ;       Parent Loop BB94_18 Depth=3
                                        ;         Parent Loop BB94_26 Depth=4
                                        ; =>        This Inner Loop Header: Depth=5
	scratch_load_b64 v[12:13], off, s35
	v_mov_b32_e32 v14, s36
	s_add_co_i32 s37, s37, -1
	s_add_co_i32 s36, s36, -8
	s_wait_xcnt 0x0
	s_add_co_i32 s35, s35, 8
	s_cmp_eq_u32 s37, 0
	ds_load_b64 v[14:15], v14
	s_wait_loadcnt_dscnt 0x0
	v_fma_f64 v[8:9], -v[12:13], v[14:15], v[8:9]
	scratch_store_b64 off, v[8:9], s34
	s_cbranch_scc0 .LBB94_28
; %bb.29:                               ;   in Loop: Header=BB94_26 Depth=4
	s_wait_xcnt 0x0
	s_branch .LBB94_25
.LBB94_30:                              ;   in Loop: Header=BB94_26 Depth=4
                                        ; implicit-def: $vgpr8_vgpr9
                                        ; implicit-def: $sgpr33
                                        ; implicit-def: $sgpr31
	s_cbranch_execz .LBB94_25
; %bb.31:                               ;   in Loop: Header=BB94_26 Depth=4
	scratch_load_b64 v[8:9], off, off
	s_mov_b32 s31, s28
	s_mov_b32 s33, s16
	s_branch .LBB94_25
.LBB94_32:                              ;   in Loop: Header=BB94_3 Depth=1
	s_mov_b32 s16, 0
.LBB94_33:                              ;   in Loop: Header=BB94_3 Depth=1
	s_delay_alu instid0(SALU_CYCLE_1)
	s_and_b32 vcc_lo, exec_lo, s16
	s_cbranch_vccz .LBB94_54
; %bb.34:                               ;   in Loop: Header=BB94_3 Depth=1
	s_mov_b32 s16, 0
	s_mov_b32 s17, 0
	s_branch .LBB94_36
.LBB94_35:                              ;   in Loop: Header=BB94_36 Depth=2
	s_cmp_lt_i32 s16, s1
	s_cselect_b32 s18, -1, 0
	s_add_co_i32 s20, s17, 1
	s_cmp_lt_u32 s17, 2
	s_wait_xcnt 0x0
	s_cselect_b32 s17, -1, 0
	s_delay_alu instid0(SALU_CYCLE_1) | instskip(NEXT) | instid1(SALU_CYCLE_1)
	s_and_b32 s17, s18, s17
	s_and_not1_b32 vcc_lo, exec_lo, s17
	s_mov_b32 s17, s20
	s_cbranch_vccnz .LBB94_54
.LBB94_36:                              ;   Parent Loop BB94_3 Depth=1
                                        ; =>  This Loop Header: Depth=2
                                        ;       Child Loop BB94_39 Depth 3
                                        ;         Child Loop BB94_40 Depth 4
                                        ;         Child Loop BB94_43 Depth 4
                                        ;           Child Loop BB94_44 Depth 5
                                        ;         Child Loop BB94_48 Depth 4
                                        ;           Child Loop BB94_50 Depth 5
	s_load_b32 s18, s[8:9], s17 offset:0x0 scale_offset
	s_wait_kmcnt 0x0
	s_add_co_i32 s20, s18, -1
	s_delay_alu instid0(SALU_CYCLE_1) | instskip(NEXT) | instid1(SALU_CYCLE_1)
	s_add_co_i32 s21, s20, s16
	s_cmp_ge_i32 s21, s1
	s_cbranch_scc1 .LBB94_35
; %bb.37:                               ;   in Loop: Header=BB94_36 Depth=2
	v_mad_u32 v11, 0xc0, s16, v10
	s_max_i32 s21, s18, 1
	s_mul_i32 s22, s18, 0xc0
	s_lshl_b32 s25, s16, 3
	s_lshl_b32 s26, s18, 3
	s_mul_i32 s27, s16, 0xc8
	s_mul_i32 s28, s18, 0xc8
	s_branch .LBB94_39
.LBB94_38:                              ;   in Loop: Header=BB94_39 Depth=3
	s_add_co_i32 s16, s16, s18
	v_add_nc_u32_e32 v11, s22, v11
	s_add_co_i32 s29, s20, s16
	s_add_co_i32 s25, s25, s26
	;; [unrolled: 1-line block ×3, first 2 shown]
	s_cmp_ge_i32 s29, s1
	s_cbranch_scc1 .LBB94_35
.LBB94_39:                              ;   Parent Loop BB94_3 Depth=1
                                        ;     Parent Loop BB94_36 Depth=2
                                        ; =>    This Loop Header: Depth=3
                                        ;         Child Loop BB94_40 Depth 4
                                        ;         Child Loop BB94_43 Depth 4
                                        ;           Child Loop BB94_44 Depth 5
                                        ;         Child Loop BB94_48 Depth 4
                                        ;           Child Loop BB94_50 Depth 5
	s_wait_xcnt 0x0
	s_delay_alu instid0(VALU_DEP_1)
	v_mov_b32_e32 v8, v11
	s_mov_b32 s29, 0
	s_mov_b32 s30, s21
.LBB94_40:                              ;   Parent Loop BB94_3 Depth=1
                                        ;     Parent Loop BB94_36 Depth=2
                                        ;       Parent Loop BB94_39 Depth=3
                                        ; =>      This Inner Loop Header: Depth=4
	ds_load_b64 v[12:13], v8
	v_add_nc_u32_e32 v8, 0xc0, v8
	s_add_co_i32 s30, s30, -1
	s_wait_dscnt 0x0
	scratch_store_b64 off, v[12:13], s29
	s_wait_xcnt 0x0
	s_add_co_i32 s29, s29, 8
	s_cmp_eq_u32 s30, 0
	s_cbranch_scc0 .LBB94_40
; %bb.41:                               ;   in Loop: Header=BB94_39 Depth=3
	s_cmp_lt_i32 s16, 1
	s_cbranch_scc1 .LBB94_46
; %bb.42:                               ;   in Loop: Header=BB94_39 Depth=3
	s_mov_b32 s29, 0
	s_mov_b32 s30, s25
.LBB94_43:                              ;   Parent Loop BB94_3 Depth=1
                                        ;     Parent Loop BB94_36 Depth=2
                                        ;       Parent Loop BB94_39 Depth=3
                                        ; =>      This Loop Header: Depth=4
                                        ;           Child Loop BB94_44 Depth 5
	v_mad_u32 v8, 0xc0, s29, v10
	s_mov_b32 s31, 0
	s_mov_b32 s33, s30
	;; [unrolled: 1-line block ×3, first 2 shown]
	ds_load_b64 v[8:9], v8
.LBB94_44:                              ;   Parent Loop BB94_3 Depth=1
                                        ;     Parent Loop BB94_36 Depth=2
                                        ;       Parent Loop BB94_39 Depth=3
                                        ;         Parent Loop BB94_43 Depth=4
                                        ; =>        This Inner Loop Header: Depth=5
	scratch_load_b64 v[12:13], off, s31
	v_mov_b32_e32 v14, s33
	s_add_co_i32 s34, s34, -1
	s_add_co_i32 s33, s33, 8
	ds_load_b64 v[14:15], v14
	s_wait_loadcnt_dscnt 0x0
	v_fma_f64 v[12:13], -v[8:9], v[14:15], v[12:13]
	scratch_store_b64 off, v[12:13], s31
	s_wait_xcnt 0x0
	s_add_co_i32 s31, s31, 8
	s_cmp_eq_u32 s34, 0
	s_cbranch_scc0 .LBB94_44
; %bb.45:                               ;   in Loop: Header=BB94_43 Depth=4
	s_add_co_i32 s29, s29, 1
	s_addk_co_i32 s30, 0xc0
	s_cmp_eq_u32 s29, s16
	s_cbranch_scc0 .LBB94_43
.LBB94_46:                              ;   in Loop: Header=BB94_39 Depth=3
	s_mov_b32 s29, 0
	s_mov_b32 s30, s27
	s_branch .LBB94_48
.LBB94_47:                              ;   in Loop: Header=BB94_48 Depth=4
	s_add_co_i32 s31, s29, s16
	s_add_co_i32 s30, s30, 8
	s_mul_i32 s33, s31, 0xc8
	s_delay_alu instid0(SALU_CYCLE_1)
	v_mov_b32_e32 v12, s33
	ds_load_b64 v[12:13], v12
	s_wait_loadcnt_dscnt 0x0
	v_mul_f64_e32 v[8:9], v[12:13], v[8:9]
	v_mad_u32 v12, 0xc0, s31, v10
	s_lshl_b32 s31, s29, 3
	s_add_co_i32 s29, s29, 1
	s_delay_alu instid0(SALU_CYCLE_1)
	s_cmp_eq_u32 s29, s21
	scratch_store_b64 off, v[8:9], s31
	ds_store_b64 v12, v[8:9]
	s_cbranch_scc1 .LBB94_38
.LBB94_48:                              ;   Parent Loop BB94_3 Depth=1
                                        ;     Parent Loop BB94_36 Depth=2
                                        ;       Parent Loop BB94_39 Depth=3
                                        ; =>      This Loop Header: Depth=4
                                        ;           Child Loop BB94_50 Depth 5
	s_cmp_lg_u32 s29, 0
	s_cbranch_scc0 .LBB94_52
; %bb.49:                               ;   in Loop: Header=BB94_48 Depth=4
	s_wait_xcnt 0x0
	s_lshl_b32 s31, s29, 3
	s_mov_b32 s33, 0
	scratch_load_b64 v[8:9], off, s31
	s_mov_b32 s34, s30
	s_mov_b32 s35, s29
.LBB94_50:                              ;   Parent Loop BB94_3 Depth=1
                                        ;     Parent Loop BB94_36 Depth=2
                                        ;       Parent Loop BB94_39 Depth=3
                                        ;         Parent Loop BB94_48 Depth=4
                                        ; =>        This Inner Loop Header: Depth=5
	scratch_load_b64 v[12:13], off, s33
	v_mov_b32_e32 v14, s34
	s_add_co_i32 s35, s35, -1
	s_addk_co_i32 s34, 0xc0
	s_wait_xcnt 0x0
	s_add_co_i32 s33, s33, 8
	s_cmp_eq_u32 s35, 0
	ds_load_b64 v[14:15], v14
	s_wait_loadcnt_dscnt 0x0
	v_fma_f64 v[8:9], -v[12:13], v[14:15], v[8:9]
	scratch_store_b64 off, v[8:9], s31
	s_cbranch_scc0 .LBB94_50
; %bb.51:                               ;   in Loop: Header=BB94_48 Depth=4
	s_wait_xcnt 0x0
	s_branch .LBB94_47
.LBB94_52:                              ;   in Loop: Header=BB94_48 Depth=4
	s_wait_xcnt 0x0
                                        ; implicit-def: $vgpr8_vgpr9
	s_cbranch_execz .LBB94_47
; %bb.53:                               ;   in Loop: Header=BB94_48 Depth=4
	scratch_load_b64 v[8:9], off, off
	s_branch .LBB94_47
.LBB94_54:                              ;   in Loop: Header=BB94_3 Depth=1
	; wave barrier
	s_wait_storecnt_dscnt 0x0
	s_wait_xcnt 0x0
	s_and_saveexec_b32 s16, s14
	s_cbranch_execz .LBB94_2
; %bb.55:                               ;   in Loop: Header=BB94_3 Depth=1
	v_mov_b32_e32 v8, v10
	s_mov_b32 s17, s1
.LBB94_56:                              ;   Parent Loop BB94_3 Depth=1
                                        ; =>  This Inner Loop Header: Depth=2
	ds_load_b64 v[12:13], v8
	v_add_nc_u32_e32 v8, 0xc0, v8
	s_add_co_i32 s17, s17, -1
	s_delay_alu instid0(SALU_CYCLE_1)
	s_cmp_lg_u32 s17, 0
	s_wait_dscnt 0x0
	global_store_b64 v[6:7], v[12:13], off
	s_wait_xcnt 0x0
	v_add_nc_u64_e32 v[6:7], 8, v[6:7]
	s_cbranch_scc1 .LBB94_56
	s_branch .LBB94_2
.LBB94_57:
	s_endpgm
	.section	.rodata,"a",@progbits
	.p2align	6, 0x0
	.amdhsa_kernel _ZL38rocblas_trsm_small_left_device_sharedBILi24ELi24ELb1EddPKdPdEv13rocblas_fill_18rocblas_operation_17rocblas_diagonal_iiT3_T4_lilT5_lili
		.amdhsa_group_segment_fixed_size 9216
		.amdhsa_private_segment_fixed_size 208
		.amdhsa_kernarg_size 360
		.amdhsa_user_sgpr_count 2
		.amdhsa_user_sgpr_dispatch_ptr 0
		.amdhsa_user_sgpr_queue_ptr 0
		.amdhsa_user_sgpr_kernarg_segment_ptr 1
		.amdhsa_user_sgpr_dispatch_id 0
		.amdhsa_user_sgpr_kernarg_preload_length 0
		.amdhsa_user_sgpr_kernarg_preload_offset 0
		.amdhsa_user_sgpr_private_segment_size 0
		.amdhsa_wavefront_size32 1
		.amdhsa_uses_dynamic_stack 0
		.amdhsa_enable_private_segment 1
		.amdhsa_system_sgpr_workgroup_id_x 1
		.amdhsa_system_sgpr_workgroup_id_y 0
		.amdhsa_system_sgpr_workgroup_id_z 1
		.amdhsa_system_sgpr_workgroup_info 0
		.amdhsa_system_vgpr_workitem_id 0
		.amdhsa_next_free_vgpr 97
		.amdhsa_next_free_sgpr 38
		.amdhsa_named_barrier_count 0
		.amdhsa_reserve_vcc 1
		.amdhsa_float_round_mode_32 0
		.amdhsa_float_round_mode_16_64 0
		.amdhsa_float_denorm_mode_32 3
		.amdhsa_float_denorm_mode_16_64 3
		.amdhsa_fp16_overflow 0
		.amdhsa_memory_ordered 1
		.amdhsa_forward_progress 1
		.amdhsa_inst_pref_size 17
		.amdhsa_round_robin_scheduling 0
		.amdhsa_exception_fp_ieee_invalid_op 0
		.amdhsa_exception_fp_denorm_src 0
		.amdhsa_exception_fp_ieee_div_zero 0
		.amdhsa_exception_fp_ieee_overflow 0
		.amdhsa_exception_fp_ieee_underflow 0
		.amdhsa_exception_fp_ieee_inexact 0
		.amdhsa_exception_int_div_zero 0
	.end_amdhsa_kernel
	.section	.text._ZL38rocblas_trsm_small_left_device_sharedBILi24ELi24ELb1EddPKdPdEv13rocblas_fill_18rocblas_operation_17rocblas_diagonal_iiT3_T4_lilT5_lili,"axG",@progbits,_ZL38rocblas_trsm_small_left_device_sharedBILi24ELi24ELb1EddPKdPdEv13rocblas_fill_18rocblas_operation_17rocblas_diagonal_iiT3_T4_lilT5_lili,comdat
.Lfunc_end94:
	.size	_ZL38rocblas_trsm_small_left_device_sharedBILi24ELi24ELb1EddPKdPdEv13rocblas_fill_18rocblas_operation_17rocblas_diagonal_iiT3_T4_lilT5_lili, .Lfunc_end94-_ZL38rocblas_trsm_small_left_device_sharedBILi24ELi24ELb1EddPKdPdEv13rocblas_fill_18rocblas_operation_17rocblas_diagonal_iiT3_T4_lilT5_lili
                                        ; -- End function
	.set _ZL38rocblas_trsm_small_left_device_sharedBILi24ELi24ELb1EddPKdPdEv13rocblas_fill_18rocblas_operation_17rocblas_diagonal_iiT3_T4_lilT5_lili.num_vgpr, 18
	.set _ZL38rocblas_trsm_small_left_device_sharedBILi24ELi24ELb1EddPKdPdEv13rocblas_fill_18rocblas_operation_17rocblas_diagonal_iiT3_T4_lilT5_lili.num_agpr, 0
	.set _ZL38rocblas_trsm_small_left_device_sharedBILi24ELi24ELb1EddPKdPdEv13rocblas_fill_18rocblas_operation_17rocblas_diagonal_iiT3_T4_lilT5_lili.numbered_sgpr, 38
	.set _ZL38rocblas_trsm_small_left_device_sharedBILi24ELi24ELb1EddPKdPdEv13rocblas_fill_18rocblas_operation_17rocblas_diagonal_iiT3_T4_lilT5_lili.num_named_barrier, 0
	.set _ZL38rocblas_trsm_small_left_device_sharedBILi24ELi24ELb1EddPKdPdEv13rocblas_fill_18rocblas_operation_17rocblas_diagonal_iiT3_T4_lilT5_lili.private_seg_size, 208
	.set _ZL38rocblas_trsm_small_left_device_sharedBILi24ELi24ELb1EddPKdPdEv13rocblas_fill_18rocblas_operation_17rocblas_diagonal_iiT3_T4_lilT5_lili.uses_vcc, 1
	.set _ZL38rocblas_trsm_small_left_device_sharedBILi24ELi24ELb1EddPKdPdEv13rocblas_fill_18rocblas_operation_17rocblas_diagonal_iiT3_T4_lilT5_lili.uses_flat_scratch, 0
	.set _ZL38rocblas_trsm_small_left_device_sharedBILi24ELi24ELb1EddPKdPdEv13rocblas_fill_18rocblas_operation_17rocblas_diagonal_iiT3_T4_lilT5_lili.has_dyn_sized_stack, 0
	.set _ZL38rocblas_trsm_small_left_device_sharedBILi24ELi24ELb1EddPKdPdEv13rocblas_fill_18rocblas_operation_17rocblas_diagonal_iiT3_T4_lilT5_lili.has_recursion, 0
	.set _ZL38rocblas_trsm_small_left_device_sharedBILi24ELi24ELb1EddPKdPdEv13rocblas_fill_18rocblas_operation_17rocblas_diagonal_iiT3_T4_lilT5_lili.has_indirect_call, 0
	.section	.AMDGPU.csdata,"",@progbits
; Kernel info:
; codeLenInByte = 2124
; TotalNumSgprs: 40
; NumVgprs: 18
; ScratchSize: 208
; MemoryBound: 0
; FloatMode: 240
; IeeeMode: 1
; LDSByteSize: 9216 bytes/workgroup (compile time only)
; SGPRBlocks: 0
; VGPRBlocks: 6
; NumSGPRsForWavesPerEU: 40
; NumVGPRsForWavesPerEU: 97
; NamedBarCnt: 0
; Occupancy: 9
; WaveLimiterHint : 0
; COMPUTE_PGM_RSRC2:SCRATCH_EN: 1
; COMPUTE_PGM_RSRC2:USER_SGPR: 2
; COMPUTE_PGM_RSRC2:TRAP_HANDLER: 0
; COMPUTE_PGM_RSRC2:TGID_X_EN: 1
; COMPUTE_PGM_RSRC2:TGID_Y_EN: 0
; COMPUTE_PGM_RSRC2:TGID_Z_EN: 1
; COMPUTE_PGM_RSRC2:TIDIG_COMP_CNT: 0
	.section	.text._ZL30rocblas_trsm_small_left_deviceILi24ELi24ELb1EddPKdPdEv13rocblas_fill_18rocblas_operation_17rocblas_diagonal_iiT3_T4_lilT5_lili,"axG",@progbits,_ZL30rocblas_trsm_small_left_deviceILi24ELi24ELb1EddPKdPdEv13rocblas_fill_18rocblas_operation_17rocblas_diagonal_iiT3_T4_lilT5_lili,comdat
	.globl	_ZL30rocblas_trsm_small_left_deviceILi24ELi24ELb1EddPKdPdEv13rocblas_fill_18rocblas_operation_17rocblas_diagonal_iiT3_T4_lilT5_lili ; -- Begin function _ZL30rocblas_trsm_small_left_deviceILi24ELi24ELb1EddPKdPdEv13rocblas_fill_18rocblas_operation_17rocblas_diagonal_iiT3_T4_lilT5_lili
	.p2align	8
	.type	_ZL30rocblas_trsm_small_left_deviceILi24ELi24ELb1EddPKdPdEv13rocblas_fill_18rocblas_operation_17rocblas_diagonal_iiT3_T4_lilT5_lili,@function
_ZL30rocblas_trsm_small_left_deviceILi24ELi24ELb1EddPKdPdEv13rocblas_fill_18rocblas_operation_17rocblas_diagonal_iiT3_T4_lilT5_lili: ; @_ZL30rocblas_trsm_small_left_deviceILi24ELi24ELb1EddPKdPdEv13rocblas_fill_18rocblas_operation_17rocblas_diagonal_iiT3_T4_lilT5_lili
; %bb.0:
	s_load_b32 s26, s[0:1], 0x60
	s_bfe_u32 s2, ttmp6, 0x40014
	s_lshr_b32 s4, ttmp7, 16
	s_add_co_i32 s2, s2, 1
	s_bfe_u32 s5, ttmp6, 0x40008
	s_mul_i32 s2, s4, s2
	s_getreg_b32 s3, hwreg(HW_REG_IB_STS2, 6, 4)
	s_add_co_i32 s5, s5, s2
	s_cmp_eq_u32 s3, 0
	s_mov_b32 s19, 0
	s_cselect_b32 s2, s4, s5
	s_wait_kmcnt 0x0
	s_cmp_ge_u32 s2, s26
	s_cbranch_scc1 .LBB95_54
; %bb.1:
	s_clause 0x4
	s_load_b96 s[16:18], s[0:1], 0x28
	s_load_b96 s[28:30], s[0:1], 0x48
	s_load_b128 s[8:11], s[0:1], 0x4
	s_load_b32 s22, s[0:1], 0x68
	s_load_b64 s[20:21], s[0:1], 0x58
	s_bfe_u32 s12, ttmp6, 0x4000c
	s_and_b32 s23, ttmp6, 15
	s_add_co_i32 s12, s12, 1
	s_load_b128 s[4:7], s[0:1], 0x18
	s_mul_i32 s24, ttmp9, s12
	s_load_b128 s[12:15], s[0:1], 0x38
	s_wait_xcnt 0x0
	s_add_co_i32 s0, s23, s24
	v_mul_u32_u24_e32 v1, 0xc0, v0
	s_mov_b32 s33, 0
                                        ; implicit-def: $sgpr34
                                        ; implicit-def: $sgpr35
	s_wait_kmcnt 0x0
	s_ashr_i32 s23, s18, 31
	s_ashr_i32 s1, s30, 31
	s_min_i32 s27, s10, 24
	s_lshl_b64 s[24:25], s[28:29], 3
	s_add_co_i32 s10, s22, -1
	s_add_co_i32 s28, s27, -1
	s_cmp_eq_u32 s3, 0
	s_mov_b32 s22, s18
	s_cselect_b32 s3, ttmp9, s0
	s_mov_b32 s0, s30
	v_mad_u32 v2, s3, 24, v0
	s_add_nc_u64 s[14:15], s[14:15], s[24:25]
	s_delay_alu instid0(VALU_DEP_1) | instskip(NEXT) | instid1(VALU_DEP_1)
	v_ashrrev_i32_e32 v3, 31, v2
	v_mul_u64_e32 v[4:5], s[0:1], v[2:3]
	s_mul_i32 s0, s3, 0xffffffe8
	v_lshlrev_b32_e32 v2, 3, v0
	s_add_co_i32 s0, s11, s0
	s_cmp_ge_u32 s3, s10
	v_mov_b32_e32 v3, 0
	s_cselect_b32 s1, s0, 24
	s_cmp_lg_u32 s9, 0x84
	v_add_nc_u32_e32 v14, v2, v1
	s_cselect_b32 s29, -1, 0
	s_cmp_lg_u32 s8, 0x6f
	v_cmp_gt_i32_e64 s0, s27, v0
	s_cselect_b32 s30, -1, 0
	s_lshl_b64 s[16:17], s[16:17], 3
	v_cmp_gt_i32_e64 s1, s1, v0
	s_add_nc_u64 s[6:7], s[6:7], s[16:17]
	s_lshl_b32 s31, s27, 3
	v_add_nc_u64_e32 v[0:1], s[6:7], v[2:3]
	s_lshl_b64 s[8:9], s[12:13], 3
	s_lshl_b64 s[10:11], s[22:23], 3
	;; [unrolled: 1-line block ×3, first 2 shown]
	s_add_co_i32 s31, s31, -8
	s_get_pc_i64 s[6:7]
	s_add_nc_u64 s[6:7], s[6:7], __const._ZL30rocblas_trsm_small_left_deviceILi24ELi24ELb1EddPKdPdEv13rocblas_fill_18rocblas_operation_17rocblas_diagonal_iiT3_T4_lilT5_lili.step_sizes@rel64+4
	v_lshl_add_u64 v[4:5], v[4:5], 3, s[14:15]
	s_branch .LBB95_4
.LBB95_2:                               ;   in Loop: Header=BB95_4 Depth=1
	s_add_co_i32 s2, s2, 0x10000
	s_delay_alu instid0(SALU_CYCLE_1)
	s_cmp_ge_u32 s2, s26
	s_cselect_b32 s3, -1, 0
	s_and_not1_b32 s35, s35, exec_lo
	s_or_not1_b32 s14, s3, exec_lo
.LBB95_3:                               ;   in Loop: Header=BB95_4 Depth=1
	s_wait_xcnt 0x0
	s_or_b32 exec_lo, exec_lo, s36
	s_delay_alu instid0(SALU_CYCLE_1) | instskip(NEXT) | instid1(SALU_CYCLE_1)
	s_and_b32 s3, exec_lo, s14
	s_or_b32 s33, s3, s33
	s_and_not1_b32 s3, s34, exec_lo
	s_and_b32 s14, s35, exec_lo
	s_delay_alu instid0(SALU_CYCLE_1)
	s_or_b32 s34, s3, s14
	s_and_not1_b32 exec_lo, exec_lo, s33
	s_cbranch_execz .LBB95_53
.LBB95_4:                               ; =>This Loop Header: Depth=1
                                        ;     Child Loop BB95_6 Depth 2
                                        ;     Child Loop BB95_14 Depth 2
                                        ;       Child Loop BB95_17 Depth 3
                                        ;         Child Loop BB95_18 Depth 4
                                        ;         Child Loop BB95_20 Depth 4
                                        ;           Child Loop BB95_21 Depth 5
                                        ;         Child Loop BB95_25 Depth 4
                                        ;           Child Loop BB95_27 Depth 5
                                        ;     Child Loop BB95_35 Depth 2
                                        ;       Child Loop BB95_38 Depth 3
                                        ;         Child Loop BB95_39 Depth 4
                                        ;         Child Loop BB95_42 Depth 4
                                        ;           Child Loop BB95_43 Depth 5
                                        ;         Child Loop BB95_47 Depth 4
                                        ;           Child Loop BB95_49 Depth 5
	s_mov_b32 s3, s19
	s_and_saveexec_b32 s14, s0
	s_cbranch_execz .LBB95_10
; %bb.5:                                ;   in Loop: Header=BB95_4 Depth=1
	v_mad_nc_u64_u32 v[6:7], s8, s2, v[0:1]
	v_mov_b32_e32 v3, v2
	s_mov_b32 s15, s27
	s_delay_alu instid0(VALU_DEP_2)
	v_mad_u32 v7, s9, s2, v7
.LBB95_6:                               ;   Parent Loop BB95_4 Depth=1
                                        ; =>  This Inner Loop Header: Depth=2
	global_load_b64 v[8:9], v[6:7], off
	s_wait_xcnt 0x0
	v_add_nc_u64_e32 v[6:7], s[10:11], v[6:7]
	s_add_co_i32 s15, s15, -1
	s_delay_alu instid0(SALU_CYCLE_1)
	s_cmp_eq_u32 s15, 0
	s_wait_loadcnt 0x0
	ds_store_b64 v3, v[8:9]
	v_add_nc_u32_e32 v3, 0xc0, v3
	s_cbranch_scc0 .LBB95_6
; %bb.7:                                ;   in Loop: Header=BB95_4 Depth=1
	v_mov_b64_e32 v[6:7], 1.0
	s_and_b32 vcc_lo, exec_lo, s29
	s_cbranch_vccz .LBB95_9
; %bb.8:                                ;   in Loop: Header=BB95_4 Depth=1
	ds_load_b64 v[6:7], v14
	s_wait_dscnt 0x0
	v_div_scale_f64 v[8:9], null, v[6:7], v[6:7], 1.0
	s_delay_alu instid0(VALU_DEP_1) | instskip(SKIP_1) | instid1(TRANS32_DEP_1)
	v_rcp_f64_e32 v[10:11], v[8:9]
	v_nop
	v_fma_f64 v[12:13], -v[8:9], v[10:11], 1.0
	s_delay_alu instid0(VALU_DEP_1) | instskip(NEXT) | instid1(VALU_DEP_1)
	v_fmac_f64_e32 v[10:11], v[10:11], v[12:13]
	v_fma_f64 v[12:13], -v[8:9], v[10:11], 1.0
	s_delay_alu instid0(VALU_DEP_1) | instskip(SKIP_1) | instid1(VALU_DEP_1)
	v_fmac_f64_e32 v[10:11], v[10:11], v[12:13]
	v_div_scale_f64 v[12:13], vcc_lo, 1.0, v[6:7], 1.0
	v_mul_f64_e32 v[16:17], v[12:13], v[10:11]
	s_delay_alu instid0(VALU_DEP_1) | instskip(NEXT) | instid1(VALU_DEP_1)
	v_fma_f64 v[8:9], -v[8:9], v[16:17], v[12:13]
	v_div_fmas_f64 v[8:9], v[8:9], v[10:11], v[16:17]
	s_delay_alu instid0(VALU_DEP_1)
	v_div_fixup_f64 v[6:7], v[8:9], v[6:7], 1.0
.LBB95_9:                               ;   in Loop: Header=BB95_4 Depth=1
	ds_store_b64 v14, v[6:7]
.LBB95_10:                              ;   in Loop: Header=BB95_4 Depth=1
	s_or_b32 exec_lo, exec_lo, s14
	s_mov_b32 s14, -1
	s_or_b32 s35, s35, exec_lo
	s_wait_dscnt 0x0
	; wave barrier
	s_and_saveexec_b32 s36, s1
	s_cbranch_execz .LBB95_3
; %bb.11:                               ;   in Loop: Header=BB95_4 Depth=1
	s_mul_u64 s[14:15], s[20:21], s[2:3]
	s_and_not1_b32 vcc_lo, exec_lo, s30
	v_lshl_add_u64 v[6:7], s[14:15], 3, v[4:5]
	s_mul_u64 s[14:15], s[12:13], s[2:3]
	s_mov_b32 s3, -1
	s_cbranch_vccnz .LBB95_32
; %bb.12:                               ;   in Loop: Header=BB95_4 Depth=1
	v_add_nc_u64_e32 v[8:9], s[14:15], v[4:5]
	s_mov_b32 s3, 0
	s_mov_b32 s16, s28
	s_branch .LBB95_14
.LBB95_13:                              ;   in Loop: Header=BB95_14 Depth=2
	s_cmp_gt_i32 s16, -1
	s_cselect_b32 s17, -1, 0
	s_add_co_i32 s18, s3, 1
	s_cmp_lt_u32 s3, 2
	s_wait_xcnt 0x0
	s_cselect_b32 s3, -1, 0
	s_delay_alu instid0(SALU_CYCLE_1) | instskip(NEXT) | instid1(SALU_CYCLE_1)
	s_and_b32 s3, s17, s3
	s_and_b32 vcc_lo, exec_lo, s3
	s_mov_b32 s3, s18
	s_cbranch_vccz .LBB95_31
.LBB95_14:                              ;   Parent Loop BB95_4 Depth=1
                                        ; =>  This Loop Header: Depth=2
                                        ;       Child Loop BB95_17 Depth 3
                                        ;         Child Loop BB95_18 Depth 4
                                        ;         Child Loop BB95_20 Depth 4
                                        ;           Child Loop BB95_21 Depth 5
                                        ;         Child Loop BB95_25 Depth 4
                                        ;           Child Loop BB95_27 Depth 5
	s_load_b32 s18, s[6:7], s3 offset:0x0 scale_offset
	s_wait_kmcnt 0x0
	s_add_co_i32 s37, s18, -1
	s_delay_alu instid0(SALU_CYCLE_1)
	s_cmp_lt_i32 s16, s37
	s_cbranch_scc1 .LBB95_13
; %bb.15:                               ;   in Loop: Header=BB95_14 Depth=2
	s_mul_i32 s17, s16, 0xc0
	s_max_i32 s38, s18, 1
	s_add_co_i32 s39, s31, s17
	s_mul_i32 s40, s18, 0xffffff40
	s_mul_i32 s41, s16, 0xc8
	s_mul_i32 s42, s18, 0xffffff38
	s_branch .LBB95_17
.LBB95_16:                              ;   in Loop: Header=BB95_17 Depth=3
	s_sub_co_i32 s16, s16, s18
	s_add_co_i32 s39, s39, s40
	s_add_co_i32 s41, s41, s42
	s_cmp_lt_i32 s16, s37
	s_cbranch_scc1 .LBB95_13
.LBB95_17:                              ;   Parent Loop BB95_4 Depth=1
                                        ;     Parent Loop BB95_14 Depth=2
                                        ; =>    This Loop Header: Depth=3
                                        ;         Child Loop BB95_18 Depth 4
                                        ;         Child Loop BB95_20 Depth 4
                                        ;           Child Loop BB95_21 Depth 5
                                        ;         Child Loop BB95_25 Depth 4
                                        ;           Child Loop BB95_27 Depth 5
	s_ashr_i32 s17, s16, 31
	s_mov_b32 s22, 0
	s_wait_xcnt 0x0
	v_lshl_add_u64 v[10:11], s[16:17], 3, v[8:9]
	s_mov_b32 s23, s38
.LBB95_18:                              ;   Parent Loop BB95_4 Depth=1
                                        ;     Parent Loop BB95_14 Depth=2
                                        ;       Parent Loop BB95_17 Depth=3
                                        ; =>      This Inner Loop Header: Depth=4
	global_load_b64 v[12:13], v[10:11], off
	s_wait_xcnt 0x0
	v_add_nc_u64_e32 v[10:11], -8, v[10:11]
	s_add_co_i32 s23, s23, -1
	s_wait_loadcnt 0x0
	v_mul_f64_e32 v[12:13], s[4:5], v[12:13]
	scratch_store_b64 off, v[12:13], s22
	s_wait_xcnt 0x0
	s_add_co_i32 s22, s22, 8
	s_cmp_eq_u32 s23, 0
	s_cbranch_scc0 .LBB95_18
; %bb.19:                               ;   in Loop: Header=BB95_17 Depth=3
	s_cmp_le_i32 s28, s16
	s_mov_b32 s24, s39
	s_mov_b32 s22, s28
	s_cbranch_scc1 .LBB95_23
.LBB95_20:                              ;   Parent Loop BB95_4 Depth=1
                                        ;     Parent Loop BB95_14 Depth=2
                                        ;       Parent Loop BB95_17 Depth=3
                                        ; =>      This Loop Header: Depth=4
                                        ;           Child Loop BB95_21 Depth 5
	s_ashr_i32 s23, s22, 31
	s_mov_b32 s25, s24
	v_lshl_add_u64 v[10:11], s[22:23], 3, v[6:7]
	s_mov_b32 s23, 0
	s_mov_b32 s43, s38
	global_load_b64 v[10:11], v[10:11], off
.LBB95_21:                              ;   Parent Loop BB95_4 Depth=1
                                        ;     Parent Loop BB95_14 Depth=2
                                        ;       Parent Loop BB95_17 Depth=3
                                        ;         Parent Loop BB95_20 Depth=4
                                        ; =>        This Inner Loop Header: Depth=5
	scratch_load_b64 v[12:13], off, s23
	v_mov_b32_e32 v3, s25
	s_add_co_i32 s43, s43, -1
	s_addk_co_i32 s25, 0xff40
	ds_load_b64 v[16:17], v3
	s_wait_loadcnt_dscnt 0x0
	v_fma_f64 v[12:13], -v[10:11], v[16:17], v[12:13]
	scratch_store_b64 off, v[12:13], s23
	s_wait_xcnt 0x0
	s_add_co_i32 s23, s23, 8
	s_cmp_eq_u32 s43, 0
	s_cbranch_scc0 .LBB95_21
; %bb.22:                               ;   in Loop: Header=BB95_20 Depth=4
	s_add_co_i32 s22, s22, -1
	s_add_co_i32 s24, s24, -8
	s_cmp_le_i32 s22, s16
	s_cbranch_scc0 .LBB95_20
.LBB95_23:                              ;   in Loop: Header=BB95_17 Depth=3
	s_mov_b32 s43, 0
	s_mov_b32 s44, s41
	s_branch .LBB95_25
.LBB95_24:                              ;   in Loop: Header=BB95_25 Depth=4
	s_wait_xcnt 0x1
	s_mulk_i32 s24, 0xc8
	s_addk_co_i32 s44, 0xff40
	v_mov_b32_e32 v3, s24
	s_lshl_b32 s24, s43, 3
	s_add_co_i32 s43, s43, 1
	s_delay_alu instid0(SALU_CYCLE_1)
	s_cmp_eq_u32 s43, s38
	s_wait_xcnt 0x0
	ds_load_b64 v[12:13], v3
	s_wait_loadcnt_dscnt 0x0
	v_mul_f64_e32 v[10:11], v[12:13], v[10:11]
	v_lshl_add_u64 v[12:13], s[22:23], 3, v[6:7]
	scratch_store_b64 off, v[10:11], s24
	global_store_b64 v[12:13], v[10:11], off
	s_cbranch_scc1 .LBB95_16
.LBB95_25:                              ;   Parent Loop BB95_4 Depth=1
                                        ;     Parent Loop BB95_14 Depth=2
                                        ;       Parent Loop BB95_17 Depth=3
                                        ; =>      This Loop Header: Depth=4
                                        ;           Child Loop BB95_27 Depth 5
	s_cmp_lg_u32 s43, 0
	s_cbranch_scc0 .LBB95_29
; %bb.26:                               ;   in Loop: Header=BB95_25 Depth=4
	s_lshl_b32 s22, s43, 3
	s_mov_b32 s23, 0
	scratch_load_b64 v[10:11], off, s22
	s_mov_b32 s24, s44
	s_mov_b32 s25, s43
.LBB95_27:                              ;   Parent Loop BB95_4 Depth=1
                                        ;     Parent Loop BB95_14 Depth=2
                                        ;       Parent Loop BB95_17 Depth=3
                                        ;         Parent Loop BB95_25 Depth=4
                                        ; =>        This Inner Loop Header: Depth=5
	scratch_load_b64 v[12:13], off, s23
	v_mov_b32_e32 v3, s24
	s_add_co_i32 s25, s25, -1
	s_add_co_i32 s24, s24, -8
	s_wait_xcnt 0x0
	s_add_co_i32 s23, s23, 8
	s_cmp_eq_u32 s25, 0
	ds_load_b64 v[16:17], v3
	s_wait_loadcnt_dscnt 0x0
	v_fma_f64 v[10:11], -v[12:13], v[16:17], v[10:11]
	scratch_store_b64 off, v[10:11], s22
	s_cbranch_scc0 .LBB95_27
; %bb.28:                               ;   in Loop: Header=BB95_25 Depth=4
	s_sub_co_i32 s24, s16, s43
	s_delay_alu instid0(SALU_CYCLE_1)
	s_ashr_i32 s25, s24, 31
	s_wait_xcnt 0x0
	s_mov_b64 s[22:23], s[24:25]
	s_branch .LBB95_24
.LBB95_29:                              ;   in Loop: Header=BB95_25 Depth=4
                                        ; implicit-def: $vgpr10_vgpr11
                                        ; implicit-def: $sgpr24
                                        ; implicit-def: $sgpr22_sgpr23
	s_cbranch_execz .LBB95_24
; %bb.30:                               ;   in Loop: Header=BB95_25 Depth=4
	scratch_load_b64 v[10:11], off, off
	s_mov_b64 s[22:23], s[16:17]
	s_mov_b32 s24, s16
	s_branch .LBB95_24
.LBB95_31:                              ;   in Loop: Header=BB95_4 Depth=1
	s_mov_b32 s3, 0
.LBB95_32:                              ;   in Loop: Header=BB95_4 Depth=1
	s_delay_alu instid0(SALU_CYCLE_1)
	s_and_b32 vcc_lo, exec_lo, s3
	s_cbranch_vccz .LBB95_2
; %bb.33:                               ;   in Loop: Header=BB95_4 Depth=1
	v_add_nc_u64_e32 v[8:9], s[14:15], v[4:5]
	s_mov_b32 s14, 0
	s_mov_b32 s3, 0
	s_branch .LBB95_35
.LBB95_34:                              ;   in Loop: Header=BB95_35 Depth=2
	s_cmp_lt_i32 s14, s27
	s_cselect_b32 s15, -1, 0
	s_add_co_i32 s16, s3, 1
	s_cmp_lt_u32 s3, 2
	s_wait_xcnt 0x0
	s_cselect_b32 s3, -1, 0
	s_delay_alu instid0(SALU_CYCLE_1) | instskip(NEXT) | instid1(SALU_CYCLE_1)
	s_and_b32 s3, s15, s3
	s_and_not1_b32 vcc_lo, exec_lo, s3
	s_mov_b32 s3, s16
	s_cbranch_vccnz .LBB95_2
.LBB95_35:                              ;   Parent Loop BB95_4 Depth=1
                                        ; =>  This Loop Header: Depth=2
                                        ;       Child Loop BB95_38 Depth 3
                                        ;         Child Loop BB95_39 Depth 4
                                        ;         Child Loop BB95_42 Depth 4
                                        ;           Child Loop BB95_43 Depth 5
                                        ;         Child Loop BB95_47 Depth 4
                                        ;           Child Loop BB95_49 Depth 5
	s_load_b32 s16, s[6:7], s3 offset:0x0 scale_offset
	s_wait_kmcnt 0x0
	s_add_co_i32 s24, s16, -1
	s_delay_alu instid0(SALU_CYCLE_1) | instskip(NEXT) | instid1(SALU_CYCLE_1)
	s_add_co_i32 s15, s24, s14
	s_cmp_ge_i32 s15, s27
	s_cbranch_scc1 .LBB95_34
; %bb.36:                               ;   in Loop: Header=BB95_35 Depth=2
	s_ashr_i32 s15, s14, 31
	s_ashr_i32 s17, s16, 31
	v_lshl_add_u64 v[10:11], s[14:15], 3, v[8:9]
	s_max_i32 s25, s16, 1
	s_lshl_b64 s[22:23], s[16:17], 3
	s_lshl_b32 s15, s14, 3
	s_lshl_b32 s17, s16, 3
	s_mul_i32 s37, s14, 0xc8
	s_mul_i32 s38, s16, 0xc8
	s_branch .LBB95_38
.LBB95_37:                              ;   in Loop: Header=BB95_38 Depth=3
	v_add_nc_u64_e32 v[10:11], s[22:23], v[10:11]
	s_add_co_i32 s14, s14, s16
	s_add_co_i32 s15, s15, s17
	;; [unrolled: 1-line block ×4, first 2 shown]
	s_cmp_ge_i32 s18, s27
	s_cbranch_scc1 .LBB95_34
.LBB95_38:                              ;   Parent Loop BB95_4 Depth=1
                                        ;     Parent Loop BB95_35 Depth=2
                                        ; =>    This Loop Header: Depth=3
                                        ;         Child Loop BB95_39 Depth 4
                                        ;         Child Loop BB95_42 Depth 4
                                        ;           Child Loop BB95_43 Depth 5
                                        ;         Child Loop BB95_47 Depth 4
                                        ;           Child Loop BB95_49 Depth 5
	s_wait_xcnt 0x0
	v_mov_b64_e32 v[12:13], v[10:11]
	s_mov_b32 s18, 0
	s_mov_b32 s39, s25
.LBB95_39:                              ;   Parent Loop BB95_4 Depth=1
                                        ;     Parent Loop BB95_35 Depth=2
                                        ;       Parent Loop BB95_38 Depth=3
                                        ; =>      This Inner Loop Header: Depth=4
	global_load_b64 v[16:17], v[12:13], off
	s_wait_xcnt 0x0
	v_add_nc_u64_e32 v[12:13], 8, v[12:13]
	s_add_co_i32 s39, s39, -1
	s_wait_loadcnt 0x0
	v_mul_f64_e32 v[16:17], s[4:5], v[16:17]
	scratch_store_b64 off, v[16:17], s18
	s_wait_xcnt 0x0
	s_add_co_i32 s18, s18, 8
	s_cmp_eq_u32 s39, 0
	s_cbranch_scc0 .LBB95_39
; %bb.40:                               ;   in Loop: Header=BB95_38 Depth=3
	s_cmp_lt_i32 s14, 1
	s_cbranch_scc1 .LBB95_45
; %bb.41:                               ;   in Loop: Header=BB95_38 Depth=3
	s_mov_b32 s18, 0
	s_mov_b32 s39, s15
.LBB95_42:                              ;   Parent Loop BB95_4 Depth=1
                                        ;     Parent Loop BB95_35 Depth=2
                                        ;       Parent Loop BB95_38 Depth=3
                                        ; =>      This Loop Header: Depth=4
                                        ;           Child Loop BB95_43 Depth 5
	v_lshl_add_u64 v[12:13], s[18:19], 3, v[6:7]
	s_mov_b32 s40, 0
	s_mov_b32 s41, s39
	;; [unrolled: 1-line block ×3, first 2 shown]
	global_load_b64 v[12:13], v[12:13], off
.LBB95_43:                              ;   Parent Loop BB95_4 Depth=1
                                        ;     Parent Loop BB95_35 Depth=2
                                        ;       Parent Loop BB95_38 Depth=3
                                        ;         Parent Loop BB95_42 Depth=4
                                        ; =>        This Inner Loop Header: Depth=5
	scratch_load_b64 v[16:17], off, s40
	v_mov_b32_e32 v3, s41
	s_add_co_i32 s42, s42, -1
	s_add_co_i32 s41, s41, 8
	ds_load_b64 v[18:19], v3
	s_wait_loadcnt_dscnt 0x0
	v_fma_f64 v[16:17], -v[12:13], v[18:19], v[16:17]
	scratch_store_b64 off, v[16:17], s40
	s_wait_xcnt 0x0
	s_add_co_i32 s40, s40, 8
	s_cmp_eq_u32 s42, 0
	s_cbranch_scc0 .LBB95_43
; %bb.44:                               ;   in Loop: Header=BB95_42 Depth=4
	s_add_co_i32 s18, s18, 1
	s_addk_co_i32 s39, 0xc0
	s_cmp_eq_u32 s18, s14
	s_cbranch_scc0 .LBB95_42
.LBB95_45:                              ;   in Loop: Header=BB95_38 Depth=3
	s_mov_b32 s18, 0
	s_mov_b32 s39, s37
	s_branch .LBB95_47
.LBB95_46:                              ;   in Loop: Header=BB95_47 Depth=4
	s_add_co_i32 s40, s18, s14
	s_wait_xcnt 0x1
	s_lshl_b32 s42, s18, 3
	s_mul_i32 s41, s40, 0xc8
	s_add_co_i32 s18, s18, 1
	v_mov_b32_e32 v3, s41
	s_ashr_i32 s41, s40, 31
	s_add_co_i32 s39, s39, 8
	s_cmp_eq_u32 s18, s25
	s_wait_xcnt 0x0
	ds_load_b64 v[16:17], v3
	s_wait_loadcnt_dscnt 0x0
	v_mul_f64_e32 v[12:13], v[16:17], v[12:13]
	v_lshl_add_u64 v[16:17], s[40:41], 3, v[6:7]
	scratch_store_b64 off, v[12:13], s42
	global_store_b64 v[16:17], v[12:13], off
	s_cbranch_scc1 .LBB95_37
.LBB95_47:                              ;   Parent Loop BB95_4 Depth=1
                                        ;     Parent Loop BB95_35 Depth=2
                                        ;       Parent Loop BB95_38 Depth=3
                                        ; =>      This Loop Header: Depth=4
                                        ;           Child Loop BB95_49 Depth 5
	s_cmp_lg_u32 s18, 0
	s_cbranch_scc0 .LBB95_51
; %bb.48:                               ;   in Loop: Header=BB95_47 Depth=4
	s_lshl_b32 s40, s18, 3
	s_mov_b32 s41, 0
	scratch_load_b64 v[12:13], off, s40
	s_mov_b32 s42, s39
	s_mov_b32 s43, s18
.LBB95_49:                              ;   Parent Loop BB95_4 Depth=1
                                        ;     Parent Loop BB95_35 Depth=2
                                        ;       Parent Loop BB95_38 Depth=3
                                        ;         Parent Loop BB95_47 Depth=4
                                        ; =>        This Inner Loop Header: Depth=5
	scratch_load_b64 v[16:17], off, s41
	v_mov_b32_e32 v3, s42
	s_add_co_i32 s43, s43, -1
	s_addk_co_i32 s42, 0xc0
	s_wait_xcnt 0x0
	s_add_co_i32 s41, s41, 8
	s_cmp_eq_u32 s43, 0
	ds_load_b64 v[18:19], v3
	s_wait_loadcnt_dscnt 0x0
	v_fma_f64 v[12:13], -v[16:17], v[18:19], v[12:13]
	scratch_store_b64 off, v[12:13], s40
	s_cbranch_scc0 .LBB95_49
; %bb.50:                               ;   in Loop: Header=BB95_47 Depth=4
	s_wait_xcnt 0x0
	s_branch .LBB95_46
.LBB95_51:                              ;   in Loop: Header=BB95_47 Depth=4
                                        ; implicit-def: $vgpr12_vgpr13
	s_cbranch_execz .LBB95_46
; %bb.52:                               ;   in Loop: Header=BB95_47 Depth=4
	scratch_load_b64 v[12:13], off, off
	s_branch .LBB95_46
.LBB95_53:
	s_or_b32 exec_lo, exec_lo, s33
	s_and_saveexec_b32 s0, s34
	s_delay_alu instid0(SALU_CYCLE_1)
	s_xor_b32 s0, exec_lo, s0
.LBB95_54:
	s_endpgm
	.section	.rodata,"a",@progbits
	.p2align	6, 0x0
	.amdhsa_kernel _ZL30rocblas_trsm_small_left_deviceILi24ELi24ELb1EddPKdPdEv13rocblas_fill_18rocblas_operation_17rocblas_diagonal_iiT3_T4_lilT5_lili
		.amdhsa_group_segment_fixed_size 4608
		.amdhsa_private_segment_fixed_size 208
		.amdhsa_kernarg_size 360
		.amdhsa_user_sgpr_count 2
		.amdhsa_user_sgpr_dispatch_ptr 0
		.amdhsa_user_sgpr_queue_ptr 0
		.amdhsa_user_sgpr_kernarg_segment_ptr 1
		.amdhsa_user_sgpr_dispatch_id 0
		.amdhsa_user_sgpr_kernarg_preload_length 0
		.amdhsa_user_sgpr_kernarg_preload_offset 0
		.amdhsa_user_sgpr_private_segment_size 0
		.amdhsa_wavefront_size32 1
		.amdhsa_uses_dynamic_stack 0
		.amdhsa_enable_private_segment 1
		.amdhsa_system_sgpr_workgroup_id_x 1
		.amdhsa_system_sgpr_workgroup_id_y 0
		.amdhsa_system_sgpr_workgroup_id_z 1
		.amdhsa_system_sgpr_workgroup_info 0
		.amdhsa_system_vgpr_workitem_id 0
		.amdhsa_next_free_vgpr 20
		.amdhsa_next_free_sgpr 45
		.amdhsa_named_barrier_count 0
		.amdhsa_reserve_vcc 1
		.amdhsa_float_round_mode_32 0
		.amdhsa_float_round_mode_16_64 0
		.amdhsa_float_denorm_mode_32 3
		.amdhsa_float_denorm_mode_16_64 3
		.amdhsa_fp16_overflow 0
		.amdhsa_memory_ordered 1
		.amdhsa_forward_progress 1
		.amdhsa_inst_pref_size 16
		.amdhsa_round_robin_scheduling 0
		.amdhsa_exception_fp_ieee_invalid_op 0
		.amdhsa_exception_fp_denorm_src 0
		.amdhsa_exception_fp_ieee_div_zero 0
		.amdhsa_exception_fp_ieee_overflow 0
		.amdhsa_exception_fp_ieee_underflow 0
		.amdhsa_exception_fp_ieee_inexact 0
		.amdhsa_exception_int_div_zero 0
	.end_amdhsa_kernel
	.section	.text._ZL30rocblas_trsm_small_left_deviceILi24ELi24ELb1EddPKdPdEv13rocblas_fill_18rocblas_operation_17rocblas_diagonal_iiT3_T4_lilT5_lili,"axG",@progbits,_ZL30rocblas_trsm_small_left_deviceILi24ELi24ELb1EddPKdPdEv13rocblas_fill_18rocblas_operation_17rocblas_diagonal_iiT3_T4_lilT5_lili,comdat
.Lfunc_end95:
	.size	_ZL30rocblas_trsm_small_left_deviceILi24ELi24ELb1EddPKdPdEv13rocblas_fill_18rocblas_operation_17rocblas_diagonal_iiT3_T4_lilT5_lili, .Lfunc_end95-_ZL30rocblas_trsm_small_left_deviceILi24ELi24ELb1EddPKdPdEv13rocblas_fill_18rocblas_operation_17rocblas_diagonal_iiT3_T4_lilT5_lili
                                        ; -- End function
	.set _ZL30rocblas_trsm_small_left_deviceILi24ELi24ELb1EddPKdPdEv13rocblas_fill_18rocblas_operation_17rocblas_diagonal_iiT3_T4_lilT5_lili.num_vgpr, 20
	.set _ZL30rocblas_trsm_small_left_deviceILi24ELi24ELb1EddPKdPdEv13rocblas_fill_18rocblas_operation_17rocblas_diagonal_iiT3_T4_lilT5_lili.num_agpr, 0
	.set _ZL30rocblas_trsm_small_left_deviceILi24ELi24ELb1EddPKdPdEv13rocblas_fill_18rocblas_operation_17rocblas_diagonal_iiT3_T4_lilT5_lili.numbered_sgpr, 45
	.set _ZL30rocblas_trsm_small_left_deviceILi24ELi24ELb1EddPKdPdEv13rocblas_fill_18rocblas_operation_17rocblas_diagonal_iiT3_T4_lilT5_lili.num_named_barrier, 0
	.set _ZL30rocblas_trsm_small_left_deviceILi24ELi24ELb1EddPKdPdEv13rocblas_fill_18rocblas_operation_17rocblas_diagonal_iiT3_T4_lilT5_lili.private_seg_size, 208
	.set _ZL30rocblas_trsm_small_left_deviceILi24ELi24ELb1EddPKdPdEv13rocblas_fill_18rocblas_operation_17rocblas_diagonal_iiT3_T4_lilT5_lili.uses_vcc, 1
	.set _ZL30rocblas_trsm_small_left_deviceILi24ELi24ELb1EddPKdPdEv13rocblas_fill_18rocblas_operation_17rocblas_diagonal_iiT3_T4_lilT5_lili.uses_flat_scratch, 0
	.set _ZL30rocblas_trsm_small_left_deviceILi24ELi24ELb1EddPKdPdEv13rocblas_fill_18rocblas_operation_17rocblas_diagonal_iiT3_T4_lilT5_lili.has_dyn_sized_stack, 0
	.set _ZL30rocblas_trsm_small_left_deviceILi24ELi24ELb1EddPKdPdEv13rocblas_fill_18rocblas_operation_17rocblas_diagonal_iiT3_T4_lilT5_lili.has_recursion, 0
	.set _ZL30rocblas_trsm_small_left_deviceILi24ELi24ELb1EddPKdPdEv13rocblas_fill_18rocblas_operation_17rocblas_diagonal_iiT3_T4_lilT5_lili.has_indirect_call, 0
	.section	.AMDGPU.csdata,"",@progbits
; Kernel info:
; codeLenInByte = 2016
; TotalNumSgprs: 47
; NumVgprs: 20
; ScratchSize: 208
; MemoryBound: 0
; FloatMode: 240
; IeeeMode: 1
; LDSByteSize: 4608 bytes/workgroup (compile time only)
; SGPRBlocks: 0
; VGPRBlocks: 1
; NumSGPRsForWavesPerEU: 47
; NumVGPRsForWavesPerEU: 20
; NamedBarCnt: 0
; Occupancy: 16
; WaveLimiterHint : 0
; COMPUTE_PGM_RSRC2:SCRATCH_EN: 1
; COMPUTE_PGM_RSRC2:USER_SGPR: 2
; COMPUTE_PGM_RSRC2:TRAP_HANDLER: 0
; COMPUTE_PGM_RSRC2:TGID_X_EN: 1
; COMPUTE_PGM_RSRC2:TGID_Y_EN: 0
; COMPUTE_PGM_RSRC2:TGID_Z_EN: 1
; COMPUTE_PGM_RSRC2:TIDIG_COMP_CNT: 0
	.section	.text._ZL31rocblas_trsm_small_right_deviceIddPKdPdLi24EEv13rocblas_fill_18rocblas_operation_17rocblas_diagonal_iiT0_T1_lilT2_lili,"axG",@progbits,_ZL31rocblas_trsm_small_right_deviceIddPKdPdLi24EEv13rocblas_fill_18rocblas_operation_17rocblas_diagonal_iiT0_T1_lilT2_lili,comdat
	.globl	_ZL31rocblas_trsm_small_right_deviceIddPKdPdLi24EEv13rocblas_fill_18rocblas_operation_17rocblas_diagonal_iiT0_T1_lilT2_lili ; -- Begin function _ZL31rocblas_trsm_small_right_deviceIddPKdPdLi24EEv13rocblas_fill_18rocblas_operation_17rocblas_diagonal_iiT0_T1_lilT2_lili
	.p2align	8
	.type	_ZL31rocblas_trsm_small_right_deviceIddPKdPdLi24EEv13rocblas_fill_18rocblas_operation_17rocblas_diagonal_iiT0_T1_lilT2_lili,@function
_ZL31rocblas_trsm_small_right_deviceIddPKdPdLi24EEv13rocblas_fill_18rocblas_operation_17rocblas_diagonal_iiT0_T1_lilT2_lili: ; @_ZL31rocblas_trsm_small_right_deviceIddPKdPdLi24EEv13rocblas_fill_18rocblas_operation_17rocblas_diagonal_iiT0_T1_lilT2_lili
; %bb.0:
	s_load_b32 s19, s[0:1], 0x60
	s_bfe_u32 s2, ttmp6, 0x40014
	s_lshr_b32 s3, ttmp7, 16
	s_add_co_i32 s2, s2, 1
	s_bfe_u32 s5, ttmp6, 0x40008
	s_mul_i32 s4, s3, s2
	s_getreg_b32 s2, hwreg(HW_REG_IB_STS2, 6, 4)
	s_add_co_i32 s5, s5, s4
	s_cmp_eq_u32 s2, 0
	s_cselect_b32 s23, s3, s5
	s_wait_kmcnt 0x0
	s_cmp_ge_u32 s23, s19
	s_cbranch_scc1 .LBB96_82
; %bb.1:
	s_clause 0x7
	s_load_b96 s[16:18], s[0:1], 0x28
	s_load_b96 s[20:22], s[0:1], 0x48
	s_load_b128 s[12:15], s[0:1], 0x0
	s_load_b32 s24, s[0:1], 0x10
	s_load_b32 s3, s[0:1], 0x68
	s_load_b128 s[4:7], s[0:1], 0x18
	s_load_b128 s[8:11], s[0:1], 0x38
	s_load_b64 s[34:35], s[0:1], 0x58
	v_dual_mov_b32 v9, 0 :: v_dual_lshlrev_b32 v8, 3, v0
	v_mul_u32_u24_e32 v1, 0xc0, v0
	v_mov_b64_e32 v[14:15], 1.0
	s_delay_alu instid0(VALU_DEP_3) | instskip(NEXT) | instid1(VALU_DEP_3)
	v_or_b32_e32 v18, 0x1200, v8
	v_add_nc_u32_e32 v20, v8, v1
	s_wait_kmcnt 0x0
	s_ashr_i32 s29, s18, 31
	s_ashr_i32 s31, s22, 31
	s_cmp_lg_u32 s12, 0x7a
	s_mov_b32 s28, s18
	s_cselect_b32 s26, -1, 0
	s_bfe_u32 s0, ttmp6, 0x4000c
	s_min_i32 s1, s24, 24
	s_add_co_i32 s0, s0, 1
	s_and_b32 s27, ttmp6, 15
	s_mul_i32 s0, ttmp9, s0
	s_add_co_i32 s3, s3, -1
	s_add_co_i32 s25, s1, -1
	s_add_co_i32 s27, s27, s0
	s_cmp_eq_u32 s2, 0
	s_mov_b32 s30, s22
	s_cselect_b32 s2, ttmp9, s27
	s_delay_alu instid0(SALU_CYCLE_1) | instskip(NEXT) | instid1(SALU_CYCLE_1)
	s_mul_i32 s0, s2, 0xffffffe8
	s_add_co_i32 s0, s15, s0
	s_cmp_ge_u32 s2, s3
	s_cselect_b32 s15, s0, 24
	s_ashr_i32 s3, s2, 31
	s_cmp_eq_u32 s14, 0x84
	v_cmp_gt_i32_e32 vcc_lo, s15, v0
	s_cselect_b32 s14, -1, 0
	s_cmp_gt_i32 s24, 0
	s_mul_u64 s[36:37], s[2:3], 0xc0
	s_cselect_b32 s27, -1, 0
	s_cmp_lg_u32 s13, 0x6f
	v_cmp_gt_i32_e64 s0, s1, v0
	s_cselect_b32 s13, -1, 0
	s_cmp_lg_u32 s12, 0x79
	s_cselect_b32 s12, -1, 0
	s_or_b32 s15, s26, s13
	s_or_b32 s18, s12, s13
	s_cmp_gt_i32 s24, 3
	v_cndmask_b32_e64 v19, 0, 1, s12
	s_cselect_b32 s22, -1, 0
	s_lshl_b64 s[20:21], s[20:21], 3
	s_lshl_b64 s[16:17], s[16:17], 3
	s_add_nc_u64 s[20:21], s[36:37], s[20:21]
	s_add_nc_u64 s[6:7], s[6:7], s[16:17]
	;; [unrolled: 1-line block ×3, first 2 shown]
	v_add_nc_u64_e32 v[10:11], s[6:7], v[8:9]
	v_add_nc_u64_e32 v[12:13], s[10:11], v[8:9]
	s_mul_i32 s16, s1, 0xc0
	s_mul_i32 s17, s1, 0xc8
	v_add3_u32 v9, s16, v8, 0x1140
	s_lshl_b32 s21, s1, 3
	s_and_b32 s26, vcc_lo, s27
	s_lshl_b64 s[2:3], s[8:9], 3
	s_lshl_b64 s[8:9], s[28:29], 3
	s_lshl_b64 s[12:13], s[34:35], 3
	s_lshl_b64 s[6:7], s[30:31], 3
	s_add_co_i32 s10, s17, 0xffffff20
	s_add_co_i32 s11, s16, 0xffffff40
	s_addk_co_i32 s16, 0xff38
	s_addk_co_i32 s17, 0xfcf8
	s_add_co_i32 s20, s21, -8
	s_addk_co_i32 s21, 0xff38
	s_branch .LBB96_3
.LBB96_2:                               ;   in Loop: Header=BB96_3 Depth=1
	s_or_b32 exec_lo, exec_lo, s27
	s_add_co_i32 s23, s23, 0x10000
	s_delay_alu instid0(SALU_CYCLE_1)
	s_cmp_lt_u32 s23, s19
	s_cbranch_scc0 .LBB96_82
.LBB96_3:                               ; =>This Loop Header: Depth=1
                                        ;     Child Loop BB96_5 Depth 2
                                        ;     Child Loop BB96_10 Depth 2
	;; [unrolled: 1-line block ×3, first 2 shown]
                                        ;       Child Loop BB96_17 Depth 3
                                        ;     Child Loop BB96_23 Depth 2
                                        ;       Child Loop BB96_24 Depth 3
                                        ;     Child Loop BB96_28 Depth 2
	;; [unrolled: 2-line block ×3, first 2 shown]
                                        ;     Child Loop BB96_42 Depth 2
                                        ;       Child Loop BB96_43 Depth 3
                                        ;       Child Loop BB96_45 Depth 3
                                        ;     Child Loop BB96_49 Depth 2
                                        ;       Child Loop BB96_50 Depth 3
                                        ;     Child Loop BB96_57 Depth 2
                                        ;     Child Loop BB96_62 Depth 2
                                        ;       Child Loop BB96_63 Depth 3
                                        ;       Child Loop BB96_65 Depth 3
                                        ;     Child Loop BB96_70 Depth 2
                                        ;       Child Loop BB96_71 Depth 3
                                        ;     Child Loop BB96_77 Depth 2
	;; [unrolled: 2-line block ×3, first 2 shown]
	s_and_saveexec_b32 s27, s0
	s_cbranch_execz .LBB96_8
; %bb.4:                                ;   in Loop: Header=BB96_3 Depth=1
	v_mad_nc_u64_u32 v[0:1], s2, s23, v[10:11]
	v_mov_b32_e32 v2, v8
	s_mov_b32 s28, s1
	s_delay_alu instid0(VALU_DEP_2)
	v_mad_u32 v1, s3, s23, v1
.LBB96_5:                               ;   Parent Loop BB96_3 Depth=1
                                        ; =>  This Inner Loop Header: Depth=2
	global_load_b64 v[4:5], v[0:1], off
	s_wait_xcnt 0x0
	v_add_nc_u64_e32 v[0:1], s[8:9], v[0:1]
	s_add_co_i32 s28, s28, -1
	s_delay_alu instid0(SALU_CYCLE_1)
	s_cmp_eq_u32 s28, 0
	s_wait_loadcnt 0x0
	ds_store_b64 v2, v[4:5]
	v_add_nc_u32_e32 v2, 0xc0, v2
	s_cbranch_scc0 .LBB96_5
; %bb.6:                                ;   in Loop: Header=BB96_3 Depth=1
	s_and_b32 vcc_lo, exec_lo, s14
	s_cbranch_vccz .LBB96_8
; %bb.7:                                ;   in Loop: Header=BB96_3 Depth=1
	ds_store_b64 v20, v[14:15]
.LBB96_8:                               ;   in Loop: Header=BB96_3 Depth=1
	s_or_b32 exec_lo, exec_lo, s27
	v_mad_nc_u64_u32 v[16:17], s12, s23, v[12:13]
	s_delay_alu instid0(VALU_DEP_1)
	v_mad_u32 v17, s13, s23, v17
	s_and_saveexec_b32 s27, s26
	s_cbranch_execz .LBB96_11
; %bb.9:                                ;   in Loop: Header=BB96_3 Depth=1
	s_delay_alu instid0(VALU_DEP_1)
	v_mov_b64_e32 v[0:1], v[16:17]
	v_mov_b32_e32 v2, v18
	s_mov_b32 s28, s24
.LBB96_10:                              ;   Parent Loop BB96_3 Depth=1
                                        ; =>  This Inner Loop Header: Depth=2
	global_load_b64 v[4:5], v[0:1], off
	s_wait_xcnt 0x0
	v_add_nc_u64_e32 v[0:1], s[6:7], v[0:1]
	s_add_co_i32 s28, s28, -1
	s_delay_alu instid0(SALU_CYCLE_1)
	s_cmp_lg_u32 s28, 0
	s_wait_loadcnt 0x0
	v_mul_f64_e32 v[4:5], s[4:5], v[4:5]
	ds_store_b64 v2, v[4:5]
	v_add_nc_u32_e32 v2, 0xc0, v2
	s_cbranch_scc1 .LBB96_10
.LBB96_11:                              ;   in Loop: Header=BB96_3 Depth=1
	s_or_b32 exec_lo, exec_lo, s27
	s_delay_alu instid0(SALU_CYCLE_1)
	s_and_b32 vcc_lo, exec_lo, s18
	s_mov_b32 s27, -1
	s_wait_dscnt 0x0
	; wave barrier
	s_cbranch_vccz .LBB96_67
; %bb.12:                               ;   in Loop: Header=BB96_3 Depth=1
	s_and_b32 vcc_lo, exec_lo, s15
	s_cbranch_vccz .LBB96_47
; %bb.13:                               ;   in Loop: Header=BB96_3 Depth=1
	v_cmp_ne_u32_e32 vcc_lo, 1, v19
	s_cbranch_vccnz .LBB96_26
; %bb.14:                               ;   in Loop: Header=BB96_3 Depth=1
	s_and_not1_b32 vcc_lo, exec_lo, s22
	s_mov_b32 s29, 0
	s_cbranch_vccnz .LBB96_20
; %bb.15:                               ;   in Loop: Header=BB96_3 Depth=1
	s_mov_b32 s27, 0
	s_mov_b32 s28, 0
.LBB96_16:                              ;   Parent Loop BB96_3 Depth=1
                                        ; =>  This Loop Header: Depth=2
                                        ;       Child Loop BB96_17 Depth 3
	s_delay_alu instid0(SALU_CYCLE_1) | instskip(SKIP_3) | instid1(SALU_CYCLE_1)
	v_mad_u32 v21, 0xc0, s28, v18
	s_or_b32 s29, s28, 3
	s_cmp_eq_u32 s28, 0
	s_mulk_i32 s29, 0xc0
	v_dual_mov_b32 v23, v18 :: v_dual_add_nc_u32 v22, s29, v18
	s_mov_b32 s29, s27
	s_mov_b32 s30, s28
	ds_load_2addr_b64 v[0:3], v21 offset1:24
	ds_load_b64 v[6:7], v21 offset:384
	ds_load_b64 v[4:5], v22
	s_cbranch_scc1 .LBB96_18
.LBB96_17:                              ;   Parent Loop BB96_3 Depth=1
                                        ;     Parent Loop BB96_16 Depth=2
                                        ; =>    This Inner Loop Header: Depth=3
	v_mov_b32_e32 v28, s29
	s_add_co_i32 s30, s30, -1
	s_addk_co_i32 s29, 0xc0
	s_cmp_eq_u32 s30, 0
	ds_load_b64 v[32:33], v23
	ds_load_b128 v[24:27], v28
	ds_load_b128 v[28:31], v28 offset:16
	v_add_nc_u32_e32 v23, 0xc0, v23
	s_wait_dscnt 0x1
	v_fma_f64 v[0:1], -v[32:33], v[24:25], v[0:1]
	v_fma_f64 v[2:3], -v[32:33], v[26:27], v[2:3]
	s_wait_dscnt 0x0
	v_fma_f64 v[6:7], -v[32:33], v[28:29], v[6:7]
	v_fma_f64 v[4:5], -v[32:33], v[30:31], v[4:5]
	s_cbranch_scc0 .LBB96_17
.LBB96_18:                              ;   in Loop: Header=BB96_16 Depth=2
	s_lshl_b32 s29, s28, 3
	s_mul_i32 s30, s28, 0xc0
	s_or_b32 s31, s29, 8
	s_add_co_i32 s30, s29, s30
	s_add_co_i32 s27, s27, 32
	v_mov_b32_e32 v23, s30
	s_addk_co_i32 s30, 0xc8
	ds_load_b128 v[24:27], v23
	ds_load_b128 v[28:31], v23 offset:16
	s_sub_co_i32 s30, s30, s31
	s_delay_alu instid0(SALU_CYCLE_1) | instskip(SKIP_3) | instid1(VALU_DEP_2)
	s_add_co_i32 s29, s30, s29
	s_wait_dscnt 0x1
	v_div_scale_f64 v[32:33], null, v[24:25], v[24:25], v[0:1]
	v_div_scale_f64 v[38:39], vcc_lo, v[0:1], v[24:25], v[0:1]
	v_rcp_f64_e32 v[34:35], v[32:33]
	v_nop
	s_delay_alu instid0(TRANS32_DEP_1) | instskip(NEXT) | instid1(VALU_DEP_1)
	v_fma_f64 v[36:37], -v[32:33], v[34:35], 1.0
	v_fmac_f64_e32 v[34:35], v[34:35], v[36:37]
	s_delay_alu instid0(VALU_DEP_1) | instskip(NEXT) | instid1(VALU_DEP_1)
	v_fma_f64 v[36:37], -v[32:33], v[34:35], 1.0
	v_fmac_f64_e32 v[34:35], v[34:35], v[36:37]
	s_delay_alu instid0(VALU_DEP_1) | instskip(NEXT) | instid1(VALU_DEP_1)
	v_mul_f64_e32 v[36:37], v[38:39], v[34:35]
	v_fma_f64 v[32:33], -v[32:33], v[36:37], v[38:39]
	s_delay_alu instid0(VALU_DEP_1) | instskip(NEXT) | instid1(VALU_DEP_1)
	v_div_fmas_f64 v[32:33], v[32:33], v[34:35], v[36:37]
	v_div_fixup_f64 v[32:33], v[32:33], v[24:25], v[0:1]
	s_delay_alu instid0(VALU_DEP_1)
	v_fma_f64 v[34:35], -v[32:33], v[26:27], v[2:3]
	ds_load_2addr_b64 v[0:3], v23 offset0:25 offset1:26
	ds_load_b128 v[24:27], v23 offset:400
	s_wait_dscnt 0x2
	v_fma_f64 v[6:7], -v[32:33], v[28:29], v[6:7]
	v_fma_f64 v[4:5], -v[32:33], v[30:31], v[4:5]
	s_wait_dscnt 0x1
	v_div_scale_f64 v[36:37], null, v[0:1], v[0:1], v[34:35]
	v_div_scale_f64 v[42:43], vcc_lo, v[34:35], v[0:1], v[34:35]
	s_delay_alu instid0(VALU_DEP_2) | instskip(SKIP_1) | instid1(TRANS32_DEP_1)
	v_rcp_f64_e32 v[38:39], v[36:37]
	v_nop
	v_fma_f64 v[40:41], -v[36:37], v[38:39], 1.0
	s_delay_alu instid0(VALU_DEP_1) | instskip(NEXT) | instid1(VALU_DEP_1)
	v_fmac_f64_e32 v[38:39], v[38:39], v[40:41]
	v_fma_f64 v[40:41], -v[36:37], v[38:39], 1.0
	s_delay_alu instid0(VALU_DEP_1) | instskip(NEXT) | instid1(VALU_DEP_1)
	v_fmac_f64_e32 v[38:39], v[38:39], v[40:41]
	v_mul_f64_e32 v[40:41], v[42:43], v[38:39]
	s_delay_alu instid0(VALU_DEP_1) | instskip(NEXT) | instid1(VALU_DEP_1)
	v_fma_f64 v[36:37], -v[36:37], v[40:41], v[42:43]
	v_div_fmas_f64 v[36:37], v[36:37], v[38:39], v[40:41]
	s_delay_alu instid0(VALU_DEP_1) | instskip(NEXT) | instid1(VALU_DEP_1)
	v_div_fixup_f64 v[0:1], v[36:37], v[0:1], v[34:35]
	v_fma_f64 v[2:3], -v[0:1], v[2:3], v[6:7]
	s_wait_dscnt 0x0
	s_delay_alu instid0(VALU_DEP_1) | instskip(SKIP_1) | instid1(VALU_DEP_2)
	v_div_scale_f64 v[6:7], null, v[24:25], v[24:25], v[2:3]
	v_div_scale_f64 v[36:37], vcc_lo, v[2:3], v[24:25], v[2:3]
	v_rcp_f64_e32 v[28:29], v[6:7]
	v_nop
	s_delay_alu instid0(TRANS32_DEP_1) | instskip(NEXT) | instid1(VALU_DEP_1)
	v_fma_f64 v[34:35], -v[6:7], v[28:29], 1.0
	v_fmac_f64_e32 v[28:29], v[28:29], v[34:35]
	s_delay_alu instid0(VALU_DEP_1) | instskip(NEXT) | instid1(VALU_DEP_1)
	v_fma_f64 v[34:35], -v[6:7], v[28:29], 1.0
	v_fmac_f64_e32 v[28:29], v[28:29], v[34:35]
	s_delay_alu instid0(VALU_DEP_1) | instskip(NEXT) | instid1(VALU_DEP_1)
	v_mul_f64_e32 v[34:35], v[36:37], v[28:29]
	v_fma_f64 v[6:7], -v[6:7], v[34:35], v[36:37]
	s_delay_alu instid0(VALU_DEP_1)
	v_div_fmas_f64 v[6:7], v[6:7], v[28:29], v[34:35]
	v_mov_b32_e32 v28, s29
	s_add_co_i32 s29, s28, 4
	s_add_co_i32 s28, s28, 7
	ds_load_b64 v[28:29], v28 offset:24
	ds_load_b64 v[30:31], v23 offset:600
	s_cmp_ge_i32 s28, s1
	ds_store_2addr_b64 v21, v[32:33], v[0:1] offset1:24
	s_wait_dscnt 0x2
	v_fma_f64 v[4:5], -v[0:1], v[28:29], v[4:5]
	v_div_fixup_f64 v[2:3], v[6:7], v[24:25], v[2:3]
	s_delay_alu instid0(VALU_DEP_1) | instskip(SKIP_1) | instid1(VALU_DEP_1)
	v_fma_f64 v[4:5], -v[2:3], v[26:27], v[4:5]
	s_wait_dscnt 0x1
	v_div_scale_f64 v[6:7], null, v[30:31], v[30:31], v[4:5]
	s_delay_alu instid0(VALU_DEP_1) | instskip(SKIP_1) | instid1(TRANS32_DEP_1)
	v_rcp_f64_e32 v[24:25], v[6:7]
	v_nop
	v_fma_f64 v[26:27], -v[6:7], v[24:25], 1.0
	s_delay_alu instid0(VALU_DEP_1) | instskip(NEXT) | instid1(VALU_DEP_1)
	v_fmac_f64_e32 v[24:25], v[24:25], v[26:27]
	v_fma_f64 v[26:27], -v[6:7], v[24:25], 1.0
	s_delay_alu instid0(VALU_DEP_1) | instskip(SKIP_1) | instid1(VALU_DEP_1)
	v_fmac_f64_e32 v[24:25], v[24:25], v[26:27]
	v_div_scale_f64 v[26:27], vcc_lo, v[4:5], v[30:31], v[4:5]
	v_mul_f64_e32 v[28:29], v[26:27], v[24:25]
	s_delay_alu instid0(VALU_DEP_1) | instskip(NEXT) | instid1(VALU_DEP_1)
	v_fma_f64 v[6:7], -v[6:7], v[28:29], v[26:27]
	v_div_fmas_f64 v[6:7], v[6:7], v[24:25], v[28:29]
	s_delay_alu instid0(VALU_DEP_1)
	v_div_fixup_f64 v[4:5], v[6:7], v[30:31], v[4:5]
	ds_store_b64 v21, v[2:3] offset:384
	ds_store_b64 v22, v[4:5]
	s_cbranch_scc1 .LBB96_20
; %bb.19:                               ;   in Loop: Header=BB96_16 Depth=2
	s_mov_b32 s28, s29
	s_branch .LBB96_16
.LBB96_20:                              ;   in Loop: Header=BB96_3 Depth=1
	s_cmp_ge_i32 s29, s1
	s_cbranch_scc1 .LBB96_25
; %bb.21:                               ;   in Loop: Header=BB96_3 Depth=1
	s_lshl_b32 s27, s29, 3
	s_branch .LBB96_23
.LBB96_22:                              ;   in Loop: Header=BB96_23 Depth=2
	s_lshl_b32 s30, s29, 3
	s_add_co_i32 s29, s29, 1
	s_add_co_i32 s28, s30, s28
	;; [unrolled: 1-line block ×3, first 2 shown]
	v_mov_b32_e32 v3, s28
	s_cmp_ge_i32 s29, s1
	ds_load_b64 v[4:5], v3
	s_wait_dscnt 0x0
	v_div_scale_f64 v[6:7], null, v[4:5], v[4:5], v[0:1]
	s_delay_alu instid0(VALU_DEP_1) | instskip(SKIP_1) | instid1(TRANS32_DEP_1)
	v_rcp_f64_e32 v[22:23], v[6:7]
	v_nop
	v_fma_f64 v[24:25], -v[6:7], v[22:23], 1.0
	s_delay_alu instid0(VALU_DEP_1) | instskip(NEXT) | instid1(VALU_DEP_1)
	v_fmac_f64_e32 v[22:23], v[22:23], v[24:25]
	v_fma_f64 v[24:25], -v[6:7], v[22:23], 1.0
	s_delay_alu instid0(VALU_DEP_1) | instskip(SKIP_1) | instid1(VALU_DEP_1)
	v_fmac_f64_e32 v[22:23], v[22:23], v[24:25]
	v_div_scale_f64 v[24:25], vcc_lo, v[0:1], v[4:5], v[0:1]
	v_mul_f64_e32 v[26:27], v[24:25], v[22:23]
	s_delay_alu instid0(VALU_DEP_1) | instskip(NEXT) | instid1(VALU_DEP_1)
	v_fma_f64 v[6:7], -v[6:7], v[26:27], v[24:25]
	v_div_fmas_f64 v[6:7], v[6:7], v[22:23], v[26:27]
	s_delay_alu instid0(VALU_DEP_1)
	v_div_fixup_f64 v[0:1], v[6:7], v[4:5], v[0:1]
	ds_store_b64 v2, v[0:1]
	s_cbranch_scc1 .LBB96_25
.LBB96_23:                              ;   Parent Loop BB96_3 Depth=1
                                        ; =>  This Loop Header: Depth=2
                                        ;       Child Loop BB96_24 Depth 3
	s_mul_i32 s28, s29, 0xc0
	s_cmp_eq_u32 s29, 0
	v_dual_mov_b32 v3, v18 :: v_dual_add_nc_u32 v2, s28, v18
	s_mov_b32 s30, s27
	s_mov_b32 s31, s29
	ds_load_b64 v[0:1], v2
	s_cbranch_scc1 .LBB96_22
.LBB96_24:                              ;   Parent Loop BB96_3 Depth=1
                                        ;     Parent Loop BB96_23 Depth=2
                                        ; =>    This Inner Loop Header: Depth=3
	v_mov_b32_e32 v6, s30
	s_add_co_i32 s31, s31, -1
	s_addk_co_i32 s30, 0xc0
	s_cmp_eq_u32 s31, 0
	ds_load_b64 v[4:5], v3
	ds_load_b64 v[6:7], v6
	v_add_nc_u32_e32 v3, 0xc0, v3
	s_wait_dscnt 0x0
	v_fma_f64 v[0:1], -v[4:5], v[6:7], v[0:1]
	s_cbranch_scc0 .LBB96_24
	s_branch .LBB96_22
.LBB96_25:                              ;   in Loop: Header=BB96_3 Depth=1
	s_mov_b32 s27, 0
.LBB96_26:                              ;   in Loop: Header=BB96_3 Depth=1
	s_delay_alu instid0(SALU_CYCLE_1)
	s_and_b32 vcc_lo, exec_lo, s27
	s_cbranch_vccz .LBB96_46
; %bb.27:                               ;   in Loop: Header=BB96_3 Depth=1
	s_mov_b32 s29, s25
	s_and_not1_b32 vcc_lo, exec_lo, s22
	s_mov_b32 s27, s10
	s_mov_b32 s28, s25
	s_cbranch_vccnz .LBB96_33
.LBB96_28:                              ;   Parent Loop BB96_3 Depth=1
                                        ; =>  This Loop Header: Depth=2
                                        ;       Child Loop BB96_29 Depth 3
	s_mul_i32 s30, s28, 0xc0
	s_mov_b32 s31, s27
	s_add_co_i32 s29, s30, 0xfffffdc0
	s_delay_alu instid0(SALU_CYCLE_1) | instskip(SKIP_2) | instid1(VALU_DEP_1)
	v_dual_add_nc_u32 v21, s30, v18 :: v_dual_add_nc_u32 v24, s29, v18
	s_cmp_le_i32 s25, s28
	s_mov_b32 s33, s25
	v_dual_mov_b32 v25, v9 :: v_dual_add_nc_u32 v22, 0xffffff40, v21
	v_add_nc_u32_e32 v23, 0xfffffe80, v21
	ds_load_b64 v[6:7], v21
	ds_load_b64 v[4:5], v22
	;; [unrolled: 1-line block ×4, first 2 shown]
	s_cbranch_scc1 .LBB96_30
.LBB96_29:                              ;   Parent Loop BB96_3 Depth=1
                                        ;     Parent Loop BB96_28 Depth=2
                                        ; =>    This Inner Loop Header: Depth=3
	v_mov_b32_e32 v30, s31
	s_add_co_i32 s33, s33, -1
	s_addk_co_i32 s31, 0xff40
	s_cmp_le_i32 s33, s28
	ds_load_b64 v[34:35], v25
	ds_load_2addr_b64 v[26:29], v30 offset0:2 offset1:3
	ds_load_2addr_b64 v[30:33], v30 offset1:1
	v_add_nc_u32_e32 v25, 0xffffff40, v25
	s_wait_dscnt 0x1
	v_fma_f64 v[6:7], -v[34:35], v[28:29], v[6:7]
	v_fma_f64 v[4:5], -v[34:35], v[26:27], v[4:5]
	s_wait_dscnt 0x0
	v_fma_f64 v[2:3], -v[34:35], v[32:33], v[2:3]
	v_fma_f64 v[0:1], -v[34:35], v[30:31], v[0:1]
	s_cbranch_scc0 .LBB96_29
.LBB96_30:                              ;   in Loop: Header=BB96_28 Depth=2
	s_add_co_i32 s31, s28, -3
; %bb.31:                               ;   in Loop: Header=BB96_28 Depth=2
	s_lshl_b32 s33, s28, 3
	s_lshl_b32 s31, s31, 3
	s_add_co_i32 s34, s33, s30
	s_add_co_i32 s30, s30, s31
	s_add_co_i32 s35, s34, -8
	s_add_co_i32 s31, s30, 0xffffff40
	v_mov_b32_e32 v25, s35
	s_add_co_i32 s35, s34, 0xffffff38
	s_sub_co_i32 s34, s34, 24
	s_addk_co_i32 s30, 0xfe80
	s_add_co_i32 s33, s33, s29
	ds_load_2addr_b64 v[26:29], v25 offset1:1
	s_sub_co_i32 s29, s33, 24
	s_sub_co_i32 s27, s27, 32
	s_wait_dscnt 0x0
	v_div_scale_f64 v[32:33], null, v[28:29], v[28:29], v[6:7]
	v_div_scale_f64 v[38:39], vcc_lo, v[6:7], v[28:29], v[6:7]
	s_delay_alu instid0(VALU_DEP_2) | instskip(SKIP_1) | instid1(TRANS32_DEP_1)
	v_rcp_f64_e32 v[34:35], v[32:33]
	v_nop
	v_fma_f64 v[36:37], -v[32:33], v[34:35], 1.0
	s_delay_alu instid0(VALU_DEP_1) | instskip(NEXT) | instid1(VALU_DEP_1)
	v_fmac_f64_e32 v[34:35], v[34:35], v[36:37]
	v_fma_f64 v[36:37], -v[32:33], v[34:35], 1.0
	s_delay_alu instid0(VALU_DEP_1) | instskip(NEXT) | instid1(VALU_DEP_1)
	v_fmac_f64_e32 v[34:35], v[34:35], v[36:37]
	v_dual_mul_f64 v[36:37], v[38:39], v[34:35] :: v_dual_mov_b32 v25, s35
	s_delay_alu instid0(VALU_DEP_1) | instskip(SKIP_3) | instid1(VALU_DEP_1)
	v_fma_f64 v[32:33], -v[32:33], v[36:37], v[38:39]
	ds_load_b64 v[30:31], v25
	v_mov_b32_e32 v25, s31
	v_div_fmas_f64 v[32:33], v[32:33], v[34:35], v[36:37]
	v_div_fixup_f64 v[32:33], v[32:33], v[28:29], v[6:7]
	s_delay_alu instid0(VALU_DEP_1) | instskip(SKIP_1) | instid1(VALU_DEP_1)
	v_fma_f64 v[34:35], -v[32:33], v[26:27], v[4:5]
	s_wait_dscnt 0x0
	v_div_scale_f64 v[4:5], null, v[30:31], v[30:31], v[34:35]
	v_div_scale_f64 v[28:29], vcc_lo, v[34:35], v[30:31], v[34:35]
	s_delay_alu instid0(VALU_DEP_2) | instskip(SKIP_1) | instid1(TRANS32_DEP_1)
	v_rcp_f64_e32 v[6:7], v[4:5]
	v_nop
	v_fma_f64 v[26:27], -v[4:5], v[6:7], 1.0
	s_delay_alu instid0(VALU_DEP_1) | instskip(NEXT) | instid1(VALU_DEP_1)
	v_fmac_f64_e32 v[6:7], v[6:7], v[26:27]
	v_fma_f64 v[26:27], -v[4:5], v[6:7], 1.0
	s_delay_alu instid0(VALU_DEP_1) | instskip(NEXT) | instid1(VALU_DEP_1)
	v_fmac_f64_e32 v[6:7], v[6:7], v[26:27]
	v_mul_f64_e32 v[26:27], v[28:29], v[6:7]
	s_delay_alu instid0(VALU_DEP_1) | instskip(NEXT) | instid1(VALU_DEP_1)
	v_fma_f64 v[4:5], -v[4:5], v[26:27], v[28:29]
	v_div_fmas_f64 v[36:37], v[4:5], v[6:7], v[26:27]
	v_mov_b32_e32 v4, s34
	ds_load_2addr_b64 v[26:29], v25 offset1:1
	v_mov_b32_e32 v25, s30
	ds_load_2addr_b64 v[4:7], v4 offset1:1
	s_wait_dscnt 0x0
	v_fma_f64 v[2:3], -v[32:33], v[6:7], v[2:3]
	v_fma_f64 v[0:1], -v[32:33], v[4:5], v[0:1]
	v_div_fixup_f64 v[6:7], v[36:37], v[30:31], v[34:35]
	s_delay_alu instid0(VALU_DEP_1)
	v_fma_f64 v[2:3], -v[6:7], v[28:29], v[2:3]
	ds_load_2addr_b64 v[28:31], v25 offset1:1
	v_dual_fma_f64 v[0:1], -v[6:7], v[26:27], v[0:1] :: v_dual_mov_b32 v25, s29
	s_add_co_i32 s29, s28, -4
	s_cmp_lt_i32 s28, 7
	ds_load_b64 v[34:35], v25
	s_wait_dscnt 0x1
	v_div_scale_f64 v[36:37], null, v[30:31], v[30:31], v[2:3]
	v_div_scale_f64 v[42:43], vcc_lo, v[2:3], v[30:31], v[2:3]
	s_delay_alu instid0(VALU_DEP_2) | instskip(SKIP_1) | instid1(TRANS32_DEP_1)
	v_rcp_f64_e32 v[38:39], v[36:37]
	v_nop
	v_fma_f64 v[40:41], -v[36:37], v[38:39], 1.0
	s_delay_alu instid0(VALU_DEP_1) | instskip(NEXT) | instid1(VALU_DEP_1)
	v_fmac_f64_e32 v[38:39], v[38:39], v[40:41]
	v_fma_f64 v[40:41], -v[36:37], v[38:39], 1.0
	s_delay_alu instid0(VALU_DEP_1) | instskip(NEXT) | instid1(VALU_DEP_1)
	v_fmac_f64_e32 v[38:39], v[38:39], v[40:41]
	v_mul_f64_e32 v[40:41], v[42:43], v[38:39]
	s_delay_alu instid0(VALU_DEP_1) | instskip(NEXT) | instid1(VALU_DEP_1)
	v_fma_f64 v[36:37], -v[36:37], v[40:41], v[42:43]
	v_div_fmas_f64 v[4:5], v[36:37], v[38:39], v[40:41]
	s_delay_alu instid0(VALU_DEP_1) | instskip(NEXT) | instid1(VALU_DEP_1)
	v_div_fixup_f64 v[2:3], v[4:5], v[30:31], v[2:3]
	v_fma_f64 v[0:1], -v[2:3], v[28:29], v[0:1]
	s_wait_dscnt 0x0
	s_delay_alu instid0(VALU_DEP_1) | instskip(NEXT) | instid1(VALU_DEP_1)
	v_div_scale_f64 v[4:5], null, v[34:35], v[34:35], v[0:1]
	v_rcp_f64_e32 v[26:27], v[4:5]
	v_nop
	s_delay_alu instid0(TRANS32_DEP_1) | instskip(NEXT) | instid1(VALU_DEP_1)
	v_fma_f64 v[28:29], -v[4:5], v[26:27], 1.0
	v_fmac_f64_e32 v[26:27], v[26:27], v[28:29]
	s_delay_alu instid0(VALU_DEP_1) | instskip(NEXT) | instid1(VALU_DEP_1)
	v_fma_f64 v[28:29], -v[4:5], v[26:27], 1.0
	v_fmac_f64_e32 v[26:27], v[26:27], v[28:29]
	v_div_scale_f64 v[28:29], vcc_lo, v[0:1], v[34:35], v[0:1]
	s_delay_alu instid0(VALU_DEP_1) | instskip(NEXT) | instid1(VALU_DEP_1)
	v_mul_f64_e32 v[30:31], v[28:29], v[26:27]
	v_fma_f64 v[4:5], -v[4:5], v[30:31], v[28:29]
	s_delay_alu instid0(VALU_DEP_1) | instskip(NEXT) | instid1(VALU_DEP_1)
	v_div_fmas_f64 v[4:5], v[4:5], v[26:27], v[30:31]
	v_div_fixup_f64 v[0:1], v[4:5], v[34:35], v[0:1]
	ds_store_b64 v21, v[32:33]
	ds_store_b64 v22, v[6:7]
	;; [unrolled: 1-line block ×4, first 2 shown]
	s_cbranch_scc1 .LBB96_33
; %bb.32:                               ;   in Loop: Header=BB96_28 Depth=2
	s_mov_b32 s28, s29
	s_branch .LBB96_28
.LBB96_33:                              ;   in Loop: Header=BB96_3 Depth=1
	s_cmp_lt_i32 s29, 0
	s_cbranch_scc1 .LBB96_46
; %bb.34:                               ;   in Loop: Header=BB96_3 Depth=1
	s_bitcmp1_b32 s29, 0
	s_cselect_b32 s27, -1, 0
	s_delay_alu instid0(SALU_CYCLE_1)
	s_and_b32 vcc_lo, exec_lo, s27
	s_mov_b32 s27, s29
	s_cbranch_vccnz .LBB96_39
; %bb.35:                               ;   in Loop: Header=BB96_3 Depth=1
	s_mul_i32 s27, s29, 0xc0
	s_cmp_le_i32 s25, s29
	v_add_nc_u32_e32 v2, s27, v18
	ds_load_b64 v[0:1], v2
	s_cbranch_scc1 .LBB96_38
; %bb.36:                               ;   in Loop: Header=BB96_3 Depth=1
	v_mov_b32_e32 v3, v9
	s_lshl_b32 s28, s29, 3
	s_mov_b32 s30, s25
	s_add_co_i32 s28, s11, s28
.LBB96_37:                              ;   Parent Loop BB96_3 Depth=1
                                        ; =>  This Inner Loop Header: Depth=2
	s_delay_alu instid0(SALU_CYCLE_1)
	v_mov_b32_e32 v6, s28
	s_add_co_i32 s30, s30, -1
	s_addk_co_i32 s28, 0xff40
	s_cmp_gt_i32 s30, s29
	ds_load_b64 v[4:5], v3
	ds_load_b64 v[6:7], v6
	v_add_nc_u32_e32 v3, 0xffffff40, v3
	s_wait_dscnt 0x0
	v_fma_f64 v[0:1], -v[4:5], v[6:7], v[0:1]
	s_cbranch_scc1 .LBB96_37
.LBB96_38:                              ;   in Loop: Header=BB96_3 Depth=1
	s_lshl_b32 s28, s29, 3
	s_delay_alu instid0(SALU_CYCLE_1) | instskip(NEXT) | instid1(SALU_CYCLE_1)
	s_add_co_i32 s27, s28, s27
	v_mov_b32_e32 v3, s27
	s_add_co_i32 s27, s29, -1
	ds_load_b64 v[4:5], v3
	s_wait_dscnt 0x0
	v_div_scale_f64 v[6:7], null, v[4:5], v[4:5], v[0:1]
	s_delay_alu instid0(VALU_DEP_1) | instskip(SKIP_1) | instid1(TRANS32_DEP_1)
	v_rcp_f64_e32 v[22:23], v[6:7]
	v_nop
	v_fma_f64 v[24:25], -v[6:7], v[22:23], 1.0
	s_delay_alu instid0(VALU_DEP_1) | instskip(NEXT) | instid1(VALU_DEP_1)
	v_fmac_f64_e32 v[22:23], v[22:23], v[24:25]
	v_fma_f64 v[24:25], -v[6:7], v[22:23], 1.0
	s_delay_alu instid0(VALU_DEP_1) | instskip(SKIP_1) | instid1(VALU_DEP_1)
	v_fmac_f64_e32 v[22:23], v[22:23], v[24:25]
	v_div_scale_f64 v[24:25], vcc_lo, v[0:1], v[4:5], v[0:1]
	v_mul_f64_e32 v[26:27], v[24:25], v[22:23]
	s_delay_alu instid0(VALU_DEP_1) | instskip(NEXT) | instid1(VALU_DEP_1)
	v_fma_f64 v[6:7], -v[6:7], v[26:27], v[24:25]
	v_div_fmas_f64 v[6:7], v[6:7], v[22:23], v[26:27]
	s_delay_alu instid0(VALU_DEP_1)
	v_div_fixup_f64 v[0:1], v[6:7], v[4:5], v[0:1]
	ds_store_b64 v2, v[0:1]
.LBB96_39:                              ;   in Loop: Header=BB96_3 Depth=1
	s_cmp_eq_u32 s29, 0
	s_cbranch_scc1 .LBB96_46
; %bb.40:                               ;   in Loop: Header=BB96_3 Depth=1
	s_lshl_b32 s29, s27, 3
	s_delay_alu instid0(SALU_CYCLE_1)
	s_add_co_i32 s28, s11, s29
	s_add_co_i32 s29, s16, s29
	s_branch .LBB96_42
.LBB96_41:                              ;   in Loop: Header=BB96_42 Depth=2
	s_addk_co_i32 s30, 0xff38
	s_add_co_i32 s28, s28, -16
	v_mov_b32_e32 v0, s30
	s_add_co_i32 s30, s27, -2
	s_add_co_i32 s29, s29, -16
	s_cmp_lt_i32 s27, 2
	s_mov_b32 s27, s30
	ds_load_b64 v[0:1], v0
	s_wait_dscnt 0x0
	v_div_scale_f64 v[6:7], null, v[0:1], v[0:1], v[2:3]
	s_delay_alu instid0(VALU_DEP_1) | instskip(SKIP_1) | instid1(TRANS32_DEP_1)
	v_rcp_f64_e32 v[22:23], v[6:7]
	v_nop
	v_fma_f64 v[24:25], -v[6:7], v[22:23], 1.0
	s_delay_alu instid0(VALU_DEP_1) | instskip(NEXT) | instid1(VALU_DEP_1)
	v_fmac_f64_e32 v[22:23], v[22:23], v[24:25]
	v_fma_f64 v[24:25], -v[6:7], v[22:23], 1.0
	s_delay_alu instid0(VALU_DEP_1) | instskip(SKIP_1) | instid1(VALU_DEP_1)
	v_fmac_f64_e32 v[22:23], v[22:23], v[24:25]
	v_div_scale_f64 v[24:25], vcc_lo, v[2:3], v[0:1], v[2:3]
	v_mul_f64_e32 v[26:27], v[24:25], v[22:23]
	s_delay_alu instid0(VALU_DEP_1) | instskip(NEXT) | instid1(VALU_DEP_1)
	v_fma_f64 v[6:7], -v[6:7], v[26:27], v[24:25]
	v_div_fmas_f64 v[6:7], v[6:7], v[22:23], v[26:27]
	s_delay_alu instid0(VALU_DEP_1)
	v_div_fixup_f64 v[0:1], v[6:7], v[0:1], v[2:3]
	ds_store_b64 v5, v[0:1]
	s_cbranch_scc1 .LBB96_46
.LBB96_42:                              ;   Parent Loop BB96_3 Depth=1
                                        ; =>  This Loop Header: Depth=2
                                        ;       Child Loop BB96_43 Depth 3
                                        ;       Child Loop BB96_45 Depth 3
	s_mul_i32 s31, s27, 0xc0
	s_cmp_le_i32 s25, s27
	v_dual_add_nc_u32 v4, s31, v18 :: v_dual_mov_b32 v2, v9
	s_mov_b32 s30, s28
	s_mov_b32 s33, s25
	ds_load_b64 v[0:1], v4
	s_cbranch_scc1 .LBB96_44
.LBB96_43:                              ;   Parent Loop BB96_3 Depth=1
                                        ;     Parent Loop BB96_42 Depth=2
                                        ; =>    This Inner Loop Header: Depth=3
	v_mov_b32_e32 v3, s30
	s_add_co_i32 s33, s33, -1
	s_addk_co_i32 s30, 0xff40
	s_cmp_le_i32 s33, s27
	ds_load_b64 v[6:7], v2
	ds_load_b64 v[22:23], v3
	v_add_nc_u32_e32 v2, 0xffffff40, v2
	s_wait_dscnt 0x0
	v_fma_f64 v[0:1], -v[6:7], v[22:23], v[0:1]
	s_cbranch_scc0 .LBB96_43
.LBB96_44:                              ;   in Loop: Header=BB96_42 Depth=2
	s_lshl_b32 s30, s27, 3
	s_mov_b32 s33, s1
	s_add_co_i32 s30, s30, s31
	s_addk_co_i32 s31, 0xff40
	s_delay_alu instid0(SALU_CYCLE_1)
	v_dual_mov_b32 v2, s30 :: v_dual_add_nc_u32 v5, s31, v18
	s_cmp_le_i32 s1, s27
	s_mov_b32 s31, s29
	ds_load_b64 v[6:7], v2
	ds_load_b64 v[2:3], v5
	s_wait_dscnt 0x1
	v_div_scale_f64 v[22:23], null, v[6:7], v[6:7], v[0:1]
	s_delay_alu instid0(VALU_DEP_1) | instskip(SKIP_1) | instid1(TRANS32_DEP_1)
	v_rcp_f64_e32 v[24:25], v[22:23]
	v_nop
	v_fma_f64 v[26:27], -v[22:23], v[24:25], 1.0
	s_delay_alu instid0(VALU_DEP_1) | instskip(NEXT) | instid1(VALU_DEP_1)
	v_fmac_f64_e32 v[24:25], v[24:25], v[26:27]
	v_fma_f64 v[26:27], -v[22:23], v[24:25], 1.0
	s_delay_alu instid0(VALU_DEP_1) | instskip(SKIP_1) | instid1(VALU_DEP_1)
	v_fmac_f64_e32 v[24:25], v[24:25], v[26:27]
	v_div_scale_f64 v[26:27], vcc_lo, v[0:1], v[6:7], v[0:1]
	v_mul_f64_e32 v[28:29], v[26:27], v[24:25]
	s_delay_alu instid0(VALU_DEP_1) | instskip(NEXT) | instid1(VALU_DEP_1)
	v_fma_f64 v[22:23], -v[22:23], v[28:29], v[26:27]
	v_div_fmas_f64 v[22:23], v[22:23], v[24:25], v[28:29]
	s_delay_alu instid0(VALU_DEP_1)
	v_div_fixup_f64 v[6:7], v[22:23], v[6:7], v[0:1]
	v_mov_b32_e32 v0, v9
	ds_store_b64 v4, v[6:7]
	s_cbranch_scc1 .LBB96_41
.LBB96_45:                              ;   Parent Loop BB96_3 Depth=1
                                        ;     Parent Loop BB96_42 Depth=2
                                        ; =>    This Inner Loop Header: Depth=3
	v_mov_b32_e32 v1, s31
	s_add_co_i32 s33, s33, -1
	s_addk_co_i32 s31, 0xff40
	s_cmp_gt_i32 s33, s27
	ds_load_b64 v[6:7], v0
	ds_load_b64 v[22:23], v1
	v_add_nc_u32_e32 v0, 0xffffff40, v0
	s_wait_dscnt 0x0
	v_fma_f64 v[2:3], -v[6:7], v[22:23], v[2:3]
	s_cbranch_scc1 .LBB96_45
	s_branch .LBB96_41
.LBB96_46:                              ;   in Loop: Header=BB96_3 Depth=1
	s_mov_b32 s27, 0
.LBB96_47:                              ;   in Loop: Header=BB96_3 Depth=1
	s_delay_alu instid0(SALU_CYCLE_1)
	s_and_not1_b32 vcc_lo, exec_lo, s27
	s_cbranch_vccnz .LBB96_66
; %bb.48:                               ;   in Loop: Header=BB96_3 Depth=1
	s_mov_b32 s29, s25
	s_and_not1_b32 vcc_lo, exec_lo, s22
	s_mov_b32 s27, s17
	s_mov_b32 s28, s25
	s_cbranch_vccnz .LBB96_53
.LBB96_49:                              ;   Parent Loop BB96_3 Depth=1
                                        ; =>  This Loop Header: Depth=2
                                        ;       Child Loop BB96_50 Depth 3
	s_mul_i32 s29, s28, 24
	s_cmp_le_i32 s25, s28
	v_lshl_add_u32 v21, s29, 3, v18
	s_mov_b32 s30, s27
	s_mov_b32 s31, s25
	s_delay_alu instid0(VALU_DEP_1)
	v_dual_mov_b32 v25, v9 :: v_dual_add_nc_u32 v22, 0xffffff40, v21
	v_add_nc_u32_e32 v23, 0xfffffe80, v21
	v_add_nc_u32_e32 v24, 0xfffffdc0, v21
	ds_load_b64 v[6:7], v21
	ds_load_b64 v[4:5], v22
	;; [unrolled: 1-line block ×4, first 2 shown]
	s_cbranch_scc1 .LBB96_51
.LBB96_50:                              ;   Parent Loop BB96_3 Depth=1
                                        ;     Parent Loop BB96_49 Depth=2
                                        ; =>    This Inner Loop Header: Depth=3
	v_mov_b32_e32 v30, s30
	s_add_co_i32 s31, s31, -1
	s_add_co_i32 s30, s30, -8
	s_cmp_le_i32 s31, s28
	ds_load_b64 v[34:35], v25
	ds_load_2addr_b64 v[26:29], v30 offset0:48 offset1:72
	ds_load_2addr_b64 v[30:33], v30 offset1:24
	v_add_nc_u32_e32 v25, 0xffffff40, v25
	s_wait_dscnt 0x1
	v_fma_f64 v[6:7], -v[34:35], v[28:29], v[6:7]
	v_fma_f64 v[4:5], -v[34:35], v[26:27], v[4:5]
	s_wait_dscnt 0x0
	v_fma_f64 v[2:3], -v[34:35], v[32:33], v[2:3]
	v_fma_f64 v[0:1], -v[34:35], v[30:31], v[0:1]
	s_cbranch_scc0 .LBB96_50
.LBB96_51:                              ;   in Loop: Header=BB96_49 Depth=2
	s_mul_i32 s30, s28, 0xc8
	s_lshl_b32 s29, s29, 3
	v_mov_b32_e32 v25, s30
	s_lshl_b32 s30, s28, 3
	s_addk_co_i32 s27, 0xfd00
	s_add_co_i32 s29, s29, s30
	s_delay_alu instid0(SALU_CYCLE_1) | instskip(SKIP_4) | instid1(VALU_DEP_2)
	s_add_co_i32 s30, s29, 0xffffff38
	ds_load_b64 v[30:31], v25
	s_wait_dscnt 0x0
	v_div_scale_f64 v[32:33], null, v[30:31], v[30:31], v[6:7]
	v_div_scale_f64 v[38:39], vcc_lo, v[6:7], v[30:31], v[6:7]
	v_rcp_f64_e32 v[34:35], v[32:33]
	v_nop
	s_delay_alu instid0(TRANS32_DEP_1) | instskip(NEXT) | instid1(VALU_DEP_1)
	v_fma_f64 v[36:37], -v[32:33], v[34:35], 1.0
	v_fmac_f64_e32 v[34:35], v[34:35], v[36:37]
	s_delay_alu instid0(VALU_DEP_1) | instskip(NEXT) | instid1(VALU_DEP_1)
	v_fma_f64 v[36:37], -v[32:33], v[34:35], 1.0
	v_fmac_f64_e32 v[34:35], v[34:35], v[36:37]
	s_delay_alu instid0(VALU_DEP_1) | instskip(SKIP_1) | instid1(VALU_DEP_1)
	v_dual_mul_f64 v[36:37], v[38:39], v[34:35] :: v_dual_mov_b32 v25, s30
	s_add_co_i32 s30, s29, 0xfffffe80
	v_fma_f64 v[32:33], -v[32:33], v[36:37], v[38:39]
	ds_load_2addr_b64 v[26:29], v25 offset1:1
	v_div_fmas_f64 v[32:33], v[32:33], v[34:35], v[36:37]
	s_delay_alu instid0(VALU_DEP_1) | instskip(SKIP_1) | instid1(VALU_DEP_1)
	v_div_fixup_f64 v[34:35], v[32:33], v[30:31], v[6:7]
	s_wait_dscnt 0x0
	v_fma_f64 v[28:29], -v[34:35], v[28:29], v[4:5]
	s_delay_alu instid0(VALU_DEP_1) | instskip(SKIP_1) | instid1(VALU_DEP_2)
	v_div_scale_f64 v[4:5], null, v[26:27], v[26:27], v[28:29]
	v_div_scale_f64 v[32:33], vcc_lo, v[28:29], v[26:27], v[28:29]
	v_rcp_f64_e32 v[6:7], v[4:5]
	v_nop
	s_delay_alu instid0(TRANS32_DEP_1) | instskip(NEXT) | instid1(VALU_DEP_1)
	v_fma_f64 v[30:31], -v[4:5], v[6:7], 1.0
	v_fmac_f64_e32 v[6:7], v[6:7], v[30:31]
	s_delay_alu instid0(VALU_DEP_1) | instskip(NEXT) | instid1(VALU_DEP_1)
	v_fma_f64 v[30:31], -v[4:5], v[6:7], 1.0
	v_fmac_f64_e32 v[6:7], v[6:7], v[30:31]
	s_delay_alu instid0(VALU_DEP_1) | instskip(NEXT) | instid1(VALU_DEP_1)
	v_mul_f64_e32 v[30:31], v[32:33], v[6:7]
	v_fma_f64 v[4:5], -v[4:5], v[30:31], v[32:33]
	s_delay_alu instid0(VALU_DEP_1)
	v_div_fmas_f64 v[30:31], v[4:5], v[6:7], v[30:31]
	v_mov_b32_e32 v4, s30
	s_add_co_i32 s30, s29, 0xfffffe70
	ds_load_b64 v[32:33], v4
	v_mov_b32_e32 v4, s30
	s_add_co_i32 s30, s29, 0xfffffdb8
	s_addk_co_i32 s29, 0xfda8
	v_mov_b32_e32 v25, s30
	ds_load_2addr_b64 v[4:7], v4 offset1:1
	s_wait_dscnt 0x1
	v_fma_f64 v[2:3], -v[34:35], v[32:33], v[2:3]
	v_div_fixup_f64 v[36:37], v[30:31], v[26:27], v[28:29]
	s_wait_dscnt 0x0
	s_delay_alu instid0(VALU_DEP_1) | instskip(NEXT) | instid1(VALU_DEP_1)
	v_fma_f64 v[2:3], -v[36:37], v[6:7], v[2:3]
	v_div_scale_f64 v[6:7], null, v[4:5], v[4:5], v[2:3]
	v_div_scale_f64 v[28:29], vcc_lo, v[2:3], v[4:5], v[2:3]
	s_delay_alu instid0(VALU_DEP_2) | instskip(SKIP_1) | instid1(TRANS32_DEP_1)
	v_rcp_f64_e32 v[38:39], v[6:7]
	v_nop
	v_fma_f64 v[26:27], -v[6:7], v[38:39], 1.0
	s_delay_alu instid0(VALU_DEP_1) | instskip(NEXT) | instid1(VALU_DEP_1)
	v_fmac_f64_e32 v[38:39], v[38:39], v[26:27]
	v_fma_f64 v[26:27], -v[6:7], v[38:39], 1.0
	s_delay_alu instid0(VALU_DEP_1) | instskip(NEXT) | instid1(VALU_DEP_1)
	v_fmac_f64_e32 v[38:39], v[38:39], v[26:27]
	v_mul_f64_e32 v[40:41], v[28:29], v[38:39]
	s_delay_alu instid0(VALU_DEP_1)
	v_fma_f64 v[6:7], -v[6:7], v[40:41], v[28:29]
	ds_load_2addr_b64 v[26:29], v25 offset1:1
	v_mov_b32_e32 v25, s29
	s_add_co_i32 s29, s28, -4
	s_cmp_lt_i32 s28, 7
	ds_load_2addr_b64 v[30:33], v25 offset1:1
	s_wait_dscnt 0x1
	v_fma_f64 v[0:1], -v[34:35], v[28:29], v[0:1]
	v_div_fmas_f64 v[6:7], v[6:7], v[38:39], v[40:41]
	s_delay_alu instid0(VALU_DEP_2) | instskip(NEXT) | instid1(VALU_DEP_2)
	v_fma_f64 v[0:1], -v[36:37], v[26:27], v[0:1]
	v_div_fixup_f64 v[2:3], v[6:7], v[4:5], v[2:3]
	s_wait_dscnt 0x0
	s_delay_alu instid0(VALU_DEP_1) | instskip(NEXT) | instid1(VALU_DEP_1)
	v_fma_f64 v[0:1], -v[2:3], v[32:33], v[0:1]
	v_div_scale_f64 v[4:5], null, v[30:31], v[30:31], v[0:1]
	s_delay_alu instid0(VALU_DEP_1) | instskip(SKIP_1) | instid1(TRANS32_DEP_1)
	v_rcp_f64_e32 v[6:7], v[4:5]
	v_nop
	v_fma_f64 v[26:27], -v[4:5], v[6:7], 1.0
	s_delay_alu instid0(VALU_DEP_1) | instskip(NEXT) | instid1(VALU_DEP_1)
	v_fmac_f64_e32 v[6:7], v[6:7], v[26:27]
	v_fma_f64 v[26:27], -v[4:5], v[6:7], 1.0
	s_delay_alu instid0(VALU_DEP_1) | instskip(SKIP_1) | instid1(VALU_DEP_1)
	v_fmac_f64_e32 v[6:7], v[6:7], v[26:27]
	v_div_scale_f64 v[26:27], vcc_lo, v[0:1], v[30:31], v[0:1]
	v_mul_f64_e32 v[28:29], v[26:27], v[6:7]
	s_delay_alu instid0(VALU_DEP_1) | instskip(NEXT) | instid1(VALU_DEP_1)
	v_fma_f64 v[4:5], -v[4:5], v[28:29], v[26:27]
	v_div_fmas_f64 v[4:5], v[4:5], v[6:7], v[28:29]
	s_delay_alu instid0(VALU_DEP_1)
	v_div_fixup_f64 v[0:1], v[4:5], v[30:31], v[0:1]
	ds_store_b64 v21, v[34:35]
	ds_store_b64 v22, v[36:37]
	;; [unrolled: 1-line block ×4, first 2 shown]
	s_cbranch_scc1 .LBB96_53
; %bb.52:                               ;   in Loop: Header=BB96_49 Depth=2
	s_mov_b32 s28, s29
	s_branch .LBB96_49
.LBB96_53:                              ;   in Loop: Header=BB96_3 Depth=1
	s_cmp_lt_i32 s29, 0
	s_cbranch_scc1 .LBB96_66
; %bb.54:                               ;   in Loop: Header=BB96_3 Depth=1
	s_bitcmp1_b32 s29, 0
	s_cselect_b32 s27, -1, 0
	s_delay_alu instid0(SALU_CYCLE_1)
	s_and_b32 vcc_lo, exec_lo, s27
	s_mov_b32 s27, s29
	s_cbranch_vccnz .LBB96_59
; %bb.55:                               ;   in Loop: Header=BB96_3 Depth=1
	v_mad_u32 v2, 0xc0, s29, v18
	s_cmp_le_i32 s25, s29
	ds_load_b64 v[0:1], v2
	s_cbranch_scc1 .LBB96_58
; %bb.56:                               ;   in Loop: Header=BB96_3 Depth=1
	v_mov_b32_e32 v3, v9
	s_mul_i32 s27, s29, 0xc0
	s_mov_b32 s28, s25
	s_add_co_i32 s27, s20, s27
.LBB96_57:                              ;   Parent Loop BB96_3 Depth=1
                                        ; =>  This Inner Loop Header: Depth=2
	s_delay_alu instid0(SALU_CYCLE_1)
	v_mov_b32_e32 v6, s27
	s_add_co_i32 s28, s28, -1
	s_add_co_i32 s27, s27, -8
	s_cmp_gt_u32 s28, s29
	ds_load_b64 v[4:5], v3
	ds_load_b64 v[6:7], v6
	v_add_nc_u32_e32 v3, 0xffffff40, v3
	s_wait_dscnt 0x0
	v_fma_f64 v[0:1], -v[4:5], v[6:7], v[0:1]
	s_cbranch_scc1 .LBB96_57
.LBB96_58:                              ;   in Loop: Header=BB96_3 Depth=1
	s_mul_i32 s27, s29, 0xc8
	s_delay_alu instid0(SALU_CYCLE_1) | instskip(SKIP_4) | instid1(VALU_DEP_1)
	v_mov_b32_e32 v3, s27
	s_add_co_i32 s27, s29, -1
	ds_load_b64 v[4:5], v3
	s_wait_dscnt 0x0
	v_div_scale_f64 v[6:7], null, v[4:5], v[4:5], v[0:1]
	v_rcp_f64_e32 v[22:23], v[6:7]
	v_nop
	s_delay_alu instid0(TRANS32_DEP_1) | instskip(NEXT) | instid1(VALU_DEP_1)
	v_fma_f64 v[24:25], -v[6:7], v[22:23], 1.0
	v_fmac_f64_e32 v[22:23], v[22:23], v[24:25]
	s_delay_alu instid0(VALU_DEP_1) | instskip(NEXT) | instid1(VALU_DEP_1)
	v_fma_f64 v[24:25], -v[6:7], v[22:23], 1.0
	v_fmac_f64_e32 v[22:23], v[22:23], v[24:25]
	v_div_scale_f64 v[24:25], vcc_lo, v[0:1], v[4:5], v[0:1]
	s_delay_alu instid0(VALU_DEP_1) | instskip(NEXT) | instid1(VALU_DEP_1)
	v_mul_f64_e32 v[26:27], v[24:25], v[22:23]
	v_fma_f64 v[6:7], -v[6:7], v[26:27], v[24:25]
	s_delay_alu instid0(VALU_DEP_1) | instskip(NEXT) | instid1(VALU_DEP_1)
	v_div_fmas_f64 v[6:7], v[6:7], v[22:23], v[26:27]
	v_div_fixup_f64 v[0:1], v[6:7], v[4:5], v[0:1]
	ds_store_b64 v2, v[0:1]
.LBB96_59:                              ;   in Loop: Header=BB96_3 Depth=1
	s_cmp_eq_u32 s29, 0
	s_cbranch_scc1 .LBB96_66
; %bb.60:                               ;   in Loop: Header=BB96_3 Depth=1
	s_mul_i32 s29, s27, 0xc0
	s_delay_alu instid0(SALU_CYCLE_1)
	s_add_co_i32 s28, s20, s29
	s_add_co_i32 s29, s21, s29
	s_branch .LBB96_62
.LBB96_61:                              ;   in Loop: Header=BB96_62 Depth=2
	s_addk_co_i32 s30, 0xff38
	s_add_co_i32 s27, s27, -2
	v_mov_b32_e32 v0, s30
	s_addk_co_i32 s28, 0xfe80
	s_addk_co_i32 s29, 0xfe80
	s_cmp_eq_u32 s31, 0
	ds_load_b64 v[0:1], v0
	s_wait_dscnt 0x0
	v_div_scale_f64 v[6:7], null, v[0:1], v[0:1], v[2:3]
	s_delay_alu instid0(VALU_DEP_1) | instskip(SKIP_1) | instid1(TRANS32_DEP_1)
	v_rcp_f64_e32 v[22:23], v[6:7]
	v_nop
	v_fma_f64 v[24:25], -v[6:7], v[22:23], 1.0
	s_delay_alu instid0(VALU_DEP_1) | instskip(NEXT) | instid1(VALU_DEP_1)
	v_fmac_f64_e32 v[22:23], v[22:23], v[24:25]
	v_fma_f64 v[24:25], -v[6:7], v[22:23], 1.0
	s_delay_alu instid0(VALU_DEP_1) | instskip(SKIP_1) | instid1(VALU_DEP_1)
	v_fmac_f64_e32 v[22:23], v[22:23], v[24:25]
	v_div_scale_f64 v[24:25], vcc_lo, v[2:3], v[0:1], v[2:3]
	v_mul_f64_e32 v[26:27], v[24:25], v[22:23]
	s_delay_alu instid0(VALU_DEP_1) | instskip(NEXT) | instid1(VALU_DEP_1)
	v_fma_f64 v[6:7], -v[6:7], v[26:27], v[24:25]
	v_div_fmas_f64 v[6:7], v[6:7], v[22:23], v[26:27]
	s_delay_alu instid0(VALU_DEP_1)
	v_div_fixup_f64 v[0:1], v[6:7], v[0:1], v[2:3]
	ds_store_b64 v5, v[0:1]
	s_cbranch_scc1 .LBB96_66
.LBB96_62:                              ;   Parent Loop BB96_3 Depth=1
                                        ; =>  This Loop Header: Depth=2
                                        ;       Child Loop BB96_63 Depth 3
                                        ;       Child Loop BB96_65 Depth 3
	v_mad_u32 v4, 0xc0, s27, v18
	v_mov_b32_e32 v2, v9
	s_cmp_le_i32 s25, s27
	s_mov_b32 s30, s28
	s_mov_b32 s31, s25
	ds_load_b64 v[0:1], v4
	s_cbranch_scc1 .LBB96_64
.LBB96_63:                              ;   Parent Loop BB96_3 Depth=1
                                        ;     Parent Loop BB96_62 Depth=2
                                        ; =>    This Inner Loop Header: Depth=3
	v_mov_b32_e32 v3, s30
	s_add_co_i32 s31, s31, -1
	s_add_co_i32 s30, s30, -8
	s_cmp_le_u32 s31, s27
	ds_load_b64 v[6:7], v2
	ds_load_b64 v[22:23], v3
	v_add_nc_u32_e32 v2, 0xffffff40, v2
	s_wait_dscnt 0x0
	v_fma_f64 v[0:1], -v[6:7], v[22:23], v[0:1]
	s_cbranch_scc0 .LBB96_63
.LBB96_64:                              ;   in Loop: Header=BB96_62 Depth=2
	s_mul_i32 s30, s27, 0xc8
	s_add_co_i32 s31, s27, -1
	v_dual_mov_b32 v2, s30 :: v_dual_add_nc_u32 v5, 0xffffff40, v4
	s_cmp_le_i32 s1, s27
	s_mov_b32 s33, s29
	s_mov_b32 s34, s25
	ds_load_b64 v[6:7], v2
	ds_load_b64 v[2:3], v5
	s_wait_dscnt 0x1
	v_div_scale_f64 v[22:23], null, v[6:7], v[6:7], v[0:1]
	s_delay_alu instid0(VALU_DEP_1) | instskip(SKIP_1) | instid1(TRANS32_DEP_1)
	v_rcp_f64_e32 v[24:25], v[22:23]
	v_nop
	v_fma_f64 v[26:27], -v[22:23], v[24:25], 1.0
	s_delay_alu instid0(VALU_DEP_1) | instskip(NEXT) | instid1(VALU_DEP_1)
	v_fmac_f64_e32 v[24:25], v[24:25], v[26:27]
	v_fma_f64 v[26:27], -v[22:23], v[24:25], 1.0
	s_delay_alu instid0(VALU_DEP_1) | instskip(SKIP_1) | instid1(VALU_DEP_1)
	v_fmac_f64_e32 v[24:25], v[24:25], v[26:27]
	v_div_scale_f64 v[26:27], vcc_lo, v[0:1], v[6:7], v[0:1]
	v_mul_f64_e32 v[28:29], v[26:27], v[24:25]
	s_delay_alu instid0(VALU_DEP_1) | instskip(NEXT) | instid1(VALU_DEP_1)
	v_fma_f64 v[22:23], -v[22:23], v[28:29], v[26:27]
	v_div_fmas_f64 v[22:23], v[22:23], v[24:25], v[28:29]
	s_delay_alu instid0(VALU_DEP_1)
	v_div_fixup_f64 v[6:7], v[22:23], v[6:7], v[0:1]
	v_mov_b32_e32 v0, v9
	ds_store_b64 v4, v[6:7]
	s_cbranch_scc1 .LBB96_61
.LBB96_65:                              ;   Parent Loop BB96_3 Depth=1
                                        ;     Parent Loop BB96_62 Depth=2
                                        ; =>    This Inner Loop Header: Depth=3
	v_mov_b32_e32 v1, s33
	s_add_co_i32 s34, s34, -1
	s_add_co_i32 s33, s33, -8
	s_cmp_gt_u32 s34, s31
	ds_load_b64 v[6:7], v0
	ds_load_b64 v[22:23], v1
	v_add_nc_u32_e32 v0, 0xffffff40, v0
	s_wait_dscnt 0x0
	v_fma_f64 v[2:3], -v[6:7], v[22:23], v[2:3]
	s_cbranch_scc1 .LBB96_65
	s_branch .LBB96_61
.LBB96_66:                              ;   in Loop: Header=BB96_3 Depth=1
	s_mov_b32 s27, 0
.LBB96_67:                              ;   in Loop: Header=BB96_3 Depth=1
	s_delay_alu instid0(SALU_CYCLE_1)
	s_and_not1_b32 vcc_lo, exec_lo, s27
	s_cbranch_vccnz .LBB96_79
; %bb.68:                               ;   in Loop: Header=BB96_3 Depth=1
	s_and_not1_b32 vcc_lo, exec_lo, s22
	s_mov_b32 s29, 0
	s_cbranch_vccnz .LBB96_74
; %bb.69:                               ;   in Loop: Header=BB96_3 Depth=1
	s_mov_b32 s27, 0
	s_mov_b32 s28, 0
.LBB96_70:                              ;   Parent Loop BB96_3 Depth=1
                                        ; =>  This Loop Header: Depth=2
                                        ;       Child Loop BB96_71 Depth 3
	s_delay_alu instid0(SALU_CYCLE_1)
	s_mul_i32 s29, s28, 24
	v_mov_b32_e32 v22, v18
	v_lshl_add_u32 v21, s29, 3, v18
	s_cmp_eq_u32 s28, 0
	s_mov_b32 s30, s27
	s_mov_b32 s31, s28
	ds_load_2addr_b64 v[4:7], v21 offset1:24
	ds_load_2addr_b64 v[0:3], v21 offset0:48 offset1:72
	s_cbranch_scc1 .LBB96_72
.LBB96_71:                              ;   Parent Loop BB96_3 Depth=1
                                        ;     Parent Loop BB96_70 Depth=2
                                        ; =>    This Inner Loop Header: Depth=3
	v_mov_b32_e32 v23, s30
	s_add_co_i32 s31, s31, -1
	s_add_co_i32 s30, s30, 8
	s_cmp_eq_u32 s31, 0
	ds_load_b64 v[32:33], v22
	ds_load_2addr_b64 v[24:27], v23 offset1:24
	ds_load_2addr_b64 v[28:31], v23 offset0:48 offset1:72
	v_add_nc_u32_e32 v22, 0xc0, v22
	s_wait_dscnt 0x1
	v_fma_f64 v[4:5], -v[32:33], v[24:25], v[4:5]
	v_fma_f64 v[6:7], -v[32:33], v[26:27], v[6:7]
	s_wait_dscnt 0x0
	v_fma_f64 v[0:1], -v[32:33], v[28:29], v[0:1]
	v_fma_f64 v[2:3], -v[32:33], v[30:31], v[2:3]
	s_cbranch_scc0 .LBB96_71
.LBB96_72:                              ;   in Loop: Header=BB96_70 Depth=2
	s_mul_i32 s30, s28, 0xc8
	s_lshl_b32 s29, s29, 3
	v_mov_b32_e32 v22, s30
	s_lshl_b32 s30, s28, 3
	s_addk_co_i32 s27, 0x300
	s_add_co_i32 s29, s29, s30
	s_delay_alu instid0(SALU_CYCLE_1)
	v_mov_b32_e32 v38, s29
	ds_load_b64 v[26:27], v22
	s_add_co_i32 s29, s28, 4
	s_add_co_i32 s28, s28, 7
	ds_load_b128 v[22:25], v38 offset:192
	s_cmp_ge_i32 s28, s1
	s_wait_dscnt 0x1
	v_div_scale_f64 v[28:29], null, v[26:27], v[26:27], v[4:5]
	v_div_scale_f64 v[34:35], vcc_lo, v[4:5], v[26:27], v[4:5]
	s_delay_alu instid0(VALU_DEP_2) | instskip(SKIP_1) | instid1(TRANS32_DEP_1)
	v_rcp_f64_e32 v[30:31], v[28:29]
	v_nop
	v_fma_f64 v[32:33], -v[28:29], v[30:31], 1.0
	s_delay_alu instid0(VALU_DEP_1) | instskip(NEXT) | instid1(VALU_DEP_1)
	v_fmac_f64_e32 v[30:31], v[30:31], v[32:33]
	v_fma_f64 v[32:33], -v[28:29], v[30:31], 1.0
	s_delay_alu instid0(VALU_DEP_1) | instskip(NEXT) | instid1(VALU_DEP_1)
	v_fmac_f64_e32 v[30:31], v[30:31], v[32:33]
	v_mul_f64_e32 v[32:33], v[34:35], v[30:31]
	s_delay_alu instid0(VALU_DEP_1) | instskip(NEXT) | instid1(VALU_DEP_1)
	v_fma_f64 v[28:29], -v[28:29], v[32:33], v[34:35]
	v_div_fmas_f64 v[28:29], v[28:29], v[30:31], v[32:33]
	s_delay_alu instid0(VALU_DEP_1) | instskip(SKIP_1) | instid1(VALU_DEP_1)
	v_div_fixup_f64 v[26:27], v[28:29], v[26:27], v[4:5]
	s_wait_dscnt 0x0
	v_fma_f64 v[22:23], -v[26:27], v[22:23], v[6:7]
	s_delay_alu instid0(VALU_DEP_1) | instskip(SKIP_1) | instid1(VALU_DEP_2)
	v_div_scale_f64 v[4:5], null, v[24:25], v[24:25], v[22:23]
	v_div_scale_f64 v[30:31], vcc_lo, v[22:23], v[24:25], v[22:23]
	v_rcp_f64_e32 v[6:7], v[4:5]
	v_nop
	s_delay_alu instid0(TRANS32_DEP_1) | instskip(NEXT) | instid1(VALU_DEP_1)
	v_fma_f64 v[28:29], -v[4:5], v[6:7], 1.0
	v_fmac_f64_e32 v[6:7], v[6:7], v[28:29]
	s_delay_alu instid0(VALU_DEP_1) | instskip(NEXT) | instid1(VALU_DEP_1)
	v_fma_f64 v[28:29], -v[4:5], v[6:7], 1.0
	v_fmac_f64_e32 v[6:7], v[6:7], v[28:29]
	s_delay_alu instid0(VALU_DEP_1) | instskip(NEXT) | instid1(VALU_DEP_1)
	v_mul_f64_e32 v[28:29], v[30:31], v[6:7]
	v_fma_f64 v[4:5], -v[4:5], v[28:29], v[30:31]
	s_delay_alu instid0(VALU_DEP_1)
	v_div_fmas_f64 v[28:29], v[4:5], v[6:7], v[28:29]
	ds_load_b128 v[4:7], v38 offset:384
	ds_load_b64 v[30:31], v38 offset:400
	s_wait_dscnt 0x1
	v_fma_f64 v[0:1], -v[26:27], v[4:5], v[0:1]
	v_div_fixup_f64 v[28:29], v[28:29], v[24:25], v[22:23]
	s_delay_alu instid0(VALU_DEP_1) | instskip(SKIP_1) | instid1(VALU_DEP_1)
	v_fma_f64 v[0:1], -v[28:29], v[6:7], v[0:1]
	s_wait_dscnt 0x0
	v_div_scale_f64 v[4:5], null, v[30:31], v[30:31], v[0:1]
	v_div_scale_f64 v[22:23], vcc_lo, v[0:1], v[30:31], v[0:1]
	s_delay_alu instid0(VALU_DEP_2) | instskip(SKIP_1) | instid1(TRANS32_DEP_1)
	v_rcp_f64_e32 v[32:33], v[4:5]
	v_nop
	v_fma_f64 v[6:7], -v[4:5], v[32:33], 1.0
	s_delay_alu instid0(VALU_DEP_1) | instskip(NEXT) | instid1(VALU_DEP_1)
	v_fmac_f64_e32 v[32:33], v[32:33], v[6:7]
	v_fma_f64 v[6:7], -v[4:5], v[32:33], 1.0
	s_delay_alu instid0(VALU_DEP_1) | instskip(NEXT) | instid1(VALU_DEP_1)
	v_fmac_f64_e32 v[32:33], v[32:33], v[6:7]
	v_mul_f64_e32 v[34:35], v[22:23], v[32:33]
	s_delay_alu instid0(VALU_DEP_1)
	v_fma_f64 v[36:37], -v[4:5], v[34:35], v[22:23]
	ds_load_b128 v[4:7], v38 offset:576
	ds_load_b128 v[22:25], v38 offset:592
	s_wait_dscnt 0x1
	v_fma_f64 v[2:3], -v[26:27], v[4:5], v[2:3]
	v_div_fmas_f64 v[4:5], v[36:37], v[32:33], v[34:35]
	s_delay_alu instid0(VALU_DEP_2) | instskip(NEXT) | instid1(VALU_DEP_2)
	v_fma_f64 v[2:3], -v[28:29], v[6:7], v[2:3]
	v_div_fixup_f64 v[0:1], v[4:5], v[30:31], v[0:1]
	s_wait_dscnt 0x0
	s_delay_alu instid0(VALU_DEP_1) | instskip(NEXT) | instid1(VALU_DEP_1)
	v_fma_f64 v[2:3], -v[0:1], v[22:23], v[2:3]
	v_div_scale_f64 v[4:5], null, v[24:25], v[24:25], v[2:3]
	s_delay_alu instid0(VALU_DEP_1) | instskip(SKIP_1) | instid1(TRANS32_DEP_1)
	v_rcp_f64_e32 v[6:7], v[4:5]
	v_nop
	v_fma_f64 v[22:23], -v[4:5], v[6:7], 1.0
	s_delay_alu instid0(VALU_DEP_1) | instskip(NEXT) | instid1(VALU_DEP_1)
	v_fmac_f64_e32 v[6:7], v[6:7], v[22:23]
	v_fma_f64 v[22:23], -v[4:5], v[6:7], 1.0
	s_delay_alu instid0(VALU_DEP_1) | instskip(SKIP_1) | instid1(VALU_DEP_1)
	v_fmac_f64_e32 v[6:7], v[6:7], v[22:23]
	v_div_scale_f64 v[22:23], vcc_lo, v[2:3], v[24:25], v[2:3]
	v_mul_f64_e32 v[30:31], v[22:23], v[6:7]
	s_delay_alu instid0(VALU_DEP_1) | instskip(NEXT) | instid1(VALU_DEP_1)
	v_fma_f64 v[4:5], -v[4:5], v[30:31], v[22:23]
	v_div_fmas_f64 v[4:5], v[4:5], v[6:7], v[30:31]
	s_delay_alu instid0(VALU_DEP_1)
	v_div_fixup_f64 v[2:3], v[4:5], v[24:25], v[2:3]
	ds_store_2addr_b64 v21, v[26:27], v[28:29] offset1:24
	ds_store_2addr_b64 v21, v[0:1], v[2:3] offset0:48 offset1:72
	s_cbranch_scc1 .LBB96_74
; %bb.73:                               ;   in Loop: Header=BB96_70 Depth=2
	s_mov_b32 s28, s29
	s_branch .LBB96_70
.LBB96_74:                              ;   in Loop: Header=BB96_3 Depth=1
	s_cmp_ge_i32 s29, s1
	s_cbranch_scc1 .LBB96_79
; %bb.75:                               ;   in Loop: Header=BB96_3 Depth=1
	s_mul_i32 s27, s29, 0xc0
	s_branch .LBB96_77
.LBB96_76:                              ;   in Loop: Header=BB96_77 Depth=2
	s_mul_i32 s28, s29, 0xc8
	s_add_co_i32 s29, s29, 1
	v_mov_b32_e32 v3, s28
	s_addk_co_i32 s27, 0xc0
	s_cmp_ge_i32 s29, s1
	ds_load_b64 v[4:5], v3
	s_wait_dscnt 0x0
	v_div_scale_f64 v[6:7], null, v[4:5], v[4:5], v[0:1]
	s_delay_alu instid0(VALU_DEP_1) | instskip(SKIP_1) | instid1(TRANS32_DEP_1)
	v_rcp_f64_e32 v[22:23], v[6:7]
	v_nop
	v_fma_f64 v[24:25], -v[6:7], v[22:23], 1.0
	s_delay_alu instid0(VALU_DEP_1) | instskip(NEXT) | instid1(VALU_DEP_1)
	v_fmac_f64_e32 v[22:23], v[22:23], v[24:25]
	v_fma_f64 v[24:25], -v[6:7], v[22:23], 1.0
	s_delay_alu instid0(VALU_DEP_1) | instskip(SKIP_1) | instid1(VALU_DEP_1)
	v_fmac_f64_e32 v[22:23], v[22:23], v[24:25]
	v_div_scale_f64 v[24:25], vcc_lo, v[0:1], v[4:5], v[0:1]
	v_mul_f64_e32 v[26:27], v[24:25], v[22:23]
	s_delay_alu instid0(VALU_DEP_1) | instskip(NEXT) | instid1(VALU_DEP_1)
	v_fma_f64 v[6:7], -v[6:7], v[26:27], v[24:25]
	v_div_fmas_f64 v[6:7], v[6:7], v[22:23], v[26:27]
	s_delay_alu instid0(VALU_DEP_1)
	v_div_fixup_f64 v[0:1], v[6:7], v[4:5], v[0:1]
	ds_store_b64 v2, v[0:1]
	s_cbranch_scc1 .LBB96_79
.LBB96_77:                              ;   Parent Loop BB96_3 Depth=1
                                        ; =>  This Loop Header: Depth=2
                                        ;       Child Loop BB96_78 Depth 3
	v_mad_u32 v2, 0xc0, s29, v18
	v_mov_b32_e32 v3, v18
	s_cmp_eq_u32 s29, 0
	s_mov_b32 s28, s27
	s_mov_b32 s30, s29
	ds_load_b64 v[0:1], v2
	s_cbranch_scc1 .LBB96_76
.LBB96_78:                              ;   Parent Loop BB96_3 Depth=1
                                        ;     Parent Loop BB96_77 Depth=2
                                        ; =>    This Inner Loop Header: Depth=3
	v_mov_b32_e32 v6, s28
	s_add_co_i32 s30, s30, -1
	s_add_co_i32 s28, s28, 8
	s_cmp_eq_u32 s30, 0
	ds_load_b64 v[4:5], v3
	ds_load_b64 v[6:7], v6
	v_add_nc_u32_e32 v3, 0xc0, v3
	s_wait_dscnt 0x0
	v_fma_f64 v[0:1], -v[4:5], v[6:7], v[0:1]
	s_cbranch_scc0 .LBB96_78
	s_branch .LBB96_76
.LBB96_79:                              ;   in Loop: Header=BB96_3 Depth=1
	s_and_saveexec_b32 s27, s26
	s_cbranch_execz .LBB96_2
; %bb.80:                               ;   in Loop: Header=BB96_3 Depth=1
	v_mov_b32_e32 v0, v18
	s_mov_b32 s28, s24
.LBB96_81:                              ;   Parent Loop BB96_3 Depth=1
                                        ; =>  This Inner Loop Header: Depth=2
	ds_load_b64 v[2:3], v0
	v_add_nc_u32_e32 v0, 0xc0, v0
	s_add_co_i32 s28, s28, -1
	s_delay_alu instid0(SALU_CYCLE_1)
	s_cmp_lg_u32 s28, 0
	s_wait_dscnt 0x0
	global_store_b64 v[16:17], v[2:3], off
	s_wait_xcnt 0x0
	v_add_nc_u64_e32 v[16:17], s[6:7], v[16:17]
	s_cbranch_scc1 .LBB96_81
	s_branch .LBB96_2
.LBB96_82:
	s_endpgm
	.section	.rodata,"a",@progbits
	.p2align	6, 0x0
	.amdhsa_kernel _ZL31rocblas_trsm_small_right_deviceIddPKdPdLi24EEv13rocblas_fill_18rocblas_operation_17rocblas_diagonal_iiT0_T1_lilT2_lili
		.amdhsa_group_segment_fixed_size 9216
		.amdhsa_private_segment_fixed_size 0
		.amdhsa_kernarg_size 360
		.amdhsa_user_sgpr_count 2
		.amdhsa_user_sgpr_dispatch_ptr 0
		.amdhsa_user_sgpr_queue_ptr 0
		.amdhsa_user_sgpr_kernarg_segment_ptr 1
		.amdhsa_user_sgpr_dispatch_id 0
		.amdhsa_user_sgpr_kernarg_preload_length 0
		.amdhsa_user_sgpr_kernarg_preload_offset 0
		.amdhsa_user_sgpr_private_segment_size 0
		.amdhsa_wavefront_size32 1
		.amdhsa_uses_dynamic_stack 0
		.amdhsa_enable_private_segment 0
		.amdhsa_system_sgpr_workgroup_id_x 1
		.amdhsa_system_sgpr_workgroup_id_y 0
		.amdhsa_system_sgpr_workgroup_id_z 1
		.amdhsa_system_sgpr_workgroup_info 0
		.amdhsa_system_vgpr_workitem_id 0
		.amdhsa_next_free_vgpr 97
		.amdhsa_next_free_sgpr 38
		.amdhsa_named_barrier_count 0
		.amdhsa_reserve_vcc 1
		.amdhsa_float_round_mode_32 0
		.amdhsa_float_round_mode_16_64 0
		.amdhsa_float_denorm_mode_32 3
		.amdhsa_float_denorm_mode_16_64 3
		.amdhsa_fp16_overflow 0
		.amdhsa_memory_ordered 1
		.amdhsa_forward_progress 1
		.amdhsa_inst_pref_size 49
		.amdhsa_round_robin_scheduling 0
		.amdhsa_exception_fp_ieee_invalid_op 0
		.amdhsa_exception_fp_denorm_src 0
		.amdhsa_exception_fp_ieee_div_zero 0
		.amdhsa_exception_fp_ieee_overflow 0
		.amdhsa_exception_fp_ieee_underflow 0
		.amdhsa_exception_fp_ieee_inexact 0
		.amdhsa_exception_int_div_zero 0
	.end_amdhsa_kernel
	.section	.text._ZL31rocblas_trsm_small_right_deviceIddPKdPdLi24EEv13rocblas_fill_18rocblas_operation_17rocblas_diagonal_iiT0_T1_lilT2_lili,"axG",@progbits,_ZL31rocblas_trsm_small_right_deviceIddPKdPdLi24EEv13rocblas_fill_18rocblas_operation_17rocblas_diagonal_iiT0_T1_lilT2_lili,comdat
.Lfunc_end96:
	.size	_ZL31rocblas_trsm_small_right_deviceIddPKdPdLi24EEv13rocblas_fill_18rocblas_operation_17rocblas_diagonal_iiT0_T1_lilT2_lili, .Lfunc_end96-_ZL31rocblas_trsm_small_right_deviceIddPKdPdLi24EEv13rocblas_fill_18rocblas_operation_17rocblas_diagonal_iiT0_T1_lilT2_lili
                                        ; -- End function
	.set _ZL31rocblas_trsm_small_right_deviceIddPKdPdLi24EEv13rocblas_fill_18rocblas_operation_17rocblas_diagonal_iiT0_T1_lilT2_lili.num_vgpr, 44
	.set _ZL31rocblas_trsm_small_right_deviceIddPKdPdLi24EEv13rocblas_fill_18rocblas_operation_17rocblas_diagonal_iiT0_T1_lilT2_lili.num_agpr, 0
	.set _ZL31rocblas_trsm_small_right_deviceIddPKdPdLi24EEv13rocblas_fill_18rocblas_operation_17rocblas_diagonal_iiT0_T1_lilT2_lili.numbered_sgpr, 38
	.set _ZL31rocblas_trsm_small_right_deviceIddPKdPdLi24EEv13rocblas_fill_18rocblas_operation_17rocblas_diagonal_iiT0_T1_lilT2_lili.num_named_barrier, 0
	.set _ZL31rocblas_trsm_small_right_deviceIddPKdPdLi24EEv13rocblas_fill_18rocblas_operation_17rocblas_diagonal_iiT0_T1_lilT2_lili.private_seg_size, 0
	.set _ZL31rocblas_trsm_small_right_deviceIddPKdPdLi24EEv13rocblas_fill_18rocblas_operation_17rocblas_diagonal_iiT0_T1_lilT2_lili.uses_vcc, 1
	.set _ZL31rocblas_trsm_small_right_deviceIddPKdPdLi24EEv13rocblas_fill_18rocblas_operation_17rocblas_diagonal_iiT0_T1_lilT2_lili.uses_flat_scratch, 0
	.set _ZL31rocblas_trsm_small_right_deviceIddPKdPdLi24EEv13rocblas_fill_18rocblas_operation_17rocblas_diagonal_iiT0_T1_lilT2_lili.has_dyn_sized_stack, 0
	.set _ZL31rocblas_trsm_small_right_deviceIddPKdPdLi24EEv13rocblas_fill_18rocblas_operation_17rocblas_diagonal_iiT0_T1_lilT2_lili.has_recursion, 0
	.set _ZL31rocblas_trsm_small_right_deviceIddPKdPdLi24EEv13rocblas_fill_18rocblas_operation_17rocblas_diagonal_iiT0_T1_lilT2_lili.has_indirect_call, 0
	.section	.AMDGPU.csdata,"",@progbits
; Kernel info:
; codeLenInByte = 6204
; TotalNumSgprs: 40
; NumVgprs: 44
; ScratchSize: 0
; MemoryBound: 0
; FloatMode: 240
; IeeeMode: 1
; LDSByteSize: 9216 bytes/workgroup (compile time only)
; SGPRBlocks: 0
; VGPRBlocks: 6
; NumSGPRsForWavesPerEU: 40
; NumVGPRsForWavesPerEU: 97
; NamedBarCnt: 0
; Occupancy: 9
; WaveLimiterHint : 0
; COMPUTE_PGM_RSRC2:SCRATCH_EN: 0
; COMPUTE_PGM_RSRC2:USER_SGPR: 2
; COMPUTE_PGM_RSRC2:TRAP_HANDLER: 0
; COMPUTE_PGM_RSRC2:TGID_X_EN: 1
; COMPUTE_PGM_RSRC2:TGID_Y_EN: 0
; COMPUTE_PGM_RSRC2:TGID_Z_EN: 1
; COMPUTE_PGM_RSRC2:TIDIG_COMP_CNT: 0
	.section	.text._ZL38rocblas_trsm_small_left_device_sharedBILi28ELi28ELb0EddPKdPdEv13rocblas_fill_18rocblas_operation_17rocblas_diagonal_iiT3_T4_lilT5_lili,"axG",@progbits,_ZL38rocblas_trsm_small_left_device_sharedBILi28ELi28ELb0EddPKdPdEv13rocblas_fill_18rocblas_operation_17rocblas_diagonal_iiT3_T4_lilT5_lili,comdat
	.globl	_ZL38rocblas_trsm_small_left_device_sharedBILi28ELi28ELb0EddPKdPdEv13rocblas_fill_18rocblas_operation_17rocblas_diagonal_iiT3_T4_lilT5_lili ; -- Begin function _ZL38rocblas_trsm_small_left_device_sharedBILi28ELi28ELb0EddPKdPdEv13rocblas_fill_18rocblas_operation_17rocblas_diagonal_iiT3_T4_lilT5_lili
	.p2align	8
	.type	_ZL38rocblas_trsm_small_left_device_sharedBILi28ELi28ELb0EddPKdPdEv13rocblas_fill_18rocblas_operation_17rocblas_diagonal_iiT3_T4_lilT5_lili,@function
_ZL38rocblas_trsm_small_left_device_sharedBILi28ELi28ELb0EddPKdPdEv13rocblas_fill_18rocblas_operation_17rocblas_diagonal_iiT3_T4_lilT5_lili: ; @_ZL38rocblas_trsm_small_left_device_sharedBILi28ELi28ELb0EddPKdPdEv13rocblas_fill_18rocblas_operation_17rocblas_diagonal_iiT3_T4_lilT5_lili
; %bb.0:
	s_load_b32 s19, s[0:1], 0x60
	s_bfe_u32 s2, ttmp6, 0x40014
	s_lshr_b32 s3, ttmp7, 16
	s_add_co_i32 s2, s2, 1
	s_bfe_u32 s5, ttmp6, 0x40008
	s_mul_i32 s4, s3, s2
	s_getreg_b32 s2, hwreg(HW_REG_IB_STS2, 6, 4)
	s_add_co_i32 s5, s5, s4
	s_cmp_eq_u32 s2, 0
	s_cselect_b32 s23, s3, s5
	s_wait_kmcnt 0x0
	s_cmp_ge_u32 s23, s19
	s_cbranch_scc1 .LBB97_57
; %bb.1:
	s_clause 0x4
	s_load_b96 s[16:18], s[0:1], 0x28
	s_load_b96 s[20:22], s[0:1], 0x48
	s_load_b128 s[12:15], s[0:1], 0x4
	s_load_b32 s3, s[0:1], 0x68
	s_load_b64 s[26:27], s[0:1], 0x58
	s_bfe_u32 s8, ttmp6, 0x4000c
	s_load_b128 s[4:7], s[0:1], 0x18
	s_add_co_i32 s8, s8, 1
	s_and_b32 s24, ttmp6, 15
	s_mul_i32 s25, ttmp9, s8
	s_load_b128 s[8:11], s[0:1], 0x38
	s_wait_xcnt 0x0
	s_add_co_i32 s0, s24, s25
	v_dual_mov_b32 v3, 0 :: v_dual_lshlrev_b32 v2, 3, v0
	s_delay_alu instid0(VALU_DEP_1)
	v_add_nc_u32_e32 v10, 0x1880, v2
	s_wait_kmcnt 0x0
	s_ashr_i32 s29, s18, 31
	s_ashr_i32 s25, s22, 31
	s_min_i32 s1, s14, 28
	s_add_co_i32 s3, s3, -1
	s_add_co_i32 s24, s1, -1
	s_cmp_eq_u32 s2, 0
	s_mov_b32 s28, s18
	s_cselect_b32 s0, ttmp9, s0
	s_delay_alu instid0(SALU_CYCLE_1) | instskip(NEXT) | instid1(SALU_CYCLE_1)
	s_mul_i32 s2, s0, 0xffffffe4
	s_add_co_i32 s15, s15, s2
	s_cmp_ge_u32 s0, s3
	s_mul_i32 s2, s0, 28
	s_cselect_b32 s0, s15, 28
	s_ashr_i32 s3, s2, 31
	s_cmp_lg_u32 s13, 0x84
	v_lshl_add_u64 v[6:7], s[2:3], 3, v[2:3]
	s_cselect_b32 s13, -1, 0
	s_cmp_gt_i32 s14, 0
	v_cmp_gt_i32_e32 vcc_lo, s0, v0
	s_cselect_b32 s14, -1, 0
	s_cmp_lg_u32 s12, 0x6f
	v_cmp_gt_i32_e64 s0, s1, v0
	s_cselect_b32 s12, -1, 0
	s_lshl_b64 s[2:3], s[20:21], 3
	s_mul_i32 s15, s1, 0xe0
	s_add_nc_u64 s[2:3], s[10:11], s[2:3]
	s_and_b32 s14, vcc_lo, s14
	v_mad_nc_u64_u32 v[4:5], v6, s22, s[2:3]
	s_lshl_b64 s[2:3], s[16:17], 3
	s_lshl_b64 s[10:11], s[26:27], 3
	s_add_nc_u64 s[2:3], s[6:7], s[2:3]
	s_lshl_b64 s[6:7], s[28:29], 3
	s_addk_co_i32 s15, 0xff20
	s_delay_alu instid0(VALU_DEP_1) | instskip(SKIP_1) | instid1(VALU_DEP_2)
	v_mad_u32 v1, v7, s22, v5
	v_mul_u32_u24_e32 v7, 0xe0, v0
	v_mad_u32 v5, v6, s25, v1
	v_add_nc_u64_e32 v[0:1], s[2:3], v[2:3]
	s_delay_alu instid0(VALU_DEP_3)
	v_add_nc_u32_e32 v3, v2, v7
	s_lshl_b64 s[2:3], s[8:9], 3
	s_get_pc_i64 s[8:9]
	s_add_nc_u64 s[8:9], s[8:9], __const._ZL38rocblas_trsm_small_left_device_sharedBILi28ELi28ELb0EddPKdPdEv13rocblas_fill_18rocblas_operation_17rocblas_diagonal_iiT3_T4_lilT5_lili.step_sizes@rel64+4
	s_branch .LBB97_3
.LBB97_2:                               ;   in Loop: Header=BB97_3 Depth=1
	s_or_b32 exec_lo, exec_lo, s16
	s_add_co_i32 s23, s23, 0x10000
	s_delay_alu instid0(SALU_CYCLE_1)
	s_cmp_lt_u32 s23, s19
	s_cbranch_scc0 .LBB97_57
.LBB97_3:                               ; =>This Loop Header: Depth=1
                                        ;     Child Loop BB97_5 Depth 2
                                        ;     Child Loop BB97_11 Depth 2
	;; [unrolled: 1-line block ×3, first 2 shown]
                                        ;       Child Loop BB97_18 Depth 3
                                        ;         Child Loop BB97_19 Depth 4
                                        ;         Child Loop BB97_22 Depth 4
                                        ;           Child Loop BB97_23 Depth 5
                                        ;         Child Loop BB97_27 Depth 4
                                        ;           Child Loop BB97_29 Depth 5
                                        ;     Child Loop BB97_37 Depth 2
                                        ;       Child Loop BB97_40 Depth 3
                                        ;         Child Loop BB97_41 Depth 4
                                        ;         Child Loop BB97_43 Depth 4
                                        ;           Child Loop BB97_44 Depth 5
                                        ;         Child Loop BB97_48 Depth 4
                                        ;           Child Loop BB97_50 Depth 5
                                        ;     Child Loop BB97_56 Depth 2
	s_and_saveexec_b32 s16, s0
	s_cbranch_execz .LBB97_9
; %bb.4:                                ;   in Loop: Header=BB97_3 Depth=1
	v_mad_nc_u64_u32 v[6:7], s2, s23, v[0:1]
	v_mov_b32_e32 v8, v2
	s_mov_b32 s17, s1
	s_delay_alu instid0(VALU_DEP_2)
	v_mad_u32 v7, s3, s23, v7
.LBB97_5:                               ;   Parent Loop BB97_3 Depth=1
                                        ; =>  This Inner Loop Header: Depth=2
	global_load_b64 v[12:13], v[6:7], off
	s_wait_xcnt 0x0
	v_add_nc_u64_e32 v[6:7], s[6:7], v[6:7]
	s_add_co_i32 s17, s17, -1
	s_delay_alu instid0(SALU_CYCLE_1)
	s_cmp_eq_u32 s17, 0
	s_wait_loadcnt 0x0
	ds_store_b64 v8, v[12:13]
	v_add_nc_u32_e32 v8, 0xe0, v8
	s_cbranch_scc0 .LBB97_5
; %bb.6:                                ;   in Loop: Header=BB97_3 Depth=1
	v_mov_b64_e32 v[6:7], 1.0
	s_and_b32 vcc_lo, exec_lo, s13
	s_cbranch_vccz .LBB97_8
; %bb.7:                                ;   in Loop: Header=BB97_3 Depth=1
	ds_load_b64 v[6:7], v3
	s_wait_dscnt 0x0
	v_div_scale_f64 v[8:9], null, v[6:7], v[6:7], 1.0
	s_delay_alu instid0(VALU_DEP_1) | instskip(SKIP_1) | instid1(TRANS32_DEP_1)
	v_rcp_f64_e32 v[12:13], v[8:9]
	v_nop
	v_fma_f64 v[14:15], -v[8:9], v[12:13], 1.0
	s_delay_alu instid0(VALU_DEP_1) | instskip(NEXT) | instid1(VALU_DEP_1)
	v_fmac_f64_e32 v[12:13], v[12:13], v[14:15]
	v_fma_f64 v[14:15], -v[8:9], v[12:13], 1.0
	s_delay_alu instid0(VALU_DEP_1) | instskip(SKIP_1) | instid1(VALU_DEP_1)
	v_fmac_f64_e32 v[12:13], v[12:13], v[14:15]
	v_div_scale_f64 v[14:15], vcc_lo, 1.0, v[6:7], 1.0
	v_mul_f64_e32 v[16:17], v[14:15], v[12:13]
	s_delay_alu instid0(VALU_DEP_1) | instskip(NEXT) | instid1(VALU_DEP_1)
	v_fma_f64 v[8:9], -v[8:9], v[16:17], v[14:15]
	v_div_fmas_f64 v[8:9], v[8:9], v[12:13], v[16:17]
	s_delay_alu instid0(VALU_DEP_1)
	v_div_fixup_f64 v[6:7], v[8:9], v[6:7], 1.0
.LBB97_8:                               ;   in Loop: Header=BB97_3 Depth=1
	ds_store_b64 v3, v[6:7]
.LBB97_9:                               ;   in Loop: Header=BB97_3 Depth=1
	s_or_b32 exec_lo, exec_lo, s16
	s_delay_alu instid0(VALU_DEP_3) | instskip(NEXT) | instid1(VALU_DEP_1)
	v_mad_nc_u64_u32 v[6:7], s10, s23, v[4:5]
	v_mad_u32 v7, s11, s23, v7
	s_and_saveexec_b32 s16, s14
	s_cbranch_execz .LBB97_12
; %bb.10:                               ;   in Loop: Header=BB97_3 Depth=1
	s_delay_alu instid0(VALU_DEP_1)
	v_mov_b64_e32 v[8:9], v[6:7]
	v_mov_b32_e32 v11, v10
	s_mov_b32 s17, s1
.LBB97_11:                              ;   Parent Loop BB97_3 Depth=1
                                        ; =>  This Inner Loop Header: Depth=2
	global_load_b64 v[12:13], v[8:9], off
	s_wait_xcnt 0x0
	v_add_nc_u64_e32 v[8:9], 8, v[8:9]
	s_add_co_i32 s17, s17, -1
	s_delay_alu instid0(SALU_CYCLE_1)
	s_cmp_lg_u32 s17, 0
	s_wait_loadcnt 0x0
	v_mul_f64_e32 v[12:13], s[4:5], v[12:13]
	ds_store_b64 v11, v[12:13]
	v_add_nc_u32_e32 v11, 0xe0, v11
	s_cbranch_scc1 .LBB97_11
.LBB97_12:                              ;   in Loop: Header=BB97_3 Depth=1
	s_or_b32 exec_lo, exec_lo, s16
	s_delay_alu instid0(SALU_CYCLE_1)
	s_and_not1_b32 vcc_lo, exec_lo, s12
	s_mov_b32 s16, -1
	s_wait_dscnt 0x0
	; wave barrier
	s_cbranch_vccnz .LBB97_34
; %bb.13:                               ;   in Loop: Header=BB97_3 Depth=1
	s_mov_b32 s17, 0
	s_mov_b32 s16, 0
	s_branch .LBB97_15
.LBB97_14:                              ;   in Loop: Header=BB97_15 Depth=2
	s_cmp_lt_i32 s16, s1
	s_cselect_b32 s18, -1, 0
	s_add_co_i32 s20, s17, 1
	s_cmp_lt_u32 s17, 2
	s_wait_xcnt 0x0
	s_cselect_b32 s17, -1, 0
	s_delay_alu instid0(SALU_CYCLE_1) | instskip(NEXT) | instid1(SALU_CYCLE_1)
	s_and_b32 s17, s18, s17
	s_and_b32 vcc_lo, exec_lo, s17
	s_mov_b32 s17, s20
	s_cbranch_vccz .LBB97_33
.LBB97_15:                              ;   Parent Loop BB97_3 Depth=1
                                        ; =>  This Loop Header: Depth=2
                                        ;       Child Loop BB97_18 Depth 3
                                        ;         Child Loop BB97_19 Depth 4
                                        ;         Child Loop BB97_22 Depth 4
                                        ;           Child Loop BB97_23 Depth 5
                                        ;         Child Loop BB97_27 Depth 4
                                        ;           Child Loop BB97_29 Depth 5
	s_load_b32 s18, s[8:9], s17 offset:0x0 scale_offset
	s_wait_kmcnt 0x0
	s_add_co_i32 s20, s18, -1
	s_delay_alu instid0(SALU_CYCLE_1) | instskip(NEXT) | instid1(SALU_CYCLE_1)
	s_add_co_i32 s21, s20, s16
	s_cmp_ge_i32 s21, s1
	s_cbranch_scc1 .LBB97_14
; %bb.16:                               ;   in Loop: Header=BB97_15 Depth=2
	s_mul_i32 s21, s16, 0xe0
	s_max_i32 s22, s18, 1
	v_add_nc_u32_e32 v11, s21, v10
	s_mul_i32 s25, s18, 0xe0
	s_mul_i32 s26, s16, 0xe8
	;; [unrolled: 1-line block ×3, first 2 shown]
	s_branch .LBB97_18
.LBB97_17:                              ;   in Loop: Header=BB97_18 Depth=3
	s_add_co_i32 s16, s16, s18
	v_add_nc_u32_e32 v11, s25, v11
	s_add_co_i32 s28, s20, s16
	s_add_co_i32 s21, s21, s25
	;; [unrolled: 1-line block ×3, first 2 shown]
	s_cmp_ge_i32 s28, s1
	s_cbranch_scc1 .LBB97_14
.LBB97_18:                              ;   Parent Loop BB97_3 Depth=1
                                        ;     Parent Loop BB97_15 Depth=2
                                        ; =>    This Loop Header: Depth=3
                                        ;         Child Loop BB97_19 Depth 4
                                        ;         Child Loop BB97_22 Depth 4
                                        ;           Child Loop BB97_23 Depth 5
                                        ;         Child Loop BB97_27 Depth 4
                                        ;           Child Loop BB97_29 Depth 5
	s_wait_xcnt 0x0
	v_mov_b32_e32 v8, v11
	s_mov_b32 s28, 0
	s_mov_b32 s29, s22
.LBB97_19:                              ;   Parent Loop BB97_3 Depth=1
                                        ;     Parent Loop BB97_15 Depth=2
                                        ;       Parent Loop BB97_18 Depth=3
                                        ; =>      This Inner Loop Header: Depth=4
	ds_load_b64 v[12:13], v8
	v_add_nc_u32_e32 v8, 0xe0, v8
	s_add_co_i32 s29, s29, -1
	s_wait_dscnt 0x0
	scratch_store_b64 off, v[12:13], s28
	s_wait_xcnt 0x0
	s_add_co_i32 s28, s28, 8
	s_cmp_eq_u32 s29, 0
	s_cbranch_scc0 .LBB97_19
; %bb.20:                               ;   in Loop: Header=BB97_18 Depth=3
	s_cmp_lt_i32 s16, 1
	s_cbranch_scc1 .LBB97_25
; %bb.21:                               ;   in Loop: Header=BB97_18 Depth=3
	s_mov_b32 s28, 0
	s_mov_b32 s29, s21
.LBB97_22:                              ;   Parent Loop BB97_3 Depth=1
                                        ;     Parent Loop BB97_15 Depth=2
                                        ;       Parent Loop BB97_18 Depth=3
                                        ; =>      This Loop Header: Depth=4
                                        ;           Child Loop BB97_23 Depth 5
	v_mad_u32 v8, 0xe0, s28, v10
	s_mov_b32 s30, 0
	s_mov_b32 s31, s29
	;; [unrolled: 1-line block ×3, first 2 shown]
	ds_load_b64 v[8:9], v8
.LBB97_23:                              ;   Parent Loop BB97_3 Depth=1
                                        ;     Parent Loop BB97_15 Depth=2
                                        ;       Parent Loop BB97_18 Depth=3
                                        ;         Parent Loop BB97_22 Depth=4
                                        ; =>        This Inner Loop Header: Depth=5
	scratch_load_b64 v[12:13], off, s30
	v_mov_b32_e32 v14, s31
	s_add_co_i32 s33, s33, -1
	s_addk_co_i32 s31, 0xe0
	ds_load_b64 v[14:15], v14
	s_wait_loadcnt_dscnt 0x0
	v_fma_f64 v[12:13], -v[8:9], v[14:15], v[12:13]
	scratch_store_b64 off, v[12:13], s30
	s_wait_xcnt 0x0
	s_add_co_i32 s30, s30, 8
	s_cmp_eq_u32 s33, 0
	s_cbranch_scc0 .LBB97_23
; %bb.24:                               ;   in Loop: Header=BB97_22 Depth=4
	s_add_co_i32 s28, s28, 1
	s_add_co_i32 s29, s29, 8
	s_cmp_eq_u32 s28, s16
	s_cbranch_scc0 .LBB97_22
.LBB97_25:                              ;   in Loop: Header=BB97_18 Depth=3
	s_mul_i32 s28, s16, 0xe0
	s_mov_b32 s29, 0
	s_mov_b32 s30, s26
	s_branch .LBB97_27
.LBB97_26:                              ;   in Loop: Header=BB97_27 Depth=4
	s_wait_xcnt 0x0
	s_mulk_i32 s33, 0xe8
	s_addk_co_i32 s30, 0xe0
	v_mov_b32_e32 v12, s33
	s_lshl_b32 s33, s29, 3
	s_add_co_i32 s29, s29, 1
	s_delay_alu instid0(SALU_CYCLE_1)
	s_cmp_eq_u32 s29, s22
	ds_load_b64 v[12:13], v12
	s_wait_loadcnt_dscnt 0x0
	v_dual_mul_f64 v[8:9], v[12:13], v[8:9] :: v_dual_add_nc_u32 v12, s31, v10
	scratch_store_b64 off, v[8:9], s33
	ds_store_b64 v12, v[8:9]
	s_cbranch_scc1 .LBB97_17
.LBB97_27:                              ;   Parent Loop BB97_3 Depth=1
                                        ;     Parent Loop BB97_15 Depth=2
                                        ;       Parent Loop BB97_18 Depth=3
                                        ; =>      This Loop Header: Depth=4
                                        ;           Child Loop BB97_29 Depth 5
	s_cmp_lg_u32 s29, 0
	s_cbranch_scc0 .LBB97_31
; %bb.28:                               ;   in Loop: Header=BB97_27 Depth=4
	s_lshl_b32 s34, s29, 3
	s_wait_xcnt 0x0
	s_add_co_i32 s33, s29, s16
	scratch_load_b64 v[8:9], off, s34
	s_mul_i32 s31, s33, 0xe0
	s_mov_b32 s35, 0
	s_mov_b32 s36, s30
	;; [unrolled: 1-line block ×3, first 2 shown]
.LBB97_29:                              ;   Parent Loop BB97_3 Depth=1
                                        ;     Parent Loop BB97_15 Depth=2
                                        ;       Parent Loop BB97_18 Depth=3
                                        ;         Parent Loop BB97_27 Depth=4
                                        ; =>        This Inner Loop Header: Depth=5
	scratch_load_b64 v[12:13], off, s35
	v_mov_b32_e32 v14, s36
	s_add_co_i32 s37, s37, -1
	s_wait_xcnt 0x0
	s_add_co_i32 s35, s35, 8
	s_add_co_i32 s36, s36, 8
	s_cmp_eq_u32 s37, 0
	ds_load_b64 v[14:15], v14
	s_wait_loadcnt_dscnt 0x0
	v_fma_f64 v[8:9], -v[12:13], v[14:15], v[8:9]
	scratch_store_b64 off, v[8:9], s34
	s_cbranch_scc0 .LBB97_29
; %bb.30:                               ;   in Loop: Header=BB97_27 Depth=4
	s_wait_xcnt 0x0
	s_branch .LBB97_26
.LBB97_31:                              ;   in Loop: Header=BB97_27 Depth=4
                                        ; implicit-def: $vgpr8_vgpr9
                                        ; implicit-def: $sgpr33
                                        ; implicit-def: $sgpr31
	s_cbranch_execz .LBB97_26
; %bb.32:                               ;   in Loop: Header=BB97_27 Depth=4
	scratch_load_b64 v[8:9], off, off
	s_mov_b32 s31, s28
	s_mov_b32 s33, s16
	s_branch .LBB97_26
.LBB97_33:                              ;   in Loop: Header=BB97_3 Depth=1
	s_mov_b32 s16, 0
.LBB97_34:                              ;   in Loop: Header=BB97_3 Depth=1
	s_delay_alu instid0(SALU_CYCLE_1)
	s_and_b32 vcc_lo, exec_lo, s16
	s_cbranch_vccz .LBB97_54
; %bb.35:                               ;   in Loop: Header=BB97_3 Depth=1
	s_mov_b32 s17, 0
	s_mov_b32 s16, s24
	s_branch .LBB97_37
.LBB97_36:                              ;   in Loop: Header=BB97_37 Depth=2
	s_cmp_gt_i32 s16, -1
	s_cselect_b32 s18, -1, 0
	s_add_co_i32 s20, s17, 1
	s_cmp_lt_u32 s17, 2
	s_wait_xcnt 0x0
	s_cselect_b32 s17, -1, 0
	s_delay_alu instid0(SALU_CYCLE_1) | instskip(NEXT) | instid1(SALU_CYCLE_1)
	s_and_b32 s17, s18, s17
	s_and_not1_b32 vcc_lo, exec_lo, s17
	s_mov_b32 s17, s20
	s_cbranch_vccnz .LBB97_54
.LBB97_37:                              ;   Parent Loop BB97_3 Depth=1
                                        ; =>  This Loop Header: Depth=2
                                        ;       Child Loop BB97_40 Depth 3
                                        ;         Child Loop BB97_41 Depth 4
                                        ;         Child Loop BB97_43 Depth 4
                                        ;           Child Loop BB97_44 Depth 5
                                        ;         Child Loop BB97_48 Depth 4
                                        ;           Child Loop BB97_50 Depth 5
	s_load_b32 s18, s[8:9], s17 offset:0x0 scale_offset
	s_wait_kmcnt 0x0
	s_add_co_i32 s20, s18, -1
	s_delay_alu instid0(SALU_CYCLE_1)
	s_cmp_lt_i32 s16, s20
	s_cbranch_scc1 .LBB97_36
; %bb.38:                               ;   in Loop: Header=BB97_37 Depth=2
	v_mad_u32 v11, 0xe0, s16, v10
	s_lshl_b32 s25, s16, 3
	s_lshl_b32 s26, s18, 3
	s_max_i32 s21, s18, 1
	s_mul_i32 s22, s18, 0xffffff20
	s_add_co_i32 s25, s15, s25
	s_sub_co_i32 s26, 0, s26
	s_mul_i32 s27, s16, 0xe8
	s_mul_i32 s28, s18, 0xffffff18
	s_branch .LBB97_40
.LBB97_39:                              ;   in Loop: Header=BB97_40 Depth=3
	v_add_nc_u32_e32 v11, s22, v11
	s_sub_co_i32 s16, s16, s18
	s_add_co_i32 s25, s25, s26
	s_add_co_i32 s27, s27, s28
	s_cmp_lt_i32 s16, s20
	s_cbranch_scc1 .LBB97_36
.LBB97_40:                              ;   Parent Loop BB97_3 Depth=1
                                        ;     Parent Loop BB97_37 Depth=2
                                        ; =>    This Loop Header: Depth=3
                                        ;         Child Loop BB97_41 Depth 4
                                        ;         Child Loop BB97_43 Depth 4
                                        ;           Child Loop BB97_44 Depth 5
                                        ;         Child Loop BB97_48 Depth 4
                                        ;           Child Loop BB97_50 Depth 5
	s_wait_xcnt 0x0
	v_mov_b32_e32 v8, v11
	s_mov_b32 s29, 0
	s_mov_b32 s30, s21
.LBB97_41:                              ;   Parent Loop BB97_3 Depth=1
                                        ;     Parent Loop BB97_37 Depth=2
                                        ;       Parent Loop BB97_40 Depth=3
                                        ; =>      This Inner Loop Header: Depth=4
	ds_load_b64 v[12:13], v8
	v_add_nc_u32_e32 v8, 0xffffff20, v8
	s_add_co_i32 s30, s30, -1
	s_wait_dscnt 0x0
	scratch_store_b64 off, v[12:13], s29
	s_wait_xcnt 0x0
	s_add_co_i32 s29, s29, 8
	s_cmp_eq_u32 s30, 0
	s_cbranch_scc0 .LBB97_41
; %bb.42:                               ;   in Loop: Header=BB97_40 Depth=3
	s_cmp_le_i32 s24, s16
	s_mov_b32 s29, s25
	s_mov_b32 s30, s24
	s_cbranch_scc1 .LBB97_46
.LBB97_43:                              ;   Parent Loop BB97_3 Depth=1
                                        ;     Parent Loop BB97_37 Depth=2
                                        ;       Parent Loop BB97_40 Depth=3
                                        ; =>      This Loop Header: Depth=4
                                        ;           Child Loop BB97_44 Depth 5
	v_mad_u32 v8, 0xe0, s30, v10
	s_mov_b32 s31, 0
	s_mov_b32 s33, s29
	;; [unrolled: 1-line block ×3, first 2 shown]
	ds_load_b64 v[8:9], v8
.LBB97_44:                              ;   Parent Loop BB97_3 Depth=1
                                        ;     Parent Loop BB97_37 Depth=2
                                        ;       Parent Loop BB97_40 Depth=3
                                        ;         Parent Loop BB97_43 Depth=4
                                        ; =>        This Inner Loop Header: Depth=5
	scratch_load_b64 v[12:13], off, s31
	v_mov_b32_e32 v14, s33
	s_add_co_i32 s34, s34, -1
	s_add_co_i32 s33, s33, -8
	ds_load_b64 v[14:15], v14
	s_wait_loadcnt_dscnt 0x0
	v_fma_f64 v[12:13], -v[8:9], v[14:15], v[12:13]
	scratch_store_b64 off, v[12:13], s31
	s_wait_xcnt 0x0
	s_add_co_i32 s31, s31, 8
	s_cmp_eq_u32 s34, 0
	s_cbranch_scc0 .LBB97_44
; %bb.45:                               ;   in Loop: Header=BB97_43 Depth=4
	s_add_co_i32 s30, s30, -1
	s_addk_co_i32 s29, 0xff20
	s_cmp_le_i32 s30, s16
	s_cbranch_scc0 .LBB97_43
.LBB97_46:                              ;   in Loop: Header=BB97_40 Depth=3
	s_mov_b32 s29, 0
	s_mov_b32 s30, s27
	s_branch .LBB97_48
.LBB97_47:                              ;   in Loop: Header=BB97_48 Depth=4
	s_mul_i32 s33, s31, 0xe8
	s_add_co_i32 s30, s30, -8
	v_mov_b32_e32 v12, s33
	ds_load_b64 v[12:13], v12
	s_wait_loadcnt_dscnt 0x0
	s_wait_xcnt 0x0
	v_mul_f64_e32 v[8:9], v[12:13], v[8:9]
	v_mad_u32 v12, 0xe0, s31, v10
	s_lshl_b32 s31, s29, 3
	s_add_co_i32 s29, s29, 1
	s_delay_alu instid0(SALU_CYCLE_1)
	s_cmp_eq_u32 s29, s21
	scratch_store_b64 off, v[8:9], s31
	ds_store_b64 v12, v[8:9]
	s_cbranch_scc1 .LBB97_39
.LBB97_48:                              ;   Parent Loop BB97_3 Depth=1
                                        ;     Parent Loop BB97_37 Depth=2
                                        ;       Parent Loop BB97_40 Depth=3
                                        ; =>      This Loop Header: Depth=4
                                        ;           Child Loop BB97_50 Depth 5
	s_cmp_lg_u32 s29, 0
	s_cbranch_scc0 .LBB97_52
; %bb.49:                               ;   in Loop: Header=BB97_48 Depth=4
	s_lshl_b32 s33, s29, 3
	s_wait_xcnt 0x0
	s_sub_co_i32 s31, s16, s29
	scratch_load_b64 v[8:9], off, s33
	s_mov_b32 s34, 0
	s_mov_b32 s35, s30
	;; [unrolled: 1-line block ×3, first 2 shown]
.LBB97_50:                              ;   Parent Loop BB97_3 Depth=1
                                        ;     Parent Loop BB97_37 Depth=2
                                        ;       Parent Loop BB97_40 Depth=3
                                        ;         Parent Loop BB97_48 Depth=4
                                        ; =>        This Inner Loop Header: Depth=5
	scratch_load_b64 v[12:13], off, s34
	v_mov_b32_e32 v14, s35
	s_add_co_i32 s36, s36, -1
	s_addk_co_i32 s35, 0xff20
	s_wait_xcnt 0x0
	s_add_co_i32 s34, s34, 8
	s_cmp_eq_u32 s36, 0
	ds_load_b64 v[14:15], v14
	s_wait_loadcnt_dscnt 0x0
	v_fma_f64 v[8:9], -v[12:13], v[14:15], v[8:9]
	scratch_store_b64 off, v[8:9], s33
	s_cbranch_scc0 .LBB97_50
; %bb.51:                               ;   in Loop: Header=BB97_48 Depth=4
	s_wait_xcnt 0x0
	s_branch .LBB97_47
.LBB97_52:                              ;   in Loop: Header=BB97_48 Depth=4
                                        ; implicit-def: $vgpr8_vgpr9
                                        ; implicit-def: $sgpr31
	s_cbranch_execz .LBB97_47
; %bb.53:                               ;   in Loop: Header=BB97_48 Depth=4
	scratch_load_b64 v[8:9], off, off
	s_mov_b32 s31, s16
	s_branch .LBB97_47
.LBB97_54:                              ;   in Loop: Header=BB97_3 Depth=1
	; wave barrier
	s_wait_storecnt_dscnt 0x0
	s_wait_xcnt 0x0
	s_and_saveexec_b32 s16, s14
	s_cbranch_execz .LBB97_2
; %bb.55:                               ;   in Loop: Header=BB97_3 Depth=1
	v_mov_b32_e32 v8, v10
	s_mov_b32 s17, s1
.LBB97_56:                              ;   Parent Loop BB97_3 Depth=1
                                        ; =>  This Inner Loop Header: Depth=2
	ds_load_b64 v[12:13], v8
	v_add_nc_u32_e32 v8, 0xe0, v8
	s_add_co_i32 s17, s17, -1
	s_delay_alu instid0(SALU_CYCLE_1)
	s_cmp_lg_u32 s17, 0
	s_wait_dscnt 0x0
	global_store_b64 v[6:7], v[12:13], off
	s_wait_xcnt 0x0
	v_add_nc_u64_e32 v[6:7], 8, v[6:7]
	s_cbranch_scc1 .LBB97_56
	s_branch .LBB97_2
.LBB97_57:
	s_endpgm
	.section	.rodata,"a",@progbits
	.p2align	6, 0x0
	.amdhsa_kernel _ZL38rocblas_trsm_small_left_device_sharedBILi28ELi28ELb0EddPKdPdEv13rocblas_fill_18rocblas_operation_17rocblas_diagonal_iiT3_T4_lilT5_lili
		.amdhsa_group_segment_fixed_size 12544
		.amdhsa_private_segment_fixed_size 240
		.amdhsa_kernarg_size 360
		.amdhsa_user_sgpr_count 2
		.amdhsa_user_sgpr_dispatch_ptr 0
		.amdhsa_user_sgpr_queue_ptr 0
		.amdhsa_user_sgpr_kernarg_segment_ptr 1
		.amdhsa_user_sgpr_dispatch_id 0
		.amdhsa_user_sgpr_kernarg_preload_length 0
		.amdhsa_user_sgpr_kernarg_preload_offset 0
		.amdhsa_user_sgpr_private_segment_size 0
		.amdhsa_wavefront_size32 1
		.amdhsa_uses_dynamic_stack 0
		.amdhsa_enable_private_segment 1
		.amdhsa_system_sgpr_workgroup_id_x 1
		.amdhsa_system_sgpr_workgroup_id_y 0
		.amdhsa_system_sgpr_workgroup_id_z 1
		.amdhsa_system_sgpr_workgroup_info 0
		.amdhsa_system_vgpr_workitem_id 0
		.amdhsa_next_free_vgpr 129
		.amdhsa_next_free_sgpr 38
		.amdhsa_named_barrier_count 0
		.amdhsa_reserve_vcc 1
		.amdhsa_float_round_mode_32 0
		.amdhsa_float_round_mode_16_64 0
		.amdhsa_float_denorm_mode_32 3
		.amdhsa_float_denorm_mode_16_64 3
		.amdhsa_fp16_overflow 0
		.amdhsa_memory_ordered 1
		.amdhsa_forward_progress 1
		.amdhsa_inst_pref_size 17
		.amdhsa_round_robin_scheduling 0
		.amdhsa_exception_fp_ieee_invalid_op 0
		.amdhsa_exception_fp_denorm_src 0
		.amdhsa_exception_fp_ieee_div_zero 0
		.amdhsa_exception_fp_ieee_overflow 0
		.amdhsa_exception_fp_ieee_underflow 0
		.amdhsa_exception_fp_ieee_inexact 0
		.amdhsa_exception_int_div_zero 0
	.end_amdhsa_kernel
	.section	.text._ZL38rocblas_trsm_small_left_device_sharedBILi28ELi28ELb0EddPKdPdEv13rocblas_fill_18rocblas_operation_17rocblas_diagonal_iiT3_T4_lilT5_lili,"axG",@progbits,_ZL38rocblas_trsm_small_left_device_sharedBILi28ELi28ELb0EddPKdPdEv13rocblas_fill_18rocblas_operation_17rocblas_diagonal_iiT3_T4_lilT5_lili,comdat
.Lfunc_end97:
	.size	_ZL38rocblas_trsm_small_left_device_sharedBILi28ELi28ELb0EddPKdPdEv13rocblas_fill_18rocblas_operation_17rocblas_diagonal_iiT3_T4_lilT5_lili, .Lfunc_end97-_ZL38rocblas_trsm_small_left_device_sharedBILi28ELi28ELb0EddPKdPdEv13rocblas_fill_18rocblas_operation_17rocblas_diagonal_iiT3_T4_lilT5_lili
                                        ; -- End function
	.set _ZL38rocblas_trsm_small_left_device_sharedBILi28ELi28ELb0EddPKdPdEv13rocblas_fill_18rocblas_operation_17rocblas_diagonal_iiT3_T4_lilT5_lili.num_vgpr, 18
	.set _ZL38rocblas_trsm_small_left_device_sharedBILi28ELi28ELb0EddPKdPdEv13rocblas_fill_18rocblas_operation_17rocblas_diagonal_iiT3_T4_lilT5_lili.num_agpr, 0
	.set _ZL38rocblas_trsm_small_left_device_sharedBILi28ELi28ELb0EddPKdPdEv13rocblas_fill_18rocblas_operation_17rocblas_diagonal_iiT3_T4_lilT5_lili.numbered_sgpr, 38
	.set _ZL38rocblas_trsm_small_left_device_sharedBILi28ELi28ELb0EddPKdPdEv13rocblas_fill_18rocblas_operation_17rocblas_diagonal_iiT3_T4_lilT5_lili.num_named_barrier, 0
	.set _ZL38rocblas_trsm_small_left_device_sharedBILi28ELi28ELb0EddPKdPdEv13rocblas_fill_18rocblas_operation_17rocblas_diagonal_iiT3_T4_lilT5_lili.private_seg_size, 240
	.set _ZL38rocblas_trsm_small_left_device_sharedBILi28ELi28ELb0EddPKdPdEv13rocblas_fill_18rocblas_operation_17rocblas_diagonal_iiT3_T4_lilT5_lili.uses_vcc, 1
	.set _ZL38rocblas_trsm_small_left_device_sharedBILi28ELi28ELb0EddPKdPdEv13rocblas_fill_18rocblas_operation_17rocblas_diagonal_iiT3_T4_lilT5_lili.uses_flat_scratch, 0
	.set _ZL38rocblas_trsm_small_left_device_sharedBILi28ELi28ELb0EddPKdPdEv13rocblas_fill_18rocblas_operation_17rocblas_diagonal_iiT3_T4_lilT5_lili.has_dyn_sized_stack, 0
	.set _ZL38rocblas_trsm_small_left_device_sharedBILi28ELi28ELb0EddPKdPdEv13rocblas_fill_18rocblas_operation_17rocblas_diagonal_iiT3_T4_lilT5_lili.has_recursion, 0
	.set _ZL38rocblas_trsm_small_left_device_sharedBILi28ELi28ELb0EddPKdPdEv13rocblas_fill_18rocblas_operation_17rocblas_diagonal_iiT3_T4_lilT5_lili.has_indirect_call, 0
	.section	.AMDGPU.csdata,"",@progbits
; Kernel info:
; codeLenInByte = 2128
; TotalNumSgprs: 40
; NumVgprs: 18
; ScratchSize: 240
; MemoryBound: 0
; FloatMode: 240
; IeeeMode: 1
; LDSByteSize: 12544 bytes/workgroup (compile time only)
; SGPRBlocks: 0
; VGPRBlocks: 8
; NumSGPRsForWavesPerEU: 40
; NumVGPRsForWavesPerEU: 129
; NamedBarCnt: 0
; Occupancy: 7
; WaveLimiterHint : 0
; COMPUTE_PGM_RSRC2:SCRATCH_EN: 1
; COMPUTE_PGM_RSRC2:USER_SGPR: 2
; COMPUTE_PGM_RSRC2:TRAP_HANDLER: 0
; COMPUTE_PGM_RSRC2:TGID_X_EN: 1
; COMPUTE_PGM_RSRC2:TGID_Y_EN: 0
; COMPUTE_PGM_RSRC2:TGID_Z_EN: 1
; COMPUTE_PGM_RSRC2:TIDIG_COMP_CNT: 0
	.section	.text._ZL30rocblas_trsm_small_left_deviceILi28ELi28ELb0EddPKdPdEv13rocblas_fill_18rocblas_operation_17rocblas_diagonal_iiT3_T4_lilT5_lili,"axG",@progbits,_ZL30rocblas_trsm_small_left_deviceILi28ELi28ELb0EddPKdPdEv13rocblas_fill_18rocblas_operation_17rocblas_diagonal_iiT3_T4_lilT5_lili,comdat
	.globl	_ZL30rocblas_trsm_small_left_deviceILi28ELi28ELb0EddPKdPdEv13rocblas_fill_18rocblas_operation_17rocblas_diagonal_iiT3_T4_lilT5_lili ; -- Begin function _ZL30rocblas_trsm_small_left_deviceILi28ELi28ELb0EddPKdPdEv13rocblas_fill_18rocblas_operation_17rocblas_diagonal_iiT3_T4_lilT5_lili
	.p2align	8
	.type	_ZL30rocblas_trsm_small_left_deviceILi28ELi28ELb0EddPKdPdEv13rocblas_fill_18rocblas_operation_17rocblas_diagonal_iiT3_T4_lilT5_lili,@function
_ZL30rocblas_trsm_small_left_deviceILi28ELi28ELb0EddPKdPdEv13rocblas_fill_18rocblas_operation_17rocblas_diagonal_iiT3_T4_lilT5_lili: ; @_ZL30rocblas_trsm_small_left_deviceILi28ELi28ELb0EddPKdPdEv13rocblas_fill_18rocblas_operation_17rocblas_diagonal_iiT3_T4_lilT5_lili
; %bb.0:
	s_load_b32 s28, s[0:1], 0x60
	s_bfe_u32 s2, ttmp6, 0x40014
	s_lshr_b32 s4, ttmp7, 16
	s_add_co_i32 s2, s2, 1
	s_bfe_u32 s5, ttmp6, 0x40008
	s_mul_i32 s2, s4, s2
	s_getreg_b32 s3, hwreg(HW_REG_IB_STS2, 6, 4)
	s_add_co_i32 s5, s5, s2
	s_cmp_eq_u32 s3, 0
	s_mov_b32 s19, 0
	s_cselect_b32 s2, s4, s5
	s_wait_kmcnt 0x0
	s_cmp_ge_u32 s2, s28
	s_cbranch_scc1 .LBB98_54
; %bb.1:
	s_clause 0x4
	s_load_b96 s[16:18], s[0:1], 0x28
	s_load_b96 s[24:26], s[0:1], 0x48
	s_load_b128 s[8:11], s[0:1], 0x4
	s_load_b32 s22, s[0:1], 0x68
	s_load_b64 s[20:21], s[0:1], 0x58
	s_bfe_u32 s12, ttmp6, 0x4000c
	s_and_b32 s23, ttmp6, 15
	s_add_co_i32 s12, s12, 1
	s_load_b128 s[4:7], s[0:1], 0x18
	s_mul_i32 s27, ttmp9, s12
	s_load_b128 s[12:15], s[0:1], 0x38
	s_wait_xcnt 0x0
	s_add_co_i32 s0, s23, s27
	v_mul_u32_u24_e32 v1, 0xe0, v0
	s_mov_b32 s35, 0
                                        ; implicit-def: $sgpr36
                                        ; implicit-def: $sgpr37
	s_wait_kmcnt 0x0
	s_ashr_i32 s23, s18, 31
	s_ashr_i32 s1, s26, 31
	s_min_i32 s29, s10, 28
	s_lshl_b64 s[24:25], s[24:25], 3
	s_add_co_i32 s10, s22, -1
	s_add_co_i32 s30, s29, -1
	s_cmp_eq_u32 s3, 0
	s_mov_b32 s22, s18
	s_cselect_b32 s3, ttmp9, s0
	s_mov_b32 s0, s26
	v_mad_u32 v2, s3, 28, v0
	s_add_nc_u64 s[14:15], s[14:15], s[24:25]
	s_mul_i32 s34, s29, 0xe0
	s_delay_alu instid0(VALU_DEP_1) | instskip(NEXT) | instid1(VALU_DEP_1)
	v_ashrrev_i32_e32 v3, 31, v2
	v_mul_u64_e32 v[4:5], s[0:1], v[2:3]
	s_mul_i32 s0, s3, 0xffffffe4
	v_lshlrev_b32_e32 v2, 3, v0
	s_add_co_i32 s1, s11, s0
	s_cmp_ge_u32 s3, s10
	v_mov_b32_e32 v3, 0
	s_cselect_b32 s1, s1, 28
	s_cmp_lg_u32 s9, 0x84
	v_add_nc_u32_e32 v14, v2, v1
	s_cselect_b32 s31, -1, 0
	s_cmp_lg_u32 s8, 0x6f
	v_cmp_gt_i32_e64 s0, s29, v0
	s_cselect_b32 s33, -1, 0
	s_lshl_b64 s[16:17], s[16:17], 3
	v_cmp_gt_i32_e64 s1, s1, v0
	s_add_nc_u64 s[6:7], s[6:7], s[16:17]
	s_lshl_b64 s[8:9], s[12:13], 3
	v_add_nc_u64_e32 v[0:1], s[6:7], v[2:3]
	s_lshl_b64 s[10:11], s[22:23], 3
	s_lshl_b64 s[12:13], s[20:21], 3
	s_addk_co_i32 s34, 0xff20
	s_get_pc_i64 s[6:7]
	s_add_nc_u64 s[6:7], s[6:7], __const._ZL30rocblas_trsm_small_left_deviceILi28ELi28ELb0EddPKdPdEv13rocblas_fill_18rocblas_operation_17rocblas_diagonal_iiT3_T4_lilT5_lili.step_sizes@rel64+4
	v_lshl_add_u64 v[4:5], v[4:5], 3, s[14:15]
	s_branch .LBB98_4
.LBB98_2:                               ;   in Loop: Header=BB98_4 Depth=1
	s_add_co_i32 s2, s2, 0x10000
	s_delay_alu instid0(SALU_CYCLE_1)
	s_cmp_ge_u32 s2, s28
	s_cselect_b32 s3, -1, 0
	s_and_not1_b32 s37, s37, exec_lo
	s_or_not1_b32 s14, s3, exec_lo
.LBB98_3:                               ;   in Loop: Header=BB98_4 Depth=1
	s_wait_xcnt 0x0
	s_or_b32 exec_lo, exec_lo, s38
	s_delay_alu instid0(SALU_CYCLE_1) | instskip(NEXT) | instid1(SALU_CYCLE_1)
	s_and_b32 s3, exec_lo, s14
	s_or_b32 s35, s3, s35
	s_and_not1_b32 s3, s36, exec_lo
	s_and_b32 s14, s37, exec_lo
	s_delay_alu instid0(SALU_CYCLE_1)
	s_or_b32 s36, s3, s14
	s_and_not1_b32 exec_lo, exec_lo, s35
	s_cbranch_execz .LBB98_53
.LBB98_4:                               ; =>This Loop Header: Depth=1
                                        ;     Child Loop BB98_6 Depth 2
                                        ;     Child Loop BB98_14 Depth 2
                                        ;       Child Loop BB98_17 Depth 3
                                        ;         Child Loop BB98_18 Depth 4
                                        ;         Child Loop BB98_21 Depth 4
                                        ;           Child Loop BB98_22 Depth 5
                                        ;         Child Loop BB98_26 Depth 4
                                        ;           Child Loop BB98_28 Depth 5
                                        ;     Child Loop BB98_36 Depth 2
                                        ;       Child Loop BB98_39 Depth 3
                                        ;         Child Loop BB98_40 Depth 4
                                        ;         Child Loop BB98_42 Depth 4
                                        ;           Child Loop BB98_43 Depth 5
                                        ;         Child Loop BB98_47 Depth 4
                                        ;           Child Loop BB98_49 Depth 5
	s_mov_b32 s3, s19
	s_and_saveexec_b32 s14, s0
	s_cbranch_execz .LBB98_10
; %bb.5:                                ;   in Loop: Header=BB98_4 Depth=1
	v_mad_nc_u64_u32 v[6:7], s8, s2, v[0:1]
	v_mov_b32_e32 v3, v2
	s_mov_b32 s15, s29
	s_delay_alu instid0(VALU_DEP_2)
	v_mad_u32 v7, s9, s2, v7
.LBB98_6:                               ;   Parent Loop BB98_4 Depth=1
                                        ; =>  This Inner Loop Header: Depth=2
	global_load_b64 v[8:9], v[6:7], off
	s_wait_xcnt 0x0
	v_add_nc_u64_e32 v[6:7], s[10:11], v[6:7]
	s_add_co_i32 s15, s15, -1
	s_delay_alu instid0(SALU_CYCLE_1)
	s_cmp_eq_u32 s15, 0
	s_wait_loadcnt 0x0
	ds_store_b64 v3, v[8:9]
	v_add_nc_u32_e32 v3, 0xe0, v3
	s_cbranch_scc0 .LBB98_6
; %bb.7:                                ;   in Loop: Header=BB98_4 Depth=1
	v_mov_b64_e32 v[6:7], 1.0
	s_and_b32 vcc_lo, exec_lo, s31
	s_cbranch_vccz .LBB98_9
; %bb.8:                                ;   in Loop: Header=BB98_4 Depth=1
	ds_load_b64 v[6:7], v14
	s_wait_dscnt 0x0
	v_div_scale_f64 v[8:9], null, v[6:7], v[6:7], 1.0
	s_delay_alu instid0(VALU_DEP_1) | instskip(SKIP_1) | instid1(TRANS32_DEP_1)
	v_rcp_f64_e32 v[10:11], v[8:9]
	v_nop
	v_fma_f64 v[12:13], -v[8:9], v[10:11], 1.0
	s_delay_alu instid0(VALU_DEP_1) | instskip(NEXT) | instid1(VALU_DEP_1)
	v_fmac_f64_e32 v[10:11], v[10:11], v[12:13]
	v_fma_f64 v[12:13], -v[8:9], v[10:11], 1.0
	s_delay_alu instid0(VALU_DEP_1) | instskip(SKIP_1) | instid1(VALU_DEP_1)
	v_fmac_f64_e32 v[10:11], v[10:11], v[12:13]
	v_div_scale_f64 v[12:13], vcc_lo, 1.0, v[6:7], 1.0
	v_mul_f64_e32 v[16:17], v[12:13], v[10:11]
	s_delay_alu instid0(VALU_DEP_1) | instskip(NEXT) | instid1(VALU_DEP_1)
	v_fma_f64 v[8:9], -v[8:9], v[16:17], v[12:13]
	v_div_fmas_f64 v[8:9], v[8:9], v[10:11], v[16:17]
	s_delay_alu instid0(VALU_DEP_1)
	v_div_fixup_f64 v[6:7], v[8:9], v[6:7], 1.0
.LBB98_9:                               ;   in Loop: Header=BB98_4 Depth=1
	ds_store_b64 v14, v[6:7]
.LBB98_10:                              ;   in Loop: Header=BB98_4 Depth=1
	s_or_b32 exec_lo, exec_lo, s14
	s_mov_b32 s14, -1
	s_or_b32 s37, s37, exec_lo
	s_wait_dscnt 0x0
	; wave barrier
	s_and_saveexec_b32 s38, s1
	s_cbranch_execz .LBB98_3
; %bb.11:                               ;   in Loop: Header=BB98_4 Depth=1
	s_mul_u64 s[14:15], s[20:21], s[2:3]
	s_and_not1_b32 vcc_lo, exec_lo, s33
	v_lshl_add_u64 v[6:7], s[14:15], 3, v[4:5]
	s_mul_u64 s[14:15], s[12:13], s[2:3]
	s_mov_b32 s3, -1
	s_cbranch_vccnz .LBB98_33
; %bb.12:                               ;   in Loop: Header=BB98_4 Depth=1
	v_add_nc_u64_e32 v[8:9], s[14:15], v[4:5]
	s_mov_b32 s3, 0
	s_mov_b32 s16, 0
	s_branch .LBB98_14
.LBB98_13:                              ;   in Loop: Header=BB98_14 Depth=2
	s_cmp_lt_i32 s16, s29
	s_cselect_b32 s17, -1, 0
	s_add_co_i32 s18, s3, 1
	s_cmp_lt_u32 s3, 2
	s_wait_xcnt 0x0
	s_cselect_b32 s3, -1, 0
	s_delay_alu instid0(SALU_CYCLE_1) | instskip(NEXT) | instid1(SALU_CYCLE_1)
	s_and_b32 s3, s17, s3
	s_and_b32 vcc_lo, exec_lo, s3
	s_mov_b32 s3, s18
	s_cbranch_vccz .LBB98_32
.LBB98_14:                              ;   Parent Loop BB98_4 Depth=1
                                        ; =>  This Loop Header: Depth=2
                                        ;       Child Loop BB98_17 Depth 3
                                        ;         Child Loop BB98_18 Depth 4
                                        ;         Child Loop BB98_21 Depth 4
                                        ;           Child Loop BB98_22 Depth 5
                                        ;         Child Loop BB98_26 Depth 4
                                        ;           Child Loop BB98_28 Depth 5
	s_load_b32 s22, s[6:7], s3 offset:0x0 scale_offset
	s_wait_kmcnt 0x0
	s_add_co_i32 s39, s22, -1
	s_delay_alu instid0(SALU_CYCLE_1) | instskip(NEXT) | instid1(SALU_CYCLE_1)
	s_add_co_i32 s17, s39, s16
	s_cmp_ge_i32 s17, s29
	s_cbranch_scc1 .LBB98_13
; %bb.15:                               ;   in Loop: Header=BB98_14 Depth=2
	s_ashr_i32 s17, s16, 31
	s_ashr_i32 s23, s22, 31
	v_lshl_add_u64 v[10:11], s[16:17], 3, v[8:9]
	s_max_i32 s40, s22, 1
	s_lshl_b64 s[24:25], s[22:23], 3
	s_mul_i32 s17, s16, 0xe0
	s_mul_i32 s23, s22, 0xe0
	;; [unrolled: 1-line block ×4, first 2 shown]
	s_branch .LBB98_17
.LBB98_16:                              ;   in Loop: Header=BB98_17 Depth=3
	v_add_nc_u64_e32 v[10:11], s[24:25], v[10:11]
	s_add_co_i32 s16, s16, s22
	s_add_co_i32 s17, s17, s23
	;; [unrolled: 1-line block ×4, first 2 shown]
	s_cmp_ge_i32 s18, s29
	s_cbranch_scc1 .LBB98_13
.LBB98_17:                              ;   Parent Loop BB98_4 Depth=1
                                        ;     Parent Loop BB98_14 Depth=2
                                        ; =>    This Loop Header: Depth=3
                                        ;         Child Loop BB98_18 Depth 4
                                        ;         Child Loop BB98_21 Depth 4
                                        ;           Child Loop BB98_22 Depth 5
                                        ;         Child Loop BB98_26 Depth 4
                                        ;           Child Loop BB98_28 Depth 5
	s_wait_xcnt 0x0
	v_mov_b64_e32 v[12:13], v[10:11]
	s_mov_b32 s18, 0
	s_mov_b32 s26, s40
.LBB98_18:                              ;   Parent Loop BB98_4 Depth=1
                                        ;     Parent Loop BB98_14 Depth=2
                                        ;       Parent Loop BB98_17 Depth=3
                                        ; =>      This Inner Loop Header: Depth=4
	global_load_b64 v[16:17], v[12:13], off
	s_wait_xcnt 0x0
	v_add_nc_u64_e32 v[12:13], 8, v[12:13]
	s_add_co_i32 s26, s26, -1
	s_wait_loadcnt 0x0
	v_mul_f64_e32 v[16:17], s[4:5], v[16:17]
	scratch_store_b64 off, v[16:17], s18
	s_wait_xcnt 0x0
	s_add_co_i32 s18, s18, 8
	s_cmp_eq_u32 s26, 0
	s_cbranch_scc0 .LBB98_18
; %bb.19:                               ;   in Loop: Header=BB98_17 Depth=3
	s_cmp_lt_i32 s16, 1
	s_cbranch_scc1 .LBB98_24
; %bb.20:                               ;   in Loop: Header=BB98_17 Depth=3
	s_mov_b32 s18, 0
	s_mov_b32 s26, s17
.LBB98_21:                              ;   Parent Loop BB98_4 Depth=1
                                        ;     Parent Loop BB98_14 Depth=2
                                        ;       Parent Loop BB98_17 Depth=3
                                        ; =>      This Loop Header: Depth=4
                                        ;           Child Loop BB98_22 Depth 5
	v_lshl_add_u64 v[12:13], s[18:19], 3, v[6:7]
	s_mov_b32 s27, 0
	s_mov_b32 s43, s26
	s_mov_b32 s44, s40
	global_load_b64 v[12:13], v[12:13], off
.LBB98_22:                              ;   Parent Loop BB98_4 Depth=1
                                        ;     Parent Loop BB98_14 Depth=2
                                        ;       Parent Loop BB98_17 Depth=3
                                        ;         Parent Loop BB98_21 Depth=4
                                        ; =>        This Inner Loop Header: Depth=5
	scratch_load_b64 v[16:17], off, s27
	v_mov_b32_e32 v3, s43
	s_add_co_i32 s44, s44, -1
	s_addk_co_i32 s43, 0xe0
	ds_load_b64 v[18:19], v3
	s_wait_loadcnt_dscnt 0x0
	v_fma_f64 v[16:17], -v[12:13], v[18:19], v[16:17]
	scratch_store_b64 off, v[16:17], s27
	s_wait_xcnt 0x0
	s_add_co_i32 s27, s27, 8
	s_cmp_eq_u32 s44, 0
	s_cbranch_scc0 .LBB98_22
; %bb.23:                               ;   in Loop: Header=BB98_21 Depth=4
	s_add_co_i32 s18, s18, 1
	s_add_co_i32 s26, s26, 8
	s_cmp_eq_u32 s18, s16
	s_cbranch_scc0 .LBB98_21
.LBB98_24:                              ;   in Loop: Header=BB98_17 Depth=3
	s_mov_b32 s18, 0
	s_mov_b32 s43, s41
	s_branch .LBB98_26
.LBB98_25:                              ;   in Loop: Header=BB98_26 Depth=4
	s_mul_i32 s27, s26, 0xe8
	s_wait_xcnt 0x1
	s_lshl_b32 s44, s18, 3
	v_mov_b32_e32 v3, s27
	s_ashr_i32 s27, s26, 31
	s_add_co_i32 s18, s18, 1
	s_addk_co_i32 s43, 0xe0
	s_cmp_eq_u32 s18, s40
	s_wait_xcnt 0x0
	ds_load_b64 v[16:17], v3
	s_wait_loadcnt_dscnt 0x0
	v_mul_f64_e32 v[12:13], v[16:17], v[12:13]
	v_lshl_add_u64 v[16:17], s[26:27], 3, v[6:7]
	scratch_store_b64 off, v[12:13], s44
	global_store_b64 v[16:17], v[12:13], off
	s_cbranch_scc1 .LBB98_16
.LBB98_26:                              ;   Parent Loop BB98_4 Depth=1
                                        ;     Parent Loop BB98_14 Depth=2
                                        ;       Parent Loop BB98_17 Depth=3
                                        ; =>      This Loop Header: Depth=4
                                        ;           Child Loop BB98_28 Depth 5
	s_cmp_lg_u32 s18, 0
	s_cbranch_scc0 .LBB98_30
; %bb.27:                               ;   in Loop: Header=BB98_26 Depth=4
	s_lshl_b32 s27, s18, 3
	s_add_co_i32 s26, s18, s16
	scratch_load_b64 v[12:13], off, s27
	s_mov_b32 s44, 0
	s_mov_b32 s45, s43
	;; [unrolled: 1-line block ×3, first 2 shown]
.LBB98_28:                              ;   Parent Loop BB98_4 Depth=1
                                        ;     Parent Loop BB98_14 Depth=2
                                        ;       Parent Loop BB98_17 Depth=3
                                        ;         Parent Loop BB98_26 Depth=4
                                        ; =>        This Inner Loop Header: Depth=5
	scratch_load_b64 v[16:17], off, s44
	v_mov_b32_e32 v3, s45
	s_add_co_i32 s46, s46, -1
	s_wait_xcnt 0x0
	s_add_co_i32 s44, s44, 8
	s_add_co_i32 s45, s45, 8
	s_cmp_eq_u32 s46, 0
	ds_load_b64 v[18:19], v3
	s_wait_loadcnt_dscnt 0x0
	v_fma_f64 v[12:13], -v[16:17], v[18:19], v[12:13]
	scratch_store_b64 off, v[12:13], s27
	s_cbranch_scc0 .LBB98_28
; %bb.29:                               ;   in Loop: Header=BB98_26 Depth=4
	s_wait_xcnt 0x0
	s_branch .LBB98_25
.LBB98_30:                              ;   in Loop: Header=BB98_26 Depth=4
                                        ; implicit-def: $vgpr12_vgpr13
                                        ; implicit-def: $sgpr26
	s_cbranch_execz .LBB98_25
; %bb.31:                               ;   in Loop: Header=BB98_26 Depth=4
	scratch_load_b64 v[12:13], off, off
	s_mov_b32 s26, s16
	s_branch .LBB98_25
.LBB98_32:                              ;   in Loop: Header=BB98_4 Depth=1
	s_mov_b32 s3, 0
.LBB98_33:                              ;   in Loop: Header=BB98_4 Depth=1
	s_delay_alu instid0(SALU_CYCLE_1)
	s_and_b32 vcc_lo, exec_lo, s3
	s_cbranch_vccz .LBB98_2
; %bb.34:                               ;   in Loop: Header=BB98_4 Depth=1
	v_add_nc_u64_e32 v[8:9], s[14:15], v[4:5]
	s_mov_b32 s3, 0
	s_mov_b32 s14, s30
	s_branch .LBB98_36
.LBB98_35:                              ;   in Loop: Header=BB98_36 Depth=2
	s_cmp_gt_i32 s14, -1
	s_cselect_b32 s15, -1, 0
	s_add_co_i32 s16, s3, 1
	s_cmp_lt_u32 s3, 2
	s_wait_xcnt 0x0
	s_cselect_b32 s3, -1, 0
	s_delay_alu instid0(SALU_CYCLE_1) | instskip(NEXT) | instid1(SALU_CYCLE_1)
	s_and_b32 s3, s15, s3
	s_and_not1_b32 vcc_lo, exec_lo, s3
	s_mov_b32 s3, s16
	s_cbranch_vccnz .LBB98_2
.LBB98_36:                              ;   Parent Loop BB98_4 Depth=1
                                        ; =>  This Loop Header: Depth=2
                                        ;       Child Loop BB98_39 Depth 3
                                        ;         Child Loop BB98_40 Depth 4
                                        ;         Child Loop BB98_42 Depth 4
                                        ;           Child Loop BB98_43 Depth 5
                                        ;         Child Loop BB98_47 Depth 4
                                        ;           Child Loop BB98_49 Depth 5
	s_load_b32 s18, s[6:7], s3 offset:0x0 scale_offset
	s_wait_kmcnt 0x0
	s_add_co_i32 s24, s18, -1
	s_delay_alu instid0(SALU_CYCLE_1)
	s_cmp_lt_i32 s14, s24
	s_cbranch_scc1 .LBB98_35
; %bb.37:                               ;   in Loop: Header=BB98_36 Depth=2
	s_lshl_b32 s15, s14, 3
	s_lshl_b32 s16, s18, 3
	s_max_i32 s25, s18, 1
	s_add_co_i32 s26, s34, s15
	s_sub_co_i32 s27, 0, s16
	s_mul_i32 s39, s14, 0xe8
	s_mul_i32 s40, s18, 0xffffff18
	s_branch .LBB98_39
.LBB98_38:                              ;   in Loop: Header=BB98_39 Depth=3
	s_sub_co_i32 s14, s14, s18
	s_add_co_i32 s26, s26, s27
	s_add_co_i32 s39, s39, s40
	s_cmp_lt_i32 s14, s24
	s_cbranch_scc1 .LBB98_35
.LBB98_39:                              ;   Parent Loop BB98_4 Depth=1
                                        ;     Parent Loop BB98_36 Depth=2
                                        ; =>    This Loop Header: Depth=3
                                        ;         Child Loop BB98_40 Depth 4
                                        ;         Child Loop BB98_42 Depth 4
                                        ;           Child Loop BB98_43 Depth 5
                                        ;         Child Loop BB98_47 Depth 4
                                        ;           Child Loop BB98_49 Depth 5
	s_ashr_i32 s15, s14, 31
	s_mov_b32 s16, 0
	s_wait_xcnt 0x0
	v_lshl_add_u64 v[10:11], s[14:15], 3, v[8:9]
	s_mov_b32 s17, s25
.LBB98_40:                              ;   Parent Loop BB98_4 Depth=1
                                        ;     Parent Loop BB98_36 Depth=2
                                        ;       Parent Loop BB98_39 Depth=3
                                        ; =>      This Inner Loop Header: Depth=4
	global_load_b64 v[12:13], v[10:11], off
	s_wait_xcnt 0x0
	v_add_nc_u64_e32 v[10:11], -8, v[10:11]
	s_add_co_i32 s17, s17, -1
	s_wait_loadcnt 0x0
	v_mul_f64_e32 v[12:13], s[4:5], v[12:13]
	scratch_store_b64 off, v[12:13], s16
	s_wait_xcnt 0x0
	s_add_co_i32 s16, s16, 8
	s_cmp_eq_u32 s17, 0
	s_cbranch_scc0 .LBB98_40
; %bb.41:                               ;   in Loop: Header=BB98_39 Depth=3
	s_cmp_le_i32 s30, s14
	s_mov_b32 s22, s26
	s_mov_b32 s16, s30
	s_cbranch_scc1 .LBB98_45
.LBB98_42:                              ;   Parent Loop BB98_4 Depth=1
                                        ;     Parent Loop BB98_36 Depth=2
                                        ;       Parent Loop BB98_39 Depth=3
                                        ; =>      This Loop Header: Depth=4
                                        ;           Child Loop BB98_43 Depth 5
	s_ashr_i32 s17, s16, 31
	s_mov_b32 s23, s22
	v_lshl_add_u64 v[10:11], s[16:17], 3, v[6:7]
	s_mov_b32 s17, 0
	s_mov_b32 s41, s25
	global_load_b64 v[10:11], v[10:11], off
.LBB98_43:                              ;   Parent Loop BB98_4 Depth=1
                                        ;     Parent Loop BB98_36 Depth=2
                                        ;       Parent Loop BB98_39 Depth=3
                                        ;         Parent Loop BB98_42 Depth=4
                                        ; =>        This Inner Loop Header: Depth=5
	scratch_load_b64 v[12:13], off, s17
	v_mov_b32_e32 v3, s23
	s_add_co_i32 s41, s41, -1
	s_add_co_i32 s23, s23, -8
	ds_load_b64 v[16:17], v3
	s_wait_loadcnt_dscnt 0x0
	v_fma_f64 v[12:13], -v[10:11], v[16:17], v[12:13]
	scratch_store_b64 off, v[12:13], s17
	s_wait_xcnt 0x0
	s_add_co_i32 s17, s17, 8
	s_cmp_eq_u32 s41, 0
	s_cbranch_scc0 .LBB98_43
; %bb.44:                               ;   in Loop: Header=BB98_42 Depth=4
	s_add_co_i32 s16, s16, -1
	s_addk_co_i32 s22, 0xff20
	s_cmp_le_i32 s16, s14
	s_cbranch_scc0 .LBB98_42
.LBB98_45:                              ;   in Loop: Header=BB98_39 Depth=3
	s_mov_b32 s41, 0
	s_mov_b32 s42, s39
	s_branch .LBB98_47
.LBB98_46:                              ;   in Loop: Header=BB98_47 Depth=4
	s_wait_xcnt 0x1
	s_mulk_i32 s22, 0xe8
	s_add_co_i32 s42, s42, -8
	v_mov_b32_e32 v3, s22
	s_lshl_b32 s22, s41, 3
	s_add_co_i32 s41, s41, 1
	s_delay_alu instid0(SALU_CYCLE_1)
	s_cmp_eq_u32 s41, s25
	s_wait_xcnt 0x0
	ds_load_b64 v[12:13], v3
	s_wait_loadcnt_dscnt 0x0
	v_mul_f64_e32 v[10:11], v[12:13], v[10:11]
	v_lshl_add_u64 v[12:13], s[16:17], 3, v[6:7]
	scratch_store_b64 off, v[10:11], s22
	global_store_b64 v[12:13], v[10:11], off
	s_cbranch_scc1 .LBB98_38
.LBB98_47:                              ;   Parent Loop BB98_4 Depth=1
                                        ;     Parent Loop BB98_36 Depth=2
                                        ;       Parent Loop BB98_39 Depth=3
                                        ; =>      This Loop Header: Depth=4
                                        ;           Child Loop BB98_49 Depth 5
	s_cmp_lg_u32 s41, 0
	s_cbranch_scc0 .LBB98_51
; %bb.48:                               ;   in Loop: Header=BB98_47 Depth=4
	s_lshl_b32 s16, s41, 3
	s_mov_b32 s17, 0
	scratch_load_b64 v[10:11], off, s16
	s_mov_b32 s22, s42
	s_mov_b32 s23, s41
.LBB98_49:                              ;   Parent Loop BB98_4 Depth=1
                                        ;     Parent Loop BB98_36 Depth=2
                                        ;       Parent Loop BB98_39 Depth=3
                                        ;         Parent Loop BB98_47 Depth=4
                                        ; =>        This Inner Loop Header: Depth=5
	scratch_load_b64 v[12:13], off, s17
	v_mov_b32_e32 v3, s22
	s_add_co_i32 s23, s23, -1
	s_addk_co_i32 s22, 0xff20
	s_wait_xcnt 0x0
	s_add_co_i32 s17, s17, 8
	s_cmp_eq_u32 s23, 0
	ds_load_b64 v[16:17], v3
	s_wait_loadcnt_dscnt 0x0
	v_fma_f64 v[10:11], -v[12:13], v[16:17], v[10:11]
	scratch_store_b64 off, v[10:11], s16
	s_cbranch_scc0 .LBB98_49
; %bb.50:                               ;   in Loop: Header=BB98_47 Depth=4
	s_sub_co_i32 s22, s14, s41
	s_delay_alu instid0(SALU_CYCLE_1)
	s_ashr_i32 s23, s22, 31
	s_wait_xcnt 0x0
	s_mov_b64 s[16:17], s[22:23]
	s_branch .LBB98_46
.LBB98_51:                              ;   in Loop: Header=BB98_47 Depth=4
                                        ; implicit-def: $vgpr10_vgpr11
                                        ; implicit-def: $sgpr22
                                        ; implicit-def: $sgpr16_sgpr17
	s_cbranch_execz .LBB98_46
; %bb.52:                               ;   in Loop: Header=BB98_47 Depth=4
	scratch_load_b64 v[10:11], off, off
	s_mov_b64 s[16:17], s[14:15]
	s_mov_b32 s22, s14
	s_branch .LBB98_46
.LBB98_53:
	s_or_b32 exec_lo, exec_lo, s35
	s_and_saveexec_b32 s0, s36
	s_delay_alu instid0(SALU_CYCLE_1)
	s_xor_b32 s0, exec_lo, s0
.LBB98_54:
	s_endpgm
	.section	.rodata,"a",@progbits
	.p2align	6, 0x0
	.amdhsa_kernel _ZL30rocblas_trsm_small_left_deviceILi28ELi28ELb0EddPKdPdEv13rocblas_fill_18rocblas_operation_17rocblas_diagonal_iiT3_T4_lilT5_lili
		.amdhsa_group_segment_fixed_size 6272
		.amdhsa_private_segment_fixed_size 240
		.amdhsa_kernarg_size 360
		.amdhsa_user_sgpr_count 2
		.amdhsa_user_sgpr_dispatch_ptr 0
		.amdhsa_user_sgpr_queue_ptr 0
		.amdhsa_user_sgpr_kernarg_segment_ptr 1
		.amdhsa_user_sgpr_dispatch_id 0
		.amdhsa_user_sgpr_kernarg_preload_length 0
		.amdhsa_user_sgpr_kernarg_preload_offset 0
		.amdhsa_user_sgpr_private_segment_size 0
		.amdhsa_wavefront_size32 1
		.amdhsa_uses_dynamic_stack 0
		.amdhsa_enable_private_segment 1
		.amdhsa_system_sgpr_workgroup_id_x 1
		.amdhsa_system_sgpr_workgroup_id_y 0
		.amdhsa_system_sgpr_workgroup_id_z 1
		.amdhsa_system_sgpr_workgroup_info 0
		.amdhsa_system_vgpr_workitem_id 0
		.amdhsa_next_free_vgpr 20
		.amdhsa_next_free_sgpr 47
		.amdhsa_named_barrier_count 0
		.amdhsa_reserve_vcc 1
		.amdhsa_float_round_mode_32 0
		.amdhsa_float_round_mode_16_64 0
		.amdhsa_float_denorm_mode_32 3
		.amdhsa_float_denorm_mode_16_64 3
		.amdhsa_fp16_overflow 0
		.amdhsa_memory_ordered 1
		.amdhsa_forward_progress 1
		.amdhsa_inst_pref_size 16
		.amdhsa_round_robin_scheduling 0
		.amdhsa_exception_fp_ieee_invalid_op 0
		.amdhsa_exception_fp_denorm_src 0
		.amdhsa_exception_fp_ieee_div_zero 0
		.amdhsa_exception_fp_ieee_overflow 0
		.amdhsa_exception_fp_ieee_underflow 0
		.amdhsa_exception_fp_ieee_inexact 0
		.amdhsa_exception_int_div_zero 0
	.end_amdhsa_kernel
	.section	.text._ZL30rocblas_trsm_small_left_deviceILi28ELi28ELb0EddPKdPdEv13rocblas_fill_18rocblas_operation_17rocblas_diagonal_iiT3_T4_lilT5_lili,"axG",@progbits,_ZL30rocblas_trsm_small_left_deviceILi28ELi28ELb0EddPKdPdEv13rocblas_fill_18rocblas_operation_17rocblas_diagonal_iiT3_T4_lilT5_lili,comdat
.Lfunc_end98:
	.size	_ZL30rocblas_trsm_small_left_deviceILi28ELi28ELb0EddPKdPdEv13rocblas_fill_18rocblas_operation_17rocblas_diagonal_iiT3_T4_lilT5_lili, .Lfunc_end98-_ZL30rocblas_trsm_small_left_deviceILi28ELi28ELb0EddPKdPdEv13rocblas_fill_18rocblas_operation_17rocblas_diagonal_iiT3_T4_lilT5_lili
                                        ; -- End function
	.set _ZL30rocblas_trsm_small_left_deviceILi28ELi28ELb0EddPKdPdEv13rocblas_fill_18rocblas_operation_17rocblas_diagonal_iiT3_T4_lilT5_lili.num_vgpr, 20
	.set _ZL30rocblas_trsm_small_left_deviceILi28ELi28ELb0EddPKdPdEv13rocblas_fill_18rocblas_operation_17rocblas_diagonal_iiT3_T4_lilT5_lili.num_agpr, 0
	.set _ZL30rocblas_trsm_small_left_deviceILi28ELi28ELb0EddPKdPdEv13rocblas_fill_18rocblas_operation_17rocblas_diagonal_iiT3_T4_lilT5_lili.numbered_sgpr, 47
	.set _ZL30rocblas_trsm_small_left_deviceILi28ELi28ELb0EddPKdPdEv13rocblas_fill_18rocblas_operation_17rocblas_diagonal_iiT3_T4_lilT5_lili.num_named_barrier, 0
	.set _ZL30rocblas_trsm_small_left_deviceILi28ELi28ELb0EddPKdPdEv13rocblas_fill_18rocblas_operation_17rocblas_diagonal_iiT3_T4_lilT5_lili.private_seg_size, 240
	.set _ZL30rocblas_trsm_small_left_deviceILi28ELi28ELb0EddPKdPdEv13rocblas_fill_18rocblas_operation_17rocblas_diagonal_iiT3_T4_lilT5_lili.uses_vcc, 1
	.set _ZL30rocblas_trsm_small_left_deviceILi28ELi28ELb0EddPKdPdEv13rocblas_fill_18rocblas_operation_17rocblas_diagonal_iiT3_T4_lilT5_lili.uses_flat_scratch, 0
	.set _ZL30rocblas_trsm_small_left_deviceILi28ELi28ELb0EddPKdPdEv13rocblas_fill_18rocblas_operation_17rocblas_diagonal_iiT3_T4_lilT5_lili.has_dyn_sized_stack, 0
	.set _ZL30rocblas_trsm_small_left_deviceILi28ELi28ELb0EddPKdPdEv13rocblas_fill_18rocblas_operation_17rocblas_diagonal_iiT3_T4_lilT5_lili.has_recursion, 0
	.set _ZL30rocblas_trsm_small_left_deviceILi28ELi28ELb0EddPKdPdEv13rocblas_fill_18rocblas_operation_17rocblas_diagonal_iiT3_T4_lilT5_lili.has_indirect_call, 0
	.section	.AMDGPU.csdata,"",@progbits
; Kernel info:
; codeLenInByte = 2028
; TotalNumSgprs: 49
; NumVgprs: 20
; ScratchSize: 240
; MemoryBound: 0
; FloatMode: 240
; IeeeMode: 1
; LDSByteSize: 6272 bytes/workgroup (compile time only)
; SGPRBlocks: 0
; VGPRBlocks: 1
; NumSGPRsForWavesPerEU: 49
; NumVGPRsForWavesPerEU: 20
; NamedBarCnt: 0
; Occupancy: 13
; WaveLimiterHint : 0
; COMPUTE_PGM_RSRC2:SCRATCH_EN: 1
; COMPUTE_PGM_RSRC2:USER_SGPR: 2
; COMPUTE_PGM_RSRC2:TRAP_HANDLER: 0
; COMPUTE_PGM_RSRC2:TGID_X_EN: 1
; COMPUTE_PGM_RSRC2:TGID_Y_EN: 0
; COMPUTE_PGM_RSRC2:TGID_Z_EN: 1
; COMPUTE_PGM_RSRC2:TIDIG_COMP_CNT: 0
	.section	.text._ZL38rocblas_trsm_small_left_device_sharedBILi28ELi28ELb1EddPKdPdEv13rocblas_fill_18rocblas_operation_17rocblas_diagonal_iiT3_T4_lilT5_lili,"axG",@progbits,_ZL38rocblas_trsm_small_left_device_sharedBILi28ELi28ELb1EddPKdPdEv13rocblas_fill_18rocblas_operation_17rocblas_diagonal_iiT3_T4_lilT5_lili,comdat
	.globl	_ZL38rocblas_trsm_small_left_device_sharedBILi28ELi28ELb1EddPKdPdEv13rocblas_fill_18rocblas_operation_17rocblas_diagonal_iiT3_T4_lilT5_lili ; -- Begin function _ZL38rocblas_trsm_small_left_device_sharedBILi28ELi28ELb1EddPKdPdEv13rocblas_fill_18rocblas_operation_17rocblas_diagonal_iiT3_T4_lilT5_lili
	.p2align	8
	.type	_ZL38rocblas_trsm_small_left_device_sharedBILi28ELi28ELb1EddPKdPdEv13rocblas_fill_18rocblas_operation_17rocblas_diagonal_iiT3_T4_lilT5_lili,@function
_ZL38rocblas_trsm_small_left_device_sharedBILi28ELi28ELb1EddPKdPdEv13rocblas_fill_18rocblas_operation_17rocblas_diagonal_iiT3_T4_lilT5_lili: ; @_ZL38rocblas_trsm_small_left_device_sharedBILi28ELi28ELb1EddPKdPdEv13rocblas_fill_18rocblas_operation_17rocblas_diagonal_iiT3_T4_lilT5_lili
; %bb.0:
	s_load_b32 s19, s[0:1], 0x60
	s_bfe_u32 s2, ttmp6, 0x40014
	s_lshr_b32 s3, ttmp7, 16
	s_add_co_i32 s2, s2, 1
	s_bfe_u32 s5, ttmp6, 0x40008
	s_mul_i32 s4, s3, s2
	s_getreg_b32 s2, hwreg(HW_REG_IB_STS2, 6, 4)
	s_add_co_i32 s5, s5, s4
	s_cmp_eq_u32 s2, 0
	s_cselect_b32 s23, s3, s5
	s_wait_kmcnt 0x0
	s_cmp_ge_u32 s23, s19
	s_cbranch_scc1 .LBB99_57
; %bb.1:
	s_clause 0x4
	s_load_b96 s[16:18], s[0:1], 0x28
	s_load_b96 s[20:22], s[0:1], 0x48
	s_load_b128 s[12:15], s[0:1], 0x4
	s_load_b32 s3, s[0:1], 0x68
	s_load_b64 s[26:27], s[0:1], 0x58
	s_bfe_u32 s8, ttmp6, 0x4000c
	s_load_b128 s[4:7], s[0:1], 0x18
	s_add_co_i32 s8, s8, 1
	s_and_b32 s24, ttmp6, 15
	s_mul_i32 s25, ttmp9, s8
	s_load_b128 s[8:11], s[0:1], 0x38
	s_wait_xcnt 0x0
	s_add_co_i32 s0, s24, s25
	v_dual_mov_b32 v3, 0 :: v_dual_lshlrev_b32 v2, 3, v0
	s_delay_alu instid0(VALU_DEP_1)
	v_add_nc_u32_e32 v10, 0x1880, v2
	s_wait_kmcnt 0x0
	s_ashr_i32 s29, s18, 31
	s_ashr_i32 s25, s22, 31
	s_min_i32 s1, s14, 28
	s_add_co_i32 s3, s3, -1
	s_add_co_i32 s24, s1, -1
	s_cmp_eq_u32 s2, 0
	s_mov_b32 s28, s18
	s_cselect_b32 s0, ttmp9, s0
	s_delay_alu instid0(SALU_CYCLE_1) | instskip(NEXT) | instid1(SALU_CYCLE_1)
	s_mul_i32 s2, s0, 0xffffffe4
	s_add_co_i32 s15, s15, s2
	s_cmp_ge_u32 s0, s3
	s_mul_i32 s2, s0, 28
	s_cselect_b32 s0, s15, 28
	s_ashr_i32 s3, s2, 31
	s_cmp_lg_u32 s13, 0x84
	v_lshl_add_u64 v[6:7], s[2:3], 3, v[2:3]
	s_cselect_b32 s13, -1, 0
	s_cmp_gt_i32 s14, 0
	v_cmp_gt_i32_e32 vcc_lo, s0, v0
	s_cselect_b32 s14, -1, 0
	s_cmp_lg_u32 s12, 0x6f
	v_cmp_gt_i32_e64 s0, s1, v0
	s_cselect_b32 s12, -1, 0
	s_lshl_b64 s[2:3], s[20:21], 3
	s_lshl_b32 s15, s1, 3
	s_add_nc_u64 s[2:3], s[10:11], s[2:3]
	s_and_b32 s14, vcc_lo, s14
	v_mad_nc_u64_u32 v[4:5], v6, s22, s[2:3]
	s_lshl_b64 s[2:3], s[16:17], 3
	s_lshl_b64 s[10:11], s[26:27], 3
	s_add_nc_u64 s[2:3], s[6:7], s[2:3]
	s_lshl_b64 s[6:7], s[28:29], 3
	s_add_co_i32 s15, s15, -8
	s_delay_alu instid0(VALU_DEP_1) | instskip(SKIP_1) | instid1(VALU_DEP_2)
	v_mad_u32 v1, v7, s22, v5
	v_mul_u32_u24_e32 v7, 0xe0, v0
	v_mad_u32 v5, v6, s25, v1
	v_add_nc_u64_e32 v[0:1], s[2:3], v[2:3]
	s_delay_alu instid0(VALU_DEP_3)
	v_add_nc_u32_e32 v3, v2, v7
	s_lshl_b64 s[2:3], s[8:9], 3
	s_get_pc_i64 s[8:9]
	s_add_nc_u64 s[8:9], s[8:9], __const._ZL38rocblas_trsm_small_left_device_sharedBILi28ELi28ELb1EddPKdPdEv13rocblas_fill_18rocblas_operation_17rocblas_diagonal_iiT3_T4_lilT5_lili.step_sizes@rel64+4
	s_branch .LBB99_3
.LBB99_2:                               ;   in Loop: Header=BB99_3 Depth=1
	s_or_b32 exec_lo, exec_lo, s16
	s_add_co_i32 s23, s23, 0x10000
	s_delay_alu instid0(SALU_CYCLE_1)
	s_cmp_lt_u32 s23, s19
	s_cbranch_scc0 .LBB99_57
.LBB99_3:                               ; =>This Loop Header: Depth=1
                                        ;     Child Loop BB99_5 Depth 2
                                        ;     Child Loop BB99_11 Depth 2
	;; [unrolled: 1-line block ×3, first 2 shown]
                                        ;       Child Loop BB99_18 Depth 3
                                        ;         Child Loop BB99_19 Depth 4
                                        ;         Child Loop BB99_21 Depth 4
                                        ;           Child Loop BB99_22 Depth 5
                                        ;         Child Loop BB99_26 Depth 4
                                        ;           Child Loop BB99_28 Depth 5
                                        ;     Child Loop BB99_36 Depth 2
                                        ;       Child Loop BB99_39 Depth 3
                                        ;         Child Loop BB99_40 Depth 4
                                        ;         Child Loop BB99_43 Depth 4
                                        ;           Child Loop BB99_44 Depth 5
                                        ;         Child Loop BB99_48 Depth 4
                                        ;           Child Loop BB99_50 Depth 5
                                        ;     Child Loop BB99_56 Depth 2
	s_and_saveexec_b32 s16, s0
	s_cbranch_execz .LBB99_9
; %bb.4:                                ;   in Loop: Header=BB99_3 Depth=1
	v_mad_nc_u64_u32 v[6:7], s2, s23, v[0:1]
	v_mov_b32_e32 v8, v2
	s_mov_b32 s17, s1
	s_delay_alu instid0(VALU_DEP_2)
	v_mad_u32 v7, s3, s23, v7
.LBB99_5:                               ;   Parent Loop BB99_3 Depth=1
                                        ; =>  This Inner Loop Header: Depth=2
	global_load_b64 v[12:13], v[6:7], off
	s_wait_xcnt 0x0
	v_add_nc_u64_e32 v[6:7], s[6:7], v[6:7]
	s_add_co_i32 s17, s17, -1
	s_delay_alu instid0(SALU_CYCLE_1)
	s_cmp_eq_u32 s17, 0
	s_wait_loadcnt 0x0
	ds_store_b64 v8, v[12:13]
	v_add_nc_u32_e32 v8, 0xe0, v8
	s_cbranch_scc0 .LBB99_5
; %bb.6:                                ;   in Loop: Header=BB99_3 Depth=1
	v_mov_b64_e32 v[6:7], 1.0
	s_and_b32 vcc_lo, exec_lo, s13
	s_cbranch_vccz .LBB99_8
; %bb.7:                                ;   in Loop: Header=BB99_3 Depth=1
	ds_load_b64 v[6:7], v3
	s_wait_dscnt 0x0
	v_div_scale_f64 v[8:9], null, v[6:7], v[6:7], 1.0
	s_delay_alu instid0(VALU_DEP_1) | instskip(SKIP_1) | instid1(TRANS32_DEP_1)
	v_rcp_f64_e32 v[12:13], v[8:9]
	v_nop
	v_fma_f64 v[14:15], -v[8:9], v[12:13], 1.0
	s_delay_alu instid0(VALU_DEP_1) | instskip(NEXT) | instid1(VALU_DEP_1)
	v_fmac_f64_e32 v[12:13], v[12:13], v[14:15]
	v_fma_f64 v[14:15], -v[8:9], v[12:13], 1.0
	s_delay_alu instid0(VALU_DEP_1) | instskip(SKIP_1) | instid1(VALU_DEP_1)
	v_fmac_f64_e32 v[12:13], v[12:13], v[14:15]
	v_div_scale_f64 v[14:15], vcc_lo, 1.0, v[6:7], 1.0
	v_mul_f64_e32 v[16:17], v[14:15], v[12:13]
	s_delay_alu instid0(VALU_DEP_1) | instskip(NEXT) | instid1(VALU_DEP_1)
	v_fma_f64 v[8:9], -v[8:9], v[16:17], v[14:15]
	v_div_fmas_f64 v[8:9], v[8:9], v[12:13], v[16:17]
	s_delay_alu instid0(VALU_DEP_1)
	v_div_fixup_f64 v[6:7], v[8:9], v[6:7], 1.0
.LBB99_8:                               ;   in Loop: Header=BB99_3 Depth=1
	ds_store_b64 v3, v[6:7]
.LBB99_9:                               ;   in Loop: Header=BB99_3 Depth=1
	s_or_b32 exec_lo, exec_lo, s16
	s_delay_alu instid0(VALU_DEP_3) | instskip(NEXT) | instid1(VALU_DEP_1)
	v_mad_nc_u64_u32 v[6:7], s10, s23, v[4:5]
	v_mad_u32 v7, s11, s23, v7
	s_and_saveexec_b32 s16, s14
	s_cbranch_execz .LBB99_12
; %bb.10:                               ;   in Loop: Header=BB99_3 Depth=1
	s_delay_alu instid0(VALU_DEP_1)
	v_mov_b64_e32 v[8:9], v[6:7]
	v_mov_b32_e32 v11, v10
	s_mov_b32 s17, s1
.LBB99_11:                              ;   Parent Loop BB99_3 Depth=1
                                        ; =>  This Inner Loop Header: Depth=2
	global_load_b64 v[12:13], v[8:9], off
	s_wait_xcnt 0x0
	v_add_nc_u64_e32 v[8:9], 8, v[8:9]
	s_add_co_i32 s17, s17, -1
	s_delay_alu instid0(SALU_CYCLE_1)
	s_cmp_lg_u32 s17, 0
	s_wait_loadcnt 0x0
	v_mul_f64_e32 v[12:13], s[4:5], v[12:13]
	ds_store_b64 v11, v[12:13]
	v_add_nc_u32_e32 v11, 0xe0, v11
	s_cbranch_scc1 .LBB99_11
.LBB99_12:                              ;   in Loop: Header=BB99_3 Depth=1
	s_or_b32 exec_lo, exec_lo, s16
	s_delay_alu instid0(SALU_CYCLE_1)
	s_and_not1_b32 vcc_lo, exec_lo, s12
	s_mov_b32 s16, -1
	s_wait_dscnt 0x0
	; wave barrier
	s_cbranch_vccnz .LBB99_33
; %bb.13:                               ;   in Loop: Header=BB99_3 Depth=1
	s_mov_b32 s17, 0
	s_mov_b32 s16, s24
	s_branch .LBB99_15
.LBB99_14:                              ;   in Loop: Header=BB99_15 Depth=2
	s_cmp_gt_i32 s16, -1
	s_cselect_b32 s18, -1, 0
	s_add_co_i32 s20, s17, 1
	s_cmp_lt_u32 s17, 2
	s_wait_xcnt 0x0
	s_cselect_b32 s17, -1, 0
	s_delay_alu instid0(SALU_CYCLE_1) | instskip(NEXT) | instid1(SALU_CYCLE_1)
	s_and_b32 s17, s18, s17
	s_and_b32 vcc_lo, exec_lo, s17
	s_mov_b32 s17, s20
	s_cbranch_vccz .LBB99_32
.LBB99_15:                              ;   Parent Loop BB99_3 Depth=1
                                        ; =>  This Loop Header: Depth=2
                                        ;       Child Loop BB99_18 Depth 3
                                        ;         Child Loop BB99_19 Depth 4
                                        ;         Child Loop BB99_21 Depth 4
                                        ;           Child Loop BB99_22 Depth 5
                                        ;         Child Loop BB99_26 Depth 4
                                        ;           Child Loop BB99_28 Depth 5
	s_load_b32 s18, s[8:9], s17 offset:0x0 scale_offset
	s_wait_kmcnt 0x0
	s_add_co_i32 s20, s18, -1
	s_delay_alu instid0(SALU_CYCLE_1)
	s_cmp_lt_i32 s16, s20
	s_cbranch_scc1 .LBB99_14
; %bb.16:                               ;   in Loop: Header=BB99_15 Depth=2
	s_mul_i32 s25, s16, 0xe0
	s_max_i32 s21, s18, 1
	v_add_nc_u32_e32 v11, s25, v10
	s_mul_i32 s22, s18, 0xffffff20
	s_add_co_i32 s25, s15, s25
	s_mul_i32 s26, s16, 0xe8
	s_mul_i32 s27, s18, 0xffffff18
	s_branch .LBB99_18
.LBB99_17:                              ;   in Loop: Header=BB99_18 Depth=3
	v_add_nc_u32_e32 v11, s22, v11
	s_sub_co_i32 s16, s16, s18
	s_add_co_i32 s25, s25, s22
	s_add_co_i32 s26, s26, s27
	s_cmp_lt_i32 s16, s20
	s_cbranch_scc1 .LBB99_14
.LBB99_18:                              ;   Parent Loop BB99_3 Depth=1
                                        ;     Parent Loop BB99_15 Depth=2
                                        ; =>    This Loop Header: Depth=3
                                        ;         Child Loop BB99_19 Depth 4
                                        ;         Child Loop BB99_21 Depth 4
                                        ;           Child Loop BB99_22 Depth 5
                                        ;         Child Loop BB99_26 Depth 4
                                        ;           Child Loop BB99_28 Depth 5
	s_wait_xcnt 0x0
	v_mov_b32_e32 v8, v11
	s_mov_b32 s28, 0
	s_mov_b32 s29, s21
.LBB99_19:                              ;   Parent Loop BB99_3 Depth=1
                                        ;     Parent Loop BB99_15 Depth=2
                                        ;       Parent Loop BB99_18 Depth=3
                                        ; =>      This Inner Loop Header: Depth=4
	ds_load_b64 v[12:13], v8
	v_add_nc_u32_e32 v8, 0xffffff20, v8
	s_add_co_i32 s29, s29, -1
	s_wait_dscnt 0x0
	scratch_store_b64 off, v[12:13], s28
	s_wait_xcnt 0x0
	s_add_co_i32 s28, s28, 8
	s_cmp_eq_u32 s29, 0
	s_cbranch_scc0 .LBB99_19
; %bb.20:                               ;   in Loop: Header=BB99_18 Depth=3
	s_cmp_le_i32 s24, s16
	s_mov_b32 s28, s25
	s_mov_b32 s29, s24
	s_cbranch_scc1 .LBB99_24
.LBB99_21:                              ;   Parent Loop BB99_3 Depth=1
                                        ;     Parent Loop BB99_15 Depth=2
                                        ;       Parent Loop BB99_18 Depth=3
                                        ; =>      This Loop Header: Depth=4
                                        ;           Child Loop BB99_22 Depth 5
	v_mad_u32 v8, 0xe0, s29, v10
	s_mov_b32 s30, 0
	s_mov_b32 s31, s28
	;; [unrolled: 1-line block ×3, first 2 shown]
	ds_load_b64 v[8:9], v8
.LBB99_22:                              ;   Parent Loop BB99_3 Depth=1
                                        ;     Parent Loop BB99_15 Depth=2
                                        ;       Parent Loop BB99_18 Depth=3
                                        ;         Parent Loop BB99_21 Depth=4
                                        ; =>        This Inner Loop Header: Depth=5
	scratch_load_b64 v[12:13], off, s30
	v_mov_b32_e32 v14, s31
	s_add_co_i32 s33, s33, -1
	s_addk_co_i32 s31, 0xff20
	ds_load_b64 v[14:15], v14
	s_wait_loadcnt_dscnt 0x0
	v_fma_f64 v[12:13], -v[8:9], v[14:15], v[12:13]
	scratch_store_b64 off, v[12:13], s30
	s_wait_xcnt 0x0
	s_add_co_i32 s30, s30, 8
	s_cmp_eq_u32 s33, 0
	s_cbranch_scc0 .LBB99_22
; %bb.23:                               ;   in Loop: Header=BB99_21 Depth=4
	s_add_co_i32 s29, s29, -1
	s_add_co_i32 s28, s28, -8
	s_cmp_le_i32 s29, s16
	s_cbranch_scc0 .LBB99_21
.LBB99_24:                              ;   in Loop: Header=BB99_18 Depth=3
	s_mul_i32 s28, s16, 0xe0
	s_mov_b32 s29, 0
	s_mov_b32 s30, s26
	s_branch .LBB99_26
.LBB99_25:                              ;   in Loop: Header=BB99_26 Depth=4
	s_wait_xcnt 0x0
	s_mulk_i32 s33, 0xe8
	s_addk_co_i32 s30, 0xff20
	v_mov_b32_e32 v12, s33
	s_lshl_b32 s33, s29, 3
	s_add_co_i32 s29, s29, 1
	s_delay_alu instid0(SALU_CYCLE_1)
	s_cmp_eq_u32 s29, s21
	ds_load_b64 v[12:13], v12
	s_wait_loadcnt_dscnt 0x0
	v_dual_mul_f64 v[8:9], v[12:13], v[8:9] :: v_dual_add_nc_u32 v12, s31, v10
	scratch_store_b64 off, v[8:9], s33
	ds_store_b64 v12, v[8:9]
	s_cbranch_scc1 .LBB99_17
.LBB99_26:                              ;   Parent Loop BB99_3 Depth=1
                                        ;     Parent Loop BB99_15 Depth=2
                                        ;       Parent Loop BB99_18 Depth=3
                                        ; =>      This Loop Header: Depth=4
                                        ;           Child Loop BB99_28 Depth 5
	s_cmp_lg_u32 s29, 0
	s_cbranch_scc0 .LBB99_30
; %bb.27:                               ;   in Loop: Header=BB99_26 Depth=4
	s_lshl_b32 s34, s29, 3
	s_wait_xcnt 0x0
	s_sub_co_i32 s33, s16, s29
	scratch_load_b64 v[8:9], off, s34
	s_mul_i32 s31, s33, 0xe0
	s_mov_b32 s35, 0
	s_mov_b32 s36, s30
	;; [unrolled: 1-line block ×3, first 2 shown]
.LBB99_28:                              ;   Parent Loop BB99_3 Depth=1
                                        ;     Parent Loop BB99_15 Depth=2
                                        ;       Parent Loop BB99_18 Depth=3
                                        ;         Parent Loop BB99_26 Depth=4
                                        ; =>        This Inner Loop Header: Depth=5
	scratch_load_b64 v[12:13], off, s35
	v_mov_b32_e32 v14, s36
	s_add_co_i32 s37, s37, -1
	s_add_co_i32 s36, s36, -8
	s_wait_xcnt 0x0
	s_add_co_i32 s35, s35, 8
	s_cmp_eq_u32 s37, 0
	ds_load_b64 v[14:15], v14
	s_wait_loadcnt_dscnt 0x0
	v_fma_f64 v[8:9], -v[12:13], v[14:15], v[8:9]
	scratch_store_b64 off, v[8:9], s34
	s_cbranch_scc0 .LBB99_28
; %bb.29:                               ;   in Loop: Header=BB99_26 Depth=4
	s_wait_xcnt 0x0
	s_branch .LBB99_25
.LBB99_30:                              ;   in Loop: Header=BB99_26 Depth=4
                                        ; implicit-def: $vgpr8_vgpr9
                                        ; implicit-def: $sgpr33
                                        ; implicit-def: $sgpr31
	s_cbranch_execz .LBB99_25
; %bb.31:                               ;   in Loop: Header=BB99_26 Depth=4
	scratch_load_b64 v[8:9], off, off
	s_mov_b32 s31, s28
	s_mov_b32 s33, s16
	s_branch .LBB99_25
.LBB99_32:                              ;   in Loop: Header=BB99_3 Depth=1
	s_mov_b32 s16, 0
.LBB99_33:                              ;   in Loop: Header=BB99_3 Depth=1
	s_delay_alu instid0(SALU_CYCLE_1)
	s_and_b32 vcc_lo, exec_lo, s16
	s_cbranch_vccz .LBB99_54
; %bb.34:                               ;   in Loop: Header=BB99_3 Depth=1
	s_mov_b32 s16, 0
	s_mov_b32 s17, 0
	s_branch .LBB99_36
.LBB99_35:                              ;   in Loop: Header=BB99_36 Depth=2
	s_cmp_lt_i32 s16, s1
	s_cselect_b32 s18, -1, 0
	s_add_co_i32 s20, s17, 1
	s_cmp_lt_u32 s17, 2
	s_wait_xcnt 0x0
	s_cselect_b32 s17, -1, 0
	s_delay_alu instid0(SALU_CYCLE_1) | instskip(NEXT) | instid1(SALU_CYCLE_1)
	s_and_b32 s17, s18, s17
	s_and_not1_b32 vcc_lo, exec_lo, s17
	s_mov_b32 s17, s20
	s_cbranch_vccnz .LBB99_54
.LBB99_36:                              ;   Parent Loop BB99_3 Depth=1
                                        ; =>  This Loop Header: Depth=2
                                        ;       Child Loop BB99_39 Depth 3
                                        ;         Child Loop BB99_40 Depth 4
                                        ;         Child Loop BB99_43 Depth 4
                                        ;           Child Loop BB99_44 Depth 5
                                        ;         Child Loop BB99_48 Depth 4
                                        ;           Child Loop BB99_50 Depth 5
	s_load_b32 s18, s[8:9], s17 offset:0x0 scale_offset
	s_wait_kmcnt 0x0
	s_add_co_i32 s20, s18, -1
	s_delay_alu instid0(SALU_CYCLE_1) | instskip(NEXT) | instid1(SALU_CYCLE_1)
	s_add_co_i32 s21, s20, s16
	s_cmp_ge_i32 s21, s1
	s_cbranch_scc1 .LBB99_35
; %bb.37:                               ;   in Loop: Header=BB99_36 Depth=2
	v_mad_u32 v11, 0xe0, s16, v10
	s_max_i32 s21, s18, 1
	s_mul_i32 s22, s18, 0xe0
	s_lshl_b32 s25, s16, 3
	s_lshl_b32 s26, s18, 3
	s_mul_i32 s27, s16, 0xe8
	s_mul_i32 s28, s18, 0xe8
	s_branch .LBB99_39
.LBB99_38:                              ;   in Loop: Header=BB99_39 Depth=3
	s_add_co_i32 s16, s16, s18
	v_add_nc_u32_e32 v11, s22, v11
	s_add_co_i32 s29, s20, s16
	s_add_co_i32 s25, s25, s26
	s_add_co_i32 s27, s27, s28
	s_cmp_ge_i32 s29, s1
	s_cbranch_scc1 .LBB99_35
.LBB99_39:                              ;   Parent Loop BB99_3 Depth=1
                                        ;     Parent Loop BB99_36 Depth=2
                                        ; =>    This Loop Header: Depth=3
                                        ;         Child Loop BB99_40 Depth 4
                                        ;         Child Loop BB99_43 Depth 4
                                        ;           Child Loop BB99_44 Depth 5
                                        ;         Child Loop BB99_48 Depth 4
                                        ;           Child Loop BB99_50 Depth 5
	s_wait_xcnt 0x0
	s_delay_alu instid0(VALU_DEP_1)
	v_mov_b32_e32 v8, v11
	s_mov_b32 s29, 0
	s_mov_b32 s30, s21
.LBB99_40:                              ;   Parent Loop BB99_3 Depth=1
                                        ;     Parent Loop BB99_36 Depth=2
                                        ;       Parent Loop BB99_39 Depth=3
                                        ; =>      This Inner Loop Header: Depth=4
	ds_load_b64 v[12:13], v8
	v_add_nc_u32_e32 v8, 0xe0, v8
	s_add_co_i32 s30, s30, -1
	s_wait_dscnt 0x0
	scratch_store_b64 off, v[12:13], s29
	s_wait_xcnt 0x0
	s_add_co_i32 s29, s29, 8
	s_cmp_eq_u32 s30, 0
	s_cbranch_scc0 .LBB99_40
; %bb.41:                               ;   in Loop: Header=BB99_39 Depth=3
	s_cmp_lt_i32 s16, 1
	s_cbranch_scc1 .LBB99_46
; %bb.42:                               ;   in Loop: Header=BB99_39 Depth=3
	s_mov_b32 s29, 0
	s_mov_b32 s30, s25
.LBB99_43:                              ;   Parent Loop BB99_3 Depth=1
                                        ;     Parent Loop BB99_36 Depth=2
                                        ;       Parent Loop BB99_39 Depth=3
                                        ; =>      This Loop Header: Depth=4
                                        ;           Child Loop BB99_44 Depth 5
	v_mad_u32 v8, 0xe0, s29, v10
	s_mov_b32 s31, 0
	s_mov_b32 s33, s30
	;; [unrolled: 1-line block ×3, first 2 shown]
	ds_load_b64 v[8:9], v8
.LBB99_44:                              ;   Parent Loop BB99_3 Depth=1
                                        ;     Parent Loop BB99_36 Depth=2
                                        ;       Parent Loop BB99_39 Depth=3
                                        ;         Parent Loop BB99_43 Depth=4
                                        ; =>        This Inner Loop Header: Depth=5
	scratch_load_b64 v[12:13], off, s31
	v_mov_b32_e32 v14, s33
	s_add_co_i32 s34, s34, -1
	s_add_co_i32 s33, s33, 8
	ds_load_b64 v[14:15], v14
	s_wait_loadcnt_dscnt 0x0
	v_fma_f64 v[12:13], -v[8:9], v[14:15], v[12:13]
	scratch_store_b64 off, v[12:13], s31
	s_wait_xcnt 0x0
	s_add_co_i32 s31, s31, 8
	s_cmp_eq_u32 s34, 0
	s_cbranch_scc0 .LBB99_44
; %bb.45:                               ;   in Loop: Header=BB99_43 Depth=4
	s_add_co_i32 s29, s29, 1
	s_addk_co_i32 s30, 0xe0
	s_cmp_eq_u32 s29, s16
	s_cbranch_scc0 .LBB99_43
.LBB99_46:                              ;   in Loop: Header=BB99_39 Depth=3
	s_mov_b32 s29, 0
	s_mov_b32 s30, s27
	s_branch .LBB99_48
.LBB99_47:                              ;   in Loop: Header=BB99_48 Depth=4
	s_add_co_i32 s31, s29, s16
	s_add_co_i32 s30, s30, 8
	s_mul_i32 s33, s31, 0xe8
	s_delay_alu instid0(SALU_CYCLE_1)
	v_mov_b32_e32 v12, s33
	ds_load_b64 v[12:13], v12
	s_wait_loadcnt_dscnt 0x0
	v_mul_f64_e32 v[8:9], v[12:13], v[8:9]
	v_mad_u32 v12, 0xe0, s31, v10
	s_lshl_b32 s31, s29, 3
	s_add_co_i32 s29, s29, 1
	s_delay_alu instid0(SALU_CYCLE_1)
	s_cmp_eq_u32 s29, s21
	scratch_store_b64 off, v[8:9], s31
	ds_store_b64 v12, v[8:9]
	s_cbranch_scc1 .LBB99_38
.LBB99_48:                              ;   Parent Loop BB99_3 Depth=1
                                        ;     Parent Loop BB99_36 Depth=2
                                        ;       Parent Loop BB99_39 Depth=3
                                        ; =>      This Loop Header: Depth=4
                                        ;           Child Loop BB99_50 Depth 5
	s_cmp_lg_u32 s29, 0
	s_cbranch_scc0 .LBB99_52
; %bb.49:                               ;   in Loop: Header=BB99_48 Depth=4
	s_wait_xcnt 0x0
	s_lshl_b32 s31, s29, 3
	s_mov_b32 s33, 0
	scratch_load_b64 v[8:9], off, s31
	s_mov_b32 s34, s30
	s_mov_b32 s35, s29
.LBB99_50:                              ;   Parent Loop BB99_3 Depth=1
                                        ;     Parent Loop BB99_36 Depth=2
                                        ;       Parent Loop BB99_39 Depth=3
                                        ;         Parent Loop BB99_48 Depth=4
                                        ; =>        This Inner Loop Header: Depth=5
	scratch_load_b64 v[12:13], off, s33
	v_mov_b32_e32 v14, s34
	s_add_co_i32 s35, s35, -1
	s_addk_co_i32 s34, 0xe0
	s_wait_xcnt 0x0
	s_add_co_i32 s33, s33, 8
	s_cmp_eq_u32 s35, 0
	ds_load_b64 v[14:15], v14
	s_wait_loadcnt_dscnt 0x0
	v_fma_f64 v[8:9], -v[12:13], v[14:15], v[8:9]
	scratch_store_b64 off, v[8:9], s31
	s_cbranch_scc0 .LBB99_50
; %bb.51:                               ;   in Loop: Header=BB99_48 Depth=4
	s_wait_xcnt 0x0
	s_branch .LBB99_47
.LBB99_52:                              ;   in Loop: Header=BB99_48 Depth=4
	s_wait_xcnt 0x0
                                        ; implicit-def: $vgpr8_vgpr9
	s_cbranch_execz .LBB99_47
; %bb.53:                               ;   in Loop: Header=BB99_48 Depth=4
	scratch_load_b64 v[8:9], off, off
	s_branch .LBB99_47
.LBB99_54:                              ;   in Loop: Header=BB99_3 Depth=1
	; wave barrier
	s_wait_storecnt_dscnt 0x0
	s_wait_xcnt 0x0
	s_and_saveexec_b32 s16, s14
	s_cbranch_execz .LBB99_2
; %bb.55:                               ;   in Loop: Header=BB99_3 Depth=1
	v_mov_b32_e32 v8, v10
	s_mov_b32 s17, s1
.LBB99_56:                              ;   Parent Loop BB99_3 Depth=1
                                        ; =>  This Inner Loop Header: Depth=2
	ds_load_b64 v[12:13], v8
	v_add_nc_u32_e32 v8, 0xe0, v8
	s_add_co_i32 s17, s17, -1
	s_delay_alu instid0(SALU_CYCLE_1)
	s_cmp_lg_u32 s17, 0
	s_wait_dscnt 0x0
	global_store_b64 v[6:7], v[12:13], off
	s_wait_xcnt 0x0
	v_add_nc_u64_e32 v[6:7], 8, v[6:7]
	s_cbranch_scc1 .LBB99_56
	s_branch .LBB99_2
.LBB99_57:
	s_endpgm
	.section	.rodata,"a",@progbits
	.p2align	6, 0x0
	.amdhsa_kernel _ZL38rocblas_trsm_small_left_device_sharedBILi28ELi28ELb1EddPKdPdEv13rocblas_fill_18rocblas_operation_17rocblas_diagonal_iiT3_T4_lilT5_lili
		.amdhsa_group_segment_fixed_size 12544
		.amdhsa_private_segment_fixed_size 240
		.amdhsa_kernarg_size 360
		.amdhsa_user_sgpr_count 2
		.amdhsa_user_sgpr_dispatch_ptr 0
		.amdhsa_user_sgpr_queue_ptr 0
		.amdhsa_user_sgpr_kernarg_segment_ptr 1
		.amdhsa_user_sgpr_dispatch_id 0
		.amdhsa_user_sgpr_kernarg_preload_length 0
		.amdhsa_user_sgpr_kernarg_preload_offset 0
		.amdhsa_user_sgpr_private_segment_size 0
		.amdhsa_wavefront_size32 1
		.amdhsa_uses_dynamic_stack 0
		.amdhsa_enable_private_segment 1
		.amdhsa_system_sgpr_workgroup_id_x 1
		.amdhsa_system_sgpr_workgroup_id_y 0
		.amdhsa_system_sgpr_workgroup_id_z 1
		.amdhsa_system_sgpr_workgroup_info 0
		.amdhsa_system_vgpr_workitem_id 0
		.amdhsa_next_free_vgpr 129
		.amdhsa_next_free_sgpr 38
		.amdhsa_named_barrier_count 0
		.amdhsa_reserve_vcc 1
		.amdhsa_float_round_mode_32 0
		.amdhsa_float_round_mode_16_64 0
		.amdhsa_float_denorm_mode_32 3
		.amdhsa_float_denorm_mode_16_64 3
		.amdhsa_fp16_overflow 0
		.amdhsa_memory_ordered 1
		.amdhsa_forward_progress 1
		.amdhsa_inst_pref_size 17
		.amdhsa_round_robin_scheduling 0
		.amdhsa_exception_fp_ieee_invalid_op 0
		.amdhsa_exception_fp_denorm_src 0
		.amdhsa_exception_fp_ieee_div_zero 0
		.amdhsa_exception_fp_ieee_overflow 0
		.amdhsa_exception_fp_ieee_underflow 0
		.amdhsa_exception_fp_ieee_inexact 0
		.amdhsa_exception_int_div_zero 0
	.end_amdhsa_kernel
	.section	.text._ZL38rocblas_trsm_small_left_device_sharedBILi28ELi28ELb1EddPKdPdEv13rocblas_fill_18rocblas_operation_17rocblas_diagonal_iiT3_T4_lilT5_lili,"axG",@progbits,_ZL38rocblas_trsm_small_left_device_sharedBILi28ELi28ELb1EddPKdPdEv13rocblas_fill_18rocblas_operation_17rocblas_diagonal_iiT3_T4_lilT5_lili,comdat
.Lfunc_end99:
	.size	_ZL38rocblas_trsm_small_left_device_sharedBILi28ELi28ELb1EddPKdPdEv13rocblas_fill_18rocblas_operation_17rocblas_diagonal_iiT3_T4_lilT5_lili, .Lfunc_end99-_ZL38rocblas_trsm_small_left_device_sharedBILi28ELi28ELb1EddPKdPdEv13rocblas_fill_18rocblas_operation_17rocblas_diagonal_iiT3_T4_lilT5_lili
                                        ; -- End function
	.set _ZL38rocblas_trsm_small_left_device_sharedBILi28ELi28ELb1EddPKdPdEv13rocblas_fill_18rocblas_operation_17rocblas_diagonal_iiT3_T4_lilT5_lili.num_vgpr, 18
	.set _ZL38rocblas_trsm_small_left_device_sharedBILi28ELi28ELb1EddPKdPdEv13rocblas_fill_18rocblas_operation_17rocblas_diagonal_iiT3_T4_lilT5_lili.num_agpr, 0
	.set _ZL38rocblas_trsm_small_left_device_sharedBILi28ELi28ELb1EddPKdPdEv13rocblas_fill_18rocblas_operation_17rocblas_diagonal_iiT3_T4_lilT5_lili.numbered_sgpr, 38
	.set _ZL38rocblas_trsm_small_left_device_sharedBILi28ELi28ELb1EddPKdPdEv13rocblas_fill_18rocblas_operation_17rocblas_diagonal_iiT3_T4_lilT5_lili.num_named_barrier, 0
	.set _ZL38rocblas_trsm_small_left_device_sharedBILi28ELi28ELb1EddPKdPdEv13rocblas_fill_18rocblas_operation_17rocblas_diagonal_iiT3_T4_lilT5_lili.private_seg_size, 240
	.set _ZL38rocblas_trsm_small_left_device_sharedBILi28ELi28ELb1EddPKdPdEv13rocblas_fill_18rocblas_operation_17rocblas_diagonal_iiT3_T4_lilT5_lili.uses_vcc, 1
	.set _ZL38rocblas_trsm_small_left_device_sharedBILi28ELi28ELb1EddPKdPdEv13rocblas_fill_18rocblas_operation_17rocblas_diagonal_iiT3_T4_lilT5_lili.uses_flat_scratch, 0
	.set _ZL38rocblas_trsm_small_left_device_sharedBILi28ELi28ELb1EddPKdPdEv13rocblas_fill_18rocblas_operation_17rocblas_diagonal_iiT3_T4_lilT5_lili.has_dyn_sized_stack, 0
	.set _ZL38rocblas_trsm_small_left_device_sharedBILi28ELi28ELb1EddPKdPdEv13rocblas_fill_18rocblas_operation_17rocblas_diagonal_iiT3_T4_lilT5_lili.has_recursion, 0
	.set _ZL38rocblas_trsm_small_left_device_sharedBILi28ELi28ELb1EddPKdPdEv13rocblas_fill_18rocblas_operation_17rocblas_diagonal_iiT3_T4_lilT5_lili.has_indirect_call, 0
	.section	.AMDGPU.csdata,"",@progbits
; Kernel info:
; codeLenInByte = 2124
; TotalNumSgprs: 40
; NumVgprs: 18
; ScratchSize: 240
; MemoryBound: 0
; FloatMode: 240
; IeeeMode: 1
; LDSByteSize: 12544 bytes/workgroup (compile time only)
; SGPRBlocks: 0
; VGPRBlocks: 8
; NumSGPRsForWavesPerEU: 40
; NumVGPRsForWavesPerEU: 129
; NamedBarCnt: 0
; Occupancy: 7
; WaveLimiterHint : 0
; COMPUTE_PGM_RSRC2:SCRATCH_EN: 1
; COMPUTE_PGM_RSRC2:USER_SGPR: 2
; COMPUTE_PGM_RSRC2:TRAP_HANDLER: 0
; COMPUTE_PGM_RSRC2:TGID_X_EN: 1
; COMPUTE_PGM_RSRC2:TGID_Y_EN: 0
; COMPUTE_PGM_RSRC2:TGID_Z_EN: 1
; COMPUTE_PGM_RSRC2:TIDIG_COMP_CNT: 0
	.section	.text._ZL30rocblas_trsm_small_left_deviceILi28ELi28ELb1EddPKdPdEv13rocblas_fill_18rocblas_operation_17rocblas_diagonal_iiT3_T4_lilT5_lili,"axG",@progbits,_ZL30rocblas_trsm_small_left_deviceILi28ELi28ELb1EddPKdPdEv13rocblas_fill_18rocblas_operation_17rocblas_diagonal_iiT3_T4_lilT5_lili,comdat
	.globl	_ZL30rocblas_trsm_small_left_deviceILi28ELi28ELb1EddPKdPdEv13rocblas_fill_18rocblas_operation_17rocblas_diagonal_iiT3_T4_lilT5_lili ; -- Begin function _ZL30rocblas_trsm_small_left_deviceILi28ELi28ELb1EddPKdPdEv13rocblas_fill_18rocblas_operation_17rocblas_diagonal_iiT3_T4_lilT5_lili
	.p2align	8
	.type	_ZL30rocblas_trsm_small_left_deviceILi28ELi28ELb1EddPKdPdEv13rocblas_fill_18rocblas_operation_17rocblas_diagonal_iiT3_T4_lilT5_lili,@function
_ZL30rocblas_trsm_small_left_deviceILi28ELi28ELb1EddPKdPdEv13rocblas_fill_18rocblas_operation_17rocblas_diagonal_iiT3_T4_lilT5_lili: ; @_ZL30rocblas_trsm_small_left_deviceILi28ELi28ELb1EddPKdPdEv13rocblas_fill_18rocblas_operation_17rocblas_diagonal_iiT3_T4_lilT5_lili
; %bb.0:
	s_load_b32 s26, s[0:1], 0x60
	s_bfe_u32 s2, ttmp6, 0x40014
	s_lshr_b32 s4, ttmp7, 16
	s_add_co_i32 s2, s2, 1
	s_bfe_u32 s5, ttmp6, 0x40008
	s_mul_i32 s2, s4, s2
	s_getreg_b32 s3, hwreg(HW_REG_IB_STS2, 6, 4)
	s_add_co_i32 s5, s5, s2
	s_cmp_eq_u32 s3, 0
	s_mov_b32 s19, 0
	s_cselect_b32 s2, s4, s5
	s_wait_kmcnt 0x0
	s_cmp_ge_u32 s2, s26
	s_cbranch_scc1 .LBB100_54
; %bb.1:
	s_clause 0x4
	s_load_b96 s[16:18], s[0:1], 0x28
	s_load_b96 s[28:30], s[0:1], 0x48
	s_load_b128 s[8:11], s[0:1], 0x4
	s_load_b32 s22, s[0:1], 0x68
	s_load_b64 s[20:21], s[0:1], 0x58
	s_bfe_u32 s12, ttmp6, 0x4000c
	s_and_b32 s23, ttmp6, 15
	s_add_co_i32 s12, s12, 1
	s_load_b128 s[4:7], s[0:1], 0x18
	s_mul_i32 s24, ttmp9, s12
	s_load_b128 s[12:15], s[0:1], 0x38
	s_wait_xcnt 0x0
	s_add_co_i32 s0, s23, s24
	v_mul_u32_u24_e32 v1, 0xe0, v0
	s_mov_b32 s33, 0
                                        ; implicit-def: $sgpr34
                                        ; implicit-def: $sgpr35
	s_wait_kmcnt 0x0
	s_ashr_i32 s23, s18, 31
	s_ashr_i32 s1, s30, 31
	s_min_i32 s27, s10, 28
	s_lshl_b64 s[24:25], s[28:29], 3
	s_add_co_i32 s10, s22, -1
	s_add_co_i32 s28, s27, -1
	s_cmp_eq_u32 s3, 0
	s_mov_b32 s22, s18
	s_cselect_b32 s3, ttmp9, s0
	s_mov_b32 s0, s30
	v_mad_u32 v2, s3, 28, v0
	s_add_nc_u64 s[14:15], s[14:15], s[24:25]
	s_delay_alu instid0(VALU_DEP_1) | instskip(NEXT) | instid1(VALU_DEP_1)
	v_ashrrev_i32_e32 v3, 31, v2
	v_mul_u64_e32 v[4:5], s[0:1], v[2:3]
	s_mul_i32 s0, s3, 0xffffffe4
	v_lshlrev_b32_e32 v2, 3, v0
	s_add_co_i32 s0, s11, s0
	s_cmp_ge_u32 s3, s10
	v_mov_b32_e32 v3, 0
	s_cselect_b32 s1, s0, 28
	s_cmp_lg_u32 s9, 0x84
	v_add_nc_u32_e32 v14, v2, v1
	s_cselect_b32 s29, -1, 0
	s_cmp_lg_u32 s8, 0x6f
	v_cmp_gt_i32_e64 s0, s27, v0
	s_cselect_b32 s30, -1, 0
	s_lshl_b64 s[16:17], s[16:17], 3
	v_cmp_gt_i32_e64 s1, s1, v0
	s_add_nc_u64 s[6:7], s[6:7], s[16:17]
	s_lshl_b32 s31, s27, 3
	v_add_nc_u64_e32 v[0:1], s[6:7], v[2:3]
	s_lshl_b64 s[8:9], s[12:13], 3
	s_lshl_b64 s[10:11], s[22:23], 3
	;; [unrolled: 1-line block ×3, first 2 shown]
	s_add_co_i32 s31, s31, -8
	s_get_pc_i64 s[6:7]
	s_add_nc_u64 s[6:7], s[6:7], __const._ZL30rocblas_trsm_small_left_deviceILi28ELi28ELb1EddPKdPdEv13rocblas_fill_18rocblas_operation_17rocblas_diagonal_iiT3_T4_lilT5_lili.step_sizes@rel64+4
	v_lshl_add_u64 v[4:5], v[4:5], 3, s[14:15]
	s_branch .LBB100_4
.LBB100_2:                              ;   in Loop: Header=BB100_4 Depth=1
	s_add_co_i32 s2, s2, 0x10000
	s_delay_alu instid0(SALU_CYCLE_1)
	s_cmp_ge_u32 s2, s26
	s_cselect_b32 s3, -1, 0
	s_and_not1_b32 s35, s35, exec_lo
	s_or_not1_b32 s14, s3, exec_lo
.LBB100_3:                              ;   in Loop: Header=BB100_4 Depth=1
	s_wait_xcnt 0x0
	s_or_b32 exec_lo, exec_lo, s36
	s_delay_alu instid0(SALU_CYCLE_1) | instskip(NEXT) | instid1(SALU_CYCLE_1)
	s_and_b32 s3, exec_lo, s14
	s_or_b32 s33, s3, s33
	s_and_not1_b32 s3, s34, exec_lo
	s_and_b32 s14, s35, exec_lo
	s_delay_alu instid0(SALU_CYCLE_1)
	s_or_b32 s34, s3, s14
	s_and_not1_b32 exec_lo, exec_lo, s33
	s_cbranch_execz .LBB100_53
.LBB100_4:                              ; =>This Loop Header: Depth=1
                                        ;     Child Loop BB100_6 Depth 2
                                        ;     Child Loop BB100_14 Depth 2
                                        ;       Child Loop BB100_17 Depth 3
                                        ;         Child Loop BB100_18 Depth 4
                                        ;         Child Loop BB100_20 Depth 4
                                        ;           Child Loop BB100_21 Depth 5
                                        ;         Child Loop BB100_25 Depth 4
                                        ;           Child Loop BB100_27 Depth 5
                                        ;     Child Loop BB100_35 Depth 2
                                        ;       Child Loop BB100_38 Depth 3
                                        ;         Child Loop BB100_39 Depth 4
                                        ;         Child Loop BB100_42 Depth 4
                                        ;           Child Loop BB100_43 Depth 5
                                        ;         Child Loop BB100_47 Depth 4
                                        ;           Child Loop BB100_49 Depth 5
	s_mov_b32 s3, s19
	s_and_saveexec_b32 s14, s0
	s_cbranch_execz .LBB100_10
; %bb.5:                                ;   in Loop: Header=BB100_4 Depth=1
	v_mad_nc_u64_u32 v[6:7], s8, s2, v[0:1]
	v_mov_b32_e32 v3, v2
	s_mov_b32 s15, s27
	s_delay_alu instid0(VALU_DEP_2)
	v_mad_u32 v7, s9, s2, v7
.LBB100_6:                              ;   Parent Loop BB100_4 Depth=1
                                        ; =>  This Inner Loop Header: Depth=2
	global_load_b64 v[8:9], v[6:7], off
	s_wait_xcnt 0x0
	v_add_nc_u64_e32 v[6:7], s[10:11], v[6:7]
	s_add_co_i32 s15, s15, -1
	s_delay_alu instid0(SALU_CYCLE_1)
	s_cmp_eq_u32 s15, 0
	s_wait_loadcnt 0x0
	ds_store_b64 v3, v[8:9]
	v_add_nc_u32_e32 v3, 0xe0, v3
	s_cbranch_scc0 .LBB100_6
; %bb.7:                                ;   in Loop: Header=BB100_4 Depth=1
	v_mov_b64_e32 v[6:7], 1.0
	s_and_b32 vcc_lo, exec_lo, s29
	s_cbranch_vccz .LBB100_9
; %bb.8:                                ;   in Loop: Header=BB100_4 Depth=1
	ds_load_b64 v[6:7], v14
	s_wait_dscnt 0x0
	v_div_scale_f64 v[8:9], null, v[6:7], v[6:7], 1.0
	s_delay_alu instid0(VALU_DEP_1) | instskip(SKIP_1) | instid1(TRANS32_DEP_1)
	v_rcp_f64_e32 v[10:11], v[8:9]
	v_nop
	v_fma_f64 v[12:13], -v[8:9], v[10:11], 1.0
	s_delay_alu instid0(VALU_DEP_1) | instskip(NEXT) | instid1(VALU_DEP_1)
	v_fmac_f64_e32 v[10:11], v[10:11], v[12:13]
	v_fma_f64 v[12:13], -v[8:9], v[10:11], 1.0
	s_delay_alu instid0(VALU_DEP_1) | instskip(SKIP_1) | instid1(VALU_DEP_1)
	v_fmac_f64_e32 v[10:11], v[10:11], v[12:13]
	v_div_scale_f64 v[12:13], vcc_lo, 1.0, v[6:7], 1.0
	v_mul_f64_e32 v[16:17], v[12:13], v[10:11]
	s_delay_alu instid0(VALU_DEP_1) | instskip(NEXT) | instid1(VALU_DEP_1)
	v_fma_f64 v[8:9], -v[8:9], v[16:17], v[12:13]
	v_div_fmas_f64 v[8:9], v[8:9], v[10:11], v[16:17]
	s_delay_alu instid0(VALU_DEP_1)
	v_div_fixup_f64 v[6:7], v[8:9], v[6:7], 1.0
.LBB100_9:                              ;   in Loop: Header=BB100_4 Depth=1
	ds_store_b64 v14, v[6:7]
.LBB100_10:                             ;   in Loop: Header=BB100_4 Depth=1
	s_or_b32 exec_lo, exec_lo, s14
	s_mov_b32 s14, -1
	s_or_b32 s35, s35, exec_lo
	s_wait_dscnt 0x0
	; wave barrier
	s_and_saveexec_b32 s36, s1
	s_cbranch_execz .LBB100_3
; %bb.11:                               ;   in Loop: Header=BB100_4 Depth=1
	s_mul_u64 s[14:15], s[20:21], s[2:3]
	s_and_not1_b32 vcc_lo, exec_lo, s30
	v_lshl_add_u64 v[6:7], s[14:15], 3, v[4:5]
	s_mul_u64 s[14:15], s[12:13], s[2:3]
	s_mov_b32 s3, -1
	s_cbranch_vccnz .LBB100_32
; %bb.12:                               ;   in Loop: Header=BB100_4 Depth=1
	v_add_nc_u64_e32 v[8:9], s[14:15], v[4:5]
	s_mov_b32 s3, 0
	s_mov_b32 s16, s28
	s_branch .LBB100_14
.LBB100_13:                             ;   in Loop: Header=BB100_14 Depth=2
	s_cmp_gt_i32 s16, -1
	s_cselect_b32 s17, -1, 0
	s_add_co_i32 s18, s3, 1
	s_cmp_lt_u32 s3, 2
	s_wait_xcnt 0x0
	s_cselect_b32 s3, -1, 0
	s_delay_alu instid0(SALU_CYCLE_1) | instskip(NEXT) | instid1(SALU_CYCLE_1)
	s_and_b32 s3, s17, s3
	s_and_b32 vcc_lo, exec_lo, s3
	s_mov_b32 s3, s18
	s_cbranch_vccz .LBB100_31
.LBB100_14:                             ;   Parent Loop BB100_4 Depth=1
                                        ; =>  This Loop Header: Depth=2
                                        ;       Child Loop BB100_17 Depth 3
                                        ;         Child Loop BB100_18 Depth 4
                                        ;         Child Loop BB100_20 Depth 4
                                        ;           Child Loop BB100_21 Depth 5
                                        ;         Child Loop BB100_25 Depth 4
                                        ;           Child Loop BB100_27 Depth 5
	s_load_b32 s18, s[6:7], s3 offset:0x0 scale_offset
	s_wait_kmcnt 0x0
	s_add_co_i32 s37, s18, -1
	s_delay_alu instid0(SALU_CYCLE_1)
	s_cmp_lt_i32 s16, s37
	s_cbranch_scc1 .LBB100_13
; %bb.15:                               ;   in Loop: Header=BB100_14 Depth=2
	s_mul_i32 s17, s16, 0xe0
	s_max_i32 s38, s18, 1
	s_add_co_i32 s39, s31, s17
	s_mul_i32 s40, s18, 0xffffff20
	s_mul_i32 s41, s16, 0xe8
	;; [unrolled: 1-line block ×3, first 2 shown]
	s_branch .LBB100_17
.LBB100_16:                             ;   in Loop: Header=BB100_17 Depth=3
	s_sub_co_i32 s16, s16, s18
	s_add_co_i32 s39, s39, s40
	s_add_co_i32 s41, s41, s42
	s_cmp_lt_i32 s16, s37
	s_cbranch_scc1 .LBB100_13
.LBB100_17:                             ;   Parent Loop BB100_4 Depth=1
                                        ;     Parent Loop BB100_14 Depth=2
                                        ; =>    This Loop Header: Depth=3
                                        ;         Child Loop BB100_18 Depth 4
                                        ;         Child Loop BB100_20 Depth 4
                                        ;           Child Loop BB100_21 Depth 5
                                        ;         Child Loop BB100_25 Depth 4
                                        ;           Child Loop BB100_27 Depth 5
	s_ashr_i32 s17, s16, 31
	s_mov_b32 s22, 0
	s_wait_xcnt 0x0
	v_lshl_add_u64 v[10:11], s[16:17], 3, v[8:9]
	s_mov_b32 s23, s38
.LBB100_18:                             ;   Parent Loop BB100_4 Depth=1
                                        ;     Parent Loop BB100_14 Depth=2
                                        ;       Parent Loop BB100_17 Depth=3
                                        ; =>      This Inner Loop Header: Depth=4
	global_load_b64 v[12:13], v[10:11], off
	s_wait_xcnt 0x0
	v_add_nc_u64_e32 v[10:11], -8, v[10:11]
	s_add_co_i32 s23, s23, -1
	s_wait_loadcnt 0x0
	v_mul_f64_e32 v[12:13], s[4:5], v[12:13]
	scratch_store_b64 off, v[12:13], s22
	s_wait_xcnt 0x0
	s_add_co_i32 s22, s22, 8
	s_cmp_eq_u32 s23, 0
	s_cbranch_scc0 .LBB100_18
; %bb.19:                               ;   in Loop: Header=BB100_17 Depth=3
	s_cmp_le_i32 s28, s16
	s_mov_b32 s24, s39
	s_mov_b32 s22, s28
	s_cbranch_scc1 .LBB100_23
.LBB100_20:                             ;   Parent Loop BB100_4 Depth=1
                                        ;     Parent Loop BB100_14 Depth=2
                                        ;       Parent Loop BB100_17 Depth=3
                                        ; =>      This Loop Header: Depth=4
                                        ;           Child Loop BB100_21 Depth 5
	s_ashr_i32 s23, s22, 31
	s_mov_b32 s25, s24
	v_lshl_add_u64 v[10:11], s[22:23], 3, v[6:7]
	s_mov_b32 s23, 0
	s_mov_b32 s43, s38
	global_load_b64 v[10:11], v[10:11], off
.LBB100_21:                             ;   Parent Loop BB100_4 Depth=1
                                        ;     Parent Loop BB100_14 Depth=2
                                        ;       Parent Loop BB100_17 Depth=3
                                        ;         Parent Loop BB100_20 Depth=4
                                        ; =>        This Inner Loop Header: Depth=5
	scratch_load_b64 v[12:13], off, s23
	v_mov_b32_e32 v3, s25
	s_add_co_i32 s43, s43, -1
	s_addk_co_i32 s25, 0xff20
	ds_load_b64 v[16:17], v3
	s_wait_loadcnt_dscnt 0x0
	v_fma_f64 v[12:13], -v[10:11], v[16:17], v[12:13]
	scratch_store_b64 off, v[12:13], s23
	s_wait_xcnt 0x0
	s_add_co_i32 s23, s23, 8
	s_cmp_eq_u32 s43, 0
	s_cbranch_scc0 .LBB100_21
; %bb.22:                               ;   in Loop: Header=BB100_20 Depth=4
	s_add_co_i32 s22, s22, -1
	s_add_co_i32 s24, s24, -8
	s_cmp_le_i32 s22, s16
	s_cbranch_scc0 .LBB100_20
.LBB100_23:                             ;   in Loop: Header=BB100_17 Depth=3
	s_mov_b32 s43, 0
	s_mov_b32 s44, s41
	s_branch .LBB100_25
.LBB100_24:                             ;   in Loop: Header=BB100_25 Depth=4
	s_wait_xcnt 0x1
	s_mulk_i32 s24, 0xe8
	s_addk_co_i32 s44, 0xff20
	v_mov_b32_e32 v3, s24
	s_lshl_b32 s24, s43, 3
	s_add_co_i32 s43, s43, 1
	s_delay_alu instid0(SALU_CYCLE_1)
	s_cmp_eq_u32 s43, s38
	s_wait_xcnt 0x0
	ds_load_b64 v[12:13], v3
	s_wait_loadcnt_dscnt 0x0
	v_mul_f64_e32 v[10:11], v[12:13], v[10:11]
	v_lshl_add_u64 v[12:13], s[22:23], 3, v[6:7]
	scratch_store_b64 off, v[10:11], s24
	global_store_b64 v[12:13], v[10:11], off
	s_cbranch_scc1 .LBB100_16
.LBB100_25:                             ;   Parent Loop BB100_4 Depth=1
                                        ;     Parent Loop BB100_14 Depth=2
                                        ;       Parent Loop BB100_17 Depth=3
                                        ; =>      This Loop Header: Depth=4
                                        ;           Child Loop BB100_27 Depth 5
	s_cmp_lg_u32 s43, 0
	s_cbranch_scc0 .LBB100_29
; %bb.26:                               ;   in Loop: Header=BB100_25 Depth=4
	s_lshl_b32 s22, s43, 3
	s_mov_b32 s23, 0
	scratch_load_b64 v[10:11], off, s22
	s_mov_b32 s24, s44
	s_mov_b32 s25, s43
.LBB100_27:                             ;   Parent Loop BB100_4 Depth=1
                                        ;     Parent Loop BB100_14 Depth=2
                                        ;       Parent Loop BB100_17 Depth=3
                                        ;         Parent Loop BB100_25 Depth=4
                                        ; =>        This Inner Loop Header: Depth=5
	scratch_load_b64 v[12:13], off, s23
	v_mov_b32_e32 v3, s24
	s_add_co_i32 s25, s25, -1
	s_add_co_i32 s24, s24, -8
	s_wait_xcnt 0x0
	s_add_co_i32 s23, s23, 8
	s_cmp_eq_u32 s25, 0
	ds_load_b64 v[16:17], v3
	s_wait_loadcnt_dscnt 0x0
	v_fma_f64 v[10:11], -v[12:13], v[16:17], v[10:11]
	scratch_store_b64 off, v[10:11], s22
	s_cbranch_scc0 .LBB100_27
; %bb.28:                               ;   in Loop: Header=BB100_25 Depth=4
	s_sub_co_i32 s24, s16, s43
	s_delay_alu instid0(SALU_CYCLE_1)
	s_ashr_i32 s25, s24, 31
	s_wait_xcnt 0x0
	s_mov_b64 s[22:23], s[24:25]
	s_branch .LBB100_24
.LBB100_29:                             ;   in Loop: Header=BB100_25 Depth=4
                                        ; implicit-def: $vgpr10_vgpr11
                                        ; implicit-def: $sgpr24
                                        ; implicit-def: $sgpr22_sgpr23
	s_cbranch_execz .LBB100_24
; %bb.30:                               ;   in Loop: Header=BB100_25 Depth=4
	scratch_load_b64 v[10:11], off, off
	s_mov_b64 s[22:23], s[16:17]
	s_mov_b32 s24, s16
	s_branch .LBB100_24
.LBB100_31:                             ;   in Loop: Header=BB100_4 Depth=1
	s_mov_b32 s3, 0
.LBB100_32:                             ;   in Loop: Header=BB100_4 Depth=1
	s_delay_alu instid0(SALU_CYCLE_1)
	s_and_b32 vcc_lo, exec_lo, s3
	s_cbranch_vccz .LBB100_2
; %bb.33:                               ;   in Loop: Header=BB100_4 Depth=1
	v_add_nc_u64_e32 v[8:9], s[14:15], v[4:5]
	s_mov_b32 s14, 0
	s_mov_b32 s3, 0
	s_branch .LBB100_35
.LBB100_34:                             ;   in Loop: Header=BB100_35 Depth=2
	s_cmp_lt_i32 s14, s27
	s_cselect_b32 s15, -1, 0
	s_add_co_i32 s16, s3, 1
	s_cmp_lt_u32 s3, 2
	s_wait_xcnt 0x0
	s_cselect_b32 s3, -1, 0
	s_delay_alu instid0(SALU_CYCLE_1) | instskip(NEXT) | instid1(SALU_CYCLE_1)
	s_and_b32 s3, s15, s3
	s_and_not1_b32 vcc_lo, exec_lo, s3
	s_mov_b32 s3, s16
	s_cbranch_vccnz .LBB100_2
.LBB100_35:                             ;   Parent Loop BB100_4 Depth=1
                                        ; =>  This Loop Header: Depth=2
                                        ;       Child Loop BB100_38 Depth 3
                                        ;         Child Loop BB100_39 Depth 4
                                        ;         Child Loop BB100_42 Depth 4
                                        ;           Child Loop BB100_43 Depth 5
                                        ;         Child Loop BB100_47 Depth 4
                                        ;           Child Loop BB100_49 Depth 5
	s_load_b32 s16, s[6:7], s3 offset:0x0 scale_offset
	s_wait_kmcnt 0x0
	s_add_co_i32 s24, s16, -1
	s_delay_alu instid0(SALU_CYCLE_1) | instskip(NEXT) | instid1(SALU_CYCLE_1)
	s_add_co_i32 s15, s24, s14
	s_cmp_ge_i32 s15, s27
	s_cbranch_scc1 .LBB100_34
; %bb.36:                               ;   in Loop: Header=BB100_35 Depth=2
	s_ashr_i32 s15, s14, 31
	s_ashr_i32 s17, s16, 31
	v_lshl_add_u64 v[10:11], s[14:15], 3, v[8:9]
	s_max_i32 s25, s16, 1
	s_lshl_b64 s[22:23], s[16:17], 3
	s_lshl_b32 s15, s14, 3
	s_lshl_b32 s17, s16, 3
	s_mul_i32 s37, s14, 0xe8
	s_mul_i32 s38, s16, 0xe8
	s_branch .LBB100_38
.LBB100_37:                             ;   in Loop: Header=BB100_38 Depth=3
	v_add_nc_u64_e32 v[10:11], s[22:23], v[10:11]
	s_add_co_i32 s14, s14, s16
	s_add_co_i32 s15, s15, s17
	;; [unrolled: 1-line block ×4, first 2 shown]
	s_cmp_ge_i32 s18, s27
	s_cbranch_scc1 .LBB100_34
.LBB100_38:                             ;   Parent Loop BB100_4 Depth=1
                                        ;     Parent Loop BB100_35 Depth=2
                                        ; =>    This Loop Header: Depth=3
                                        ;         Child Loop BB100_39 Depth 4
                                        ;         Child Loop BB100_42 Depth 4
                                        ;           Child Loop BB100_43 Depth 5
                                        ;         Child Loop BB100_47 Depth 4
                                        ;           Child Loop BB100_49 Depth 5
	s_wait_xcnt 0x0
	v_mov_b64_e32 v[12:13], v[10:11]
	s_mov_b32 s18, 0
	s_mov_b32 s39, s25
.LBB100_39:                             ;   Parent Loop BB100_4 Depth=1
                                        ;     Parent Loop BB100_35 Depth=2
                                        ;       Parent Loop BB100_38 Depth=3
                                        ; =>      This Inner Loop Header: Depth=4
	global_load_b64 v[16:17], v[12:13], off
	s_wait_xcnt 0x0
	v_add_nc_u64_e32 v[12:13], 8, v[12:13]
	s_add_co_i32 s39, s39, -1
	s_wait_loadcnt 0x0
	v_mul_f64_e32 v[16:17], s[4:5], v[16:17]
	scratch_store_b64 off, v[16:17], s18
	s_wait_xcnt 0x0
	s_add_co_i32 s18, s18, 8
	s_cmp_eq_u32 s39, 0
	s_cbranch_scc0 .LBB100_39
; %bb.40:                               ;   in Loop: Header=BB100_38 Depth=3
	s_cmp_lt_i32 s14, 1
	s_cbranch_scc1 .LBB100_45
; %bb.41:                               ;   in Loop: Header=BB100_38 Depth=3
	s_mov_b32 s18, 0
	s_mov_b32 s39, s15
.LBB100_42:                             ;   Parent Loop BB100_4 Depth=1
                                        ;     Parent Loop BB100_35 Depth=2
                                        ;       Parent Loop BB100_38 Depth=3
                                        ; =>      This Loop Header: Depth=4
                                        ;           Child Loop BB100_43 Depth 5
	v_lshl_add_u64 v[12:13], s[18:19], 3, v[6:7]
	s_mov_b32 s40, 0
	s_mov_b32 s41, s39
	;; [unrolled: 1-line block ×3, first 2 shown]
	global_load_b64 v[12:13], v[12:13], off
.LBB100_43:                             ;   Parent Loop BB100_4 Depth=1
                                        ;     Parent Loop BB100_35 Depth=2
                                        ;       Parent Loop BB100_38 Depth=3
                                        ;         Parent Loop BB100_42 Depth=4
                                        ; =>        This Inner Loop Header: Depth=5
	scratch_load_b64 v[16:17], off, s40
	v_mov_b32_e32 v3, s41
	s_add_co_i32 s42, s42, -1
	s_add_co_i32 s41, s41, 8
	ds_load_b64 v[18:19], v3
	s_wait_loadcnt_dscnt 0x0
	v_fma_f64 v[16:17], -v[12:13], v[18:19], v[16:17]
	scratch_store_b64 off, v[16:17], s40
	s_wait_xcnt 0x0
	s_add_co_i32 s40, s40, 8
	s_cmp_eq_u32 s42, 0
	s_cbranch_scc0 .LBB100_43
; %bb.44:                               ;   in Loop: Header=BB100_42 Depth=4
	s_add_co_i32 s18, s18, 1
	s_addk_co_i32 s39, 0xe0
	s_cmp_eq_u32 s18, s14
	s_cbranch_scc0 .LBB100_42
.LBB100_45:                             ;   in Loop: Header=BB100_38 Depth=3
	s_mov_b32 s18, 0
	s_mov_b32 s39, s37
	s_branch .LBB100_47
.LBB100_46:                             ;   in Loop: Header=BB100_47 Depth=4
	s_add_co_i32 s40, s18, s14
	s_wait_xcnt 0x1
	s_lshl_b32 s42, s18, 3
	s_mul_i32 s41, s40, 0xe8
	s_add_co_i32 s18, s18, 1
	v_mov_b32_e32 v3, s41
	s_ashr_i32 s41, s40, 31
	s_add_co_i32 s39, s39, 8
	s_cmp_eq_u32 s18, s25
	s_wait_xcnt 0x0
	ds_load_b64 v[16:17], v3
	s_wait_loadcnt_dscnt 0x0
	v_mul_f64_e32 v[12:13], v[16:17], v[12:13]
	v_lshl_add_u64 v[16:17], s[40:41], 3, v[6:7]
	scratch_store_b64 off, v[12:13], s42
	global_store_b64 v[16:17], v[12:13], off
	s_cbranch_scc1 .LBB100_37
.LBB100_47:                             ;   Parent Loop BB100_4 Depth=1
                                        ;     Parent Loop BB100_35 Depth=2
                                        ;       Parent Loop BB100_38 Depth=3
                                        ; =>      This Loop Header: Depth=4
                                        ;           Child Loop BB100_49 Depth 5
	s_cmp_lg_u32 s18, 0
	s_cbranch_scc0 .LBB100_51
; %bb.48:                               ;   in Loop: Header=BB100_47 Depth=4
	s_lshl_b32 s40, s18, 3
	s_mov_b32 s41, 0
	scratch_load_b64 v[12:13], off, s40
	s_mov_b32 s42, s39
	s_mov_b32 s43, s18
.LBB100_49:                             ;   Parent Loop BB100_4 Depth=1
                                        ;     Parent Loop BB100_35 Depth=2
                                        ;       Parent Loop BB100_38 Depth=3
                                        ;         Parent Loop BB100_47 Depth=4
                                        ; =>        This Inner Loop Header: Depth=5
	scratch_load_b64 v[16:17], off, s41
	v_mov_b32_e32 v3, s42
	s_add_co_i32 s43, s43, -1
	s_addk_co_i32 s42, 0xe0
	s_wait_xcnt 0x0
	s_add_co_i32 s41, s41, 8
	s_cmp_eq_u32 s43, 0
	ds_load_b64 v[18:19], v3
	s_wait_loadcnt_dscnt 0x0
	v_fma_f64 v[12:13], -v[16:17], v[18:19], v[12:13]
	scratch_store_b64 off, v[12:13], s40
	s_cbranch_scc0 .LBB100_49
; %bb.50:                               ;   in Loop: Header=BB100_47 Depth=4
	s_wait_xcnt 0x0
	s_branch .LBB100_46
.LBB100_51:                             ;   in Loop: Header=BB100_47 Depth=4
                                        ; implicit-def: $vgpr12_vgpr13
	s_cbranch_execz .LBB100_46
; %bb.52:                               ;   in Loop: Header=BB100_47 Depth=4
	scratch_load_b64 v[12:13], off, off
	s_branch .LBB100_46
.LBB100_53:
	s_or_b32 exec_lo, exec_lo, s33
	s_and_saveexec_b32 s0, s34
	s_delay_alu instid0(SALU_CYCLE_1)
	s_xor_b32 s0, exec_lo, s0
.LBB100_54:
	s_endpgm
	.section	.rodata,"a",@progbits
	.p2align	6, 0x0
	.amdhsa_kernel _ZL30rocblas_trsm_small_left_deviceILi28ELi28ELb1EddPKdPdEv13rocblas_fill_18rocblas_operation_17rocblas_diagonal_iiT3_T4_lilT5_lili
		.amdhsa_group_segment_fixed_size 6272
		.amdhsa_private_segment_fixed_size 240
		.amdhsa_kernarg_size 360
		.amdhsa_user_sgpr_count 2
		.amdhsa_user_sgpr_dispatch_ptr 0
		.amdhsa_user_sgpr_queue_ptr 0
		.amdhsa_user_sgpr_kernarg_segment_ptr 1
		.amdhsa_user_sgpr_dispatch_id 0
		.amdhsa_user_sgpr_kernarg_preload_length 0
		.amdhsa_user_sgpr_kernarg_preload_offset 0
		.amdhsa_user_sgpr_private_segment_size 0
		.amdhsa_wavefront_size32 1
		.amdhsa_uses_dynamic_stack 0
		.amdhsa_enable_private_segment 1
		.amdhsa_system_sgpr_workgroup_id_x 1
		.amdhsa_system_sgpr_workgroup_id_y 0
		.amdhsa_system_sgpr_workgroup_id_z 1
		.amdhsa_system_sgpr_workgroup_info 0
		.amdhsa_system_vgpr_workitem_id 0
		.amdhsa_next_free_vgpr 20
		.amdhsa_next_free_sgpr 45
		.amdhsa_named_barrier_count 0
		.amdhsa_reserve_vcc 1
		.amdhsa_float_round_mode_32 0
		.amdhsa_float_round_mode_16_64 0
		.amdhsa_float_denorm_mode_32 3
		.amdhsa_float_denorm_mode_16_64 3
		.amdhsa_fp16_overflow 0
		.amdhsa_memory_ordered 1
		.amdhsa_forward_progress 1
		.amdhsa_inst_pref_size 16
		.amdhsa_round_robin_scheduling 0
		.amdhsa_exception_fp_ieee_invalid_op 0
		.amdhsa_exception_fp_denorm_src 0
		.amdhsa_exception_fp_ieee_div_zero 0
		.amdhsa_exception_fp_ieee_overflow 0
		.amdhsa_exception_fp_ieee_underflow 0
		.amdhsa_exception_fp_ieee_inexact 0
		.amdhsa_exception_int_div_zero 0
	.end_amdhsa_kernel
	.section	.text._ZL30rocblas_trsm_small_left_deviceILi28ELi28ELb1EddPKdPdEv13rocblas_fill_18rocblas_operation_17rocblas_diagonal_iiT3_T4_lilT5_lili,"axG",@progbits,_ZL30rocblas_trsm_small_left_deviceILi28ELi28ELb1EddPKdPdEv13rocblas_fill_18rocblas_operation_17rocblas_diagonal_iiT3_T4_lilT5_lili,comdat
.Lfunc_end100:
	.size	_ZL30rocblas_trsm_small_left_deviceILi28ELi28ELb1EddPKdPdEv13rocblas_fill_18rocblas_operation_17rocblas_diagonal_iiT3_T4_lilT5_lili, .Lfunc_end100-_ZL30rocblas_trsm_small_left_deviceILi28ELi28ELb1EddPKdPdEv13rocblas_fill_18rocblas_operation_17rocblas_diagonal_iiT3_T4_lilT5_lili
                                        ; -- End function
	.set _ZL30rocblas_trsm_small_left_deviceILi28ELi28ELb1EddPKdPdEv13rocblas_fill_18rocblas_operation_17rocblas_diagonal_iiT3_T4_lilT5_lili.num_vgpr, 20
	.set _ZL30rocblas_trsm_small_left_deviceILi28ELi28ELb1EddPKdPdEv13rocblas_fill_18rocblas_operation_17rocblas_diagonal_iiT3_T4_lilT5_lili.num_agpr, 0
	.set _ZL30rocblas_trsm_small_left_deviceILi28ELi28ELb1EddPKdPdEv13rocblas_fill_18rocblas_operation_17rocblas_diagonal_iiT3_T4_lilT5_lili.numbered_sgpr, 45
	.set _ZL30rocblas_trsm_small_left_deviceILi28ELi28ELb1EddPKdPdEv13rocblas_fill_18rocblas_operation_17rocblas_diagonal_iiT3_T4_lilT5_lili.num_named_barrier, 0
	.set _ZL30rocblas_trsm_small_left_deviceILi28ELi28ELb1EddPKdPdEv13rocblas_fill_18rocblas_operation_17rocblas_diagonal_iiT3_T4_lilT5_lili.private_seg_size, 240
	.set _ZL30rocblas_trsm_small_left_deviceILi28ELi28ELb1EddPKdPdEv13rocblas_fill_18rocblas_operation_17rocblas_diagonal_iiT3_T4_lilT5_lili.uses_vcc, 1
	.set _ZL30rocblas_trsm_small_left_deviceILi28ELi28ELb1EddPKdPdEv13rocblas_fill_18rocblas_operation_17rocblas_diagonal_iiT3_T4_lilT5_lili.uses_flat_scratch, 0
	.set _ZL30rocblas_trsm_small_left_deviceILi28ELi28ELb1EddPKdPdEv13rocblas_fill_18rocblas_operation_17rocblas_diagonal_iiT3_T4_lilT5_lili.has_dyn_sized_stack, 0
	.set _ZL30rocblas_trsm_small_left_deviceILi28ELi28ELb1EddPKdPdEv13rocblas_fill_18rocblas_operation_17rocblas_diagonal_iiT3_T4_lilT5_lili.has_recursion, 0
	.set _ZL30rocblas_trsm_small_left_deviceILi28ELi28ELb1EddPKdPdEv13rocblas_fill_18rocblas_operation_17rocblas_diagonal_iiT3_T4_lilT5_lili.has_indirect_call, 0
	.section	.AMDGPU.csdata,"",@progbits
; Kernel info:
; codeLenInByte = 2016
; TotalNumSgprs: 47
; NumVgprs: 20
; ScratchSize: 240
; MemoryBound: 0
; FloatMode: 240
; IeeeMode: 1
; LDSByteSize: 6272 bytes/workgroup (compile time only)
; SGPRBlocks: 0
; VGPRBlocks: 1
; NumSGPRsForWavesPerEU: 47
; NumVGPRsForWavesPerEU: 20
; NamedBarCnt: 0
; Occupancy: 13
; WaveLimiterHint : 0
; COMPUTE_PGM_RSRC2:SCRATCH_EN: 1
; COMPUTE_PGM_RSRC2:USER_SGPR: 2
; COMPUTE_PGM_RSRC2:TRAP_HANDLER: 0
; COMPUTE_PGM_RSRC2:TGID_X_EN: 1
; COMPUTE_PGM_RSRC2:TGID_Y_EN: 0
; COMPUTE_PGM_RSRC2:TGID_Z_EN: 1
; COMPUTE_PGM_RSRC2:TIDIG_COMP_CNT: 0
	.section	.text._ZL31rocblas_trsm_small_right_deviceIddPKdPdLi28EEv13rocblas_fill_18rocblas_operation_17rocblas_diagonal_iiT0_T1_lilT2_lili,"axG",@progbits,_ZL31rocblas_trsm_small_right_deviceIddPKdPdLi28EEv13rocblas_fill_18rocblas_operation_17rocblas_diagonal_iiT0_T1_lilT2_lili,comdat
	.globl	_ZL31rocblas_trsm_small_right_deviceIddPKdPdLi28EEv13rocblas_fill_18rocblas_operation_17rocblas_diagonal_iiT0_T1_lilT2_lili ; -- Begin function _ZL31rocblas_trsm_small_right_deviceIddPKdPdLi28EEv13rocblas_fill_18rocblas_operation_17rocblas_diagonal_iiT0_T1_lilT2_lili
	.p2align	8
	.type	_ZL31rocblas_trsm_small_right_deviceIddPKdPdLi28EEv13rocblas_fill_18rocblas_operation_17rocblas_diagonal_iiT0_T1_lilT2_lili,@function
_ZL31rocblas_trsm_small_right_deviceIddPKdPdLi28EEv13rocblas_fill_18rocblas_operation_17rocblas_diagonal_iiT0_T1_lilT2_lili: ; @_ZL31rocblas_trsm_small_right_deviceIddPKdPdLi28EEv13rocblas_fill_18rocblas_operation_17rocblas_diagonal_iiT0_T1_lilT2_lili
; %bb.0:
	s_load_b32 s19, s[0:1], 0x60
	s_bfe_u32 s2, ttmp6, 0x40014
	s_lshr_b32 s3, ttmp7, 16
	s_add_co_i32 s2, s2, 1
	s_bfe_u32 s5, ttmp6, 0x40008
	s_mul_i32 s4, s3, s2
	s_getreg_b32 s2, hwreg(HW_REG_IB_STS2, 6, 4)
	s_add_co_i32 s5, s5, s4
	s_cmp_eq_u32 s2, 0
	s_cselect_b32 s23, s3, s5
	s_wait_kmcnt 0x0
	s_cmp_ge_u32 s23, s19
	s_cbranch_scc1 .LBB101_82
; %bb.1:
	s_clause 0x7
	s_load_b96 s[16:18], s[0:1], 0x28
	s_load_b96 s[20:22], s[0:1], 0x48
	s_load_b128 s[12:15], s[0:1], 0x0
	s_load_b32 s24, s[0:1], 0x10
	s_load_b32 s3, s[0:1], 0x68
	s_load_b128 s[4:7], s[0:1], 0x18
	s_load_b128 s[8:11], s[0:1], 0x38
	s_load_b64 s[34:35], s[0:1], 0x58
	v_dual_mov_b32 v9, 0 :: v_dual_lshlrev_b32 v8, 3, v0
	v_mul_u32_u24_e32 v1, 0xe0, v0
	v_mov_b64_e32 v[14:15], 1.0
	s_delay_alu instid0(VALU_DEP_3) | instskip(NEXT) | instid1(VALU_DEP_3)
	v_add_nc_u32_e32 v18, 0x1880, v8
	v_add_nc_u32_e32 v20, v8, v1
	s_wait_kmcnt 0x0
	s_ashr_i32 s29, s18, 31
	s_ashr_i32 s31, s22, 31
	s_cmp_lg_u32 s12, 0x7a
	s_mov_b32 s28, s18
	s_cselect_b32 s26, -1, 0
	s_bfe_u32 s0, ttmp6, 0x4000c
	s_min_i32 s1, s24, 28
	s_add_co_i32 s0, s0, 1
	s_and_b32 s27, ttmp6, 15
	s_mul_i32 s0, ttmp9, s0
	s_add_co_i32 s3, s3, -1
	s_add_co_i32 s25, s1, -1
	s_add_co_i32 s27, s27, s0
	s_cmp_eq_u32 s2, 0
	s_mov_b32 s30, s22
	s_cselect_b32 s2, ttmp9, s27
	s_delay_alu instid0(SALU_CYCLE_1) | instskip(NEXT) | instid1(SALU_CYCLE_1)
	s_mul_i32 s0, s2, 0xffffffe4
	s_add_co_i32 s0, s15, s0
	s_cmp_ge_u32 s2, s3
	s_cselect_b32 s15, s0, 28
	s_ashr_i32 s3, s2, 31
	s_cmp_eq_u32 s14, 0x84
	v_cmp_gt_i32_e32 vcc_lo, s15, v0
	s_cselect_b32 s14, -1, 0
	s_cmp_gt_i32 s24, 0
	s_mul_u64 s[36:37], s[2:3], 0xe0
	s_cselect_b32 s27, -1, 0
	s_cmp_lg_u32 s13, 0x6f
	v_cmp_gt_i32_e64 s0, s1, v0
	s_cselect_b32 s13, -1, 0
	s_cmp_lg_u32 s12, 0x79
	s_cselect_b32 s12, -1, 0
	s_or_b32 s15, s26, s13
	s_or_b32 s18, s12, s13
	s_cmp_gt_i32 s24, 3
	v_cndmask_b32_e64 v19, 0, 1, s12
	s_cselect_b32 s22, -1, 0
	s_lshl_b64 s[20:21], s[20:21], 3
	s_lshl_b64 s[16:17], s[16:17], 3
	s_add_nc_u64 s[20:21], s[36:37], s[20:21]
	s_add_nc_u64 s[6:7], s[6:7], s[16:17]
	s_add_nc_u64 s[10:11], s[10:11], s[20:21]
	v_add_nc_u64_e32 v[10:11], s[6:7], v[8:9]
	v_add_nc_u64_e32 v[12:13], s[10:11], v[8:9]
	s_mul_i32 s16, s1, 0xe0
	s_mul_i32 s17, s1, 0xe8
	v_add3_u32 v9, s16, v8, 0x17a0
	s_lshl_b32 s21, s1, 3
	s_and_b32 s26, vcc_lo, s27
	s_lshl_b64 s[2:3], s[8:9], 3
	s_lshl_b64 s[8:9], s[28:29], 3
	;; [unrolled: 1-line block ×4, first 2 shown]
	s_add_co_i32 s10, s17, 0xffffff00
	s_add_co_i32 s11, s16, 0xffffff20
	s_addk_co_i32 s16, 0xff18
	s_addk_co_i32 s17, 0xfc78
	s_add_co_i32 s20, s21, -8
	s_addk_co_i32 s21, 0xff18
	s_branch .LBB101_3
.LBB101_2:                              ;   in Loop: Header=BB101_3 Depth=1
	s_or_b32 exec_lo, exec_lo, s27
	s_add_co_i32 s23, s23, 0x10000
	s_delay_alu instid0(SALU_CYCLE_1)
	s_cmp_lt_u32 s23, s19
	s_cbranch_scc0 .LBB101_82
.LBB101_3:                              ; =>This Loop Header: Depth=1
                                        ;     Child Loop BB101_5 Depth 2
                                        ;     Child Loop BB101_10 Depth 2
	;; [unrolled: 1-line block ×3, first 2 shown]
                                        ;       Child Loop BB101_17 Depth 3
                                        ;     Child Loop BB101_23 Depth 2
                                        ;       Child Loop BB101_24 Depth 3
                                        ;     Child Loop BB101_28 Depth 2
	;; [unrolled: 2-line block ×3, first 2 shown]
                                        ;     Child Loop BB101_42 Depth 2
                                        ;       Child Loop BB101_43 Depth 3
                                        ;       Child Loop BB101_45 Depth 3
                                        ;     Child Loop BB101_49 Depth 2
                                        ;       Child Loop BB101_50 Depth 3
                                        ;     Child Loop BB101_57 Depth 2
                                        ;     Child Loop BB101_62 Depth 2
                                        ;       Child Loop BB101_63 Depth 3
                                        ;       Child Loop BB101_65 Depth 3
                                        ;     Child Loop BB101_70 Depth 2
                                        ;       Child Loop BB101_71 Depth 3
                                        ;     Child Loop BB101_77 Depth 2
	;; [unrolled: 2-line block ×3, first 2 shown]
	s_and_saveexec_b32 s27, s0
	s_cbranch_execz .LBB101_8
; %bb.4:                                ;   in Loop: Header=BB101_3 Depth=1
	v_mad_nc_u64_u32 v[0:1], s2, s23, v[10:11]
	v_mov_b32_e32 v2, v8
	s_mov_b32 s28, s1
	s_delay_alu instid0(VALU_DEP_2)
	v_mad_u32 v1, s3, s23, v1
.LBB101_5:                              ;   Parent Loop BB101_3 Depth=1
                                        ; =>  This Inner Loop Header: Depth=2
	global_load_b64 v[4:5], v[0:1], off
	s_wait_xcnt 0x0
	v_add_nc_u64_e32 v[0:1], s[8:9], v[0:1]
	s_add_co_i32 s28, s28, -1
	s_delay_alu instid0(SALU_CYCLE_1)
	s_cmp_eq_u32 s28, 0
	s_wait_loadcnt 0x0
	ds_store_b64 v2, v[4:5]
	v_add_nc_u32_e32 v2, 0xe0, v2
	s_cbranch_scc0 .LBB101_5
; %bb.6:                                ;   in Loop: Header=BB101_3 Depth=1
	s_and_b32 vcc_lo, exec_lo, s14
	s_cbranch_vccz .LBB101_8
; %bb.7:                                ;   in Loop: Header=BB101_3 Depth=1
	ds_store_b64 v20, v[14:15]
.LBB101_8:                              ;   in Loop: Header=BB101_3 Depth=1
	s_or_b32 exec_lo, exec_lo, s27
	v_mad_nc_u64_u32 v[16:17], s12, s23, v[12:13]
	s_delay_alu instid0(VALU_DEP_1)
	v_mad_u32 v17, s13, s23, v17
	s_and_saveexec_b32 s27, s26
	s_cbranch_execz .LBB101_11
; %bb.9:                                ;   in Loop: Header=BB101_3 Depth=1
	s_delay_alu instid0(VALU_DEP_1)
	v_mov_b64_e32 v[0:1], v[16:17]
	v_mov_b32_e32 v2, v18
	s_mov_b32 s28, s24
.LBB101_10:                             ;   Parent Loop BB101_3 Depth=1
                                        ; =>  This Inner Loop Header: Depth=2
	global_load_b64 v[4:5], v[0:1], off
	s_wait_xcnt 0x0
	v_add_nc_u64_e32 v[0:1], s[6:7], v[0:1]
	s_add_co_i32 s28, s28, -1
	s_delay_alu instid0(SALU_CYCLE_1)
	s_cmp_lg_u32 s28, 0
	s_wait_loadcnt 0x0
	v_mul_f64_e32 v[4:5], s[4:5], v[4:5]
	ds_store_b64 v2, v[4:5]
	v_add_nc_u32_e32 v2, 0xe0, v2
	s_cbranch_scc1 .LBB101_10
.LBB101_11:                             ;   in Loop: Header=BB101_3 Depth=1
	s_or_b32 exec_lo, exec_lo, s27
	s_delay_alu instid0(SALU_CYCLE_1)
	s_and_b32 vcc_lo, exec_lo, s18
	s_mov_b32 s27, -1
	s_wait_dscnt 0x0
	; wave barrier
	s_cbranch_vccz .LBB101_67
; %bb.12:                               ;   in Loop: Header=BB101_3 Depth=1
	s_and_b32 vcc_lo, exec_lo, s15
	s_cbranch_vccz .LBB101_47
; %bb.13:                               ;   in Loop: Header=BB101_3 Depth=1
	v_cmp_ne_u32_e32 vcc_lo, 1, v19
	s_cbranch_vccnz .LBB101_26
; %bb.14:                               ;   in Loop: Header=BB101_3 Depth=1
	s_and_not1_b32 vcc_lo, exec_lo, s22
	s_mov_b32 s29, 0
	s_cbranch_vccnz .LBB101_20
; %bb.15:                               ;   in Loop: Header=BB101_3 Depth=1
	s_mov_b32 s27, 0
	s_mov_b32 s28, 0
.LBB101_16:                             ;   Parent Loop BB101_3 Depth=1
                                        ; =>  This Loop Header: Depth=2
                                        ;       Child Loop BB101_17 Depth 3
	s_delay_alu instid0(SALU_CYCLE_1) | instskip(SKIP_3) | instid1(SALU_CYCLE_1)
	v_mad_u32 v21, 0xe0, s28, v18
	s_or_b32 s29, s28, 3
	s_cmp_eq_u32 s28, 0
	s_mulk_i32 s29, 0xe0
	v_dual_mov_b32 v23, v18 :: v_dual_add_nc_u32 v22, s29, v18
	s_mov_b32 s29, s27
	s_mov_b32 s30, s28
	ds_load_2addr_b64 v[0:3], v21 offset1:28
	ds_load_b64 v[6:7], v21 offset:448
	ds_load_b64 v[4:5], v22
	s_cbranch_scc1 .LBB101_18
.LBB101_17:                             ;   Parent Loop BB101_3 Depth=1
                                        ;     Parent Loop BB101_16 Depth=2
                                        ; =>    This Inner Loop Header: Depth=3
	v_mov_b32_e32 v28, s29
	s_add_co_i32 s30, s30, -1
	s_addk_co_i32 s29, 0xe0
	s_cmp_eq_u32 s30, 0
	ds_load_b64 v[32:33], v23
	ds_load_b128 v[24:27], v28
	ds_load_b128 v[28:31], v28 offset:16
	v_add_nc_u32_e32 v23, 0xe0, v23
	s_wait_dscnt 0x1
	v_fma_f64 v[0:1], -v[32:33], v[24:25], v[0:1]
	v_fma_f64 v[2:3], -v[32:33], v[26:27], v[2:3]
	s_wait_dscnt 0x0
	v_fma_f64 v[6:7], -v[32:33], v[28:29], v[6:7]
	v_fma_f64 v[4:5], -v[32:33], v[30:31], v[4:5]
	s_cbranch_scc0 .LBB101_17
.LBB101_18:                             ;   in Loop: Header=BB101_16 Depth=2
	s_lshl_b32 s29, s28, 3
	s_mul_i32 s30, s28, 0xe0
	s_or_b32 s31, s29, 8
	s_add_co_i32 s30, s29, s30
	s_add_co_i32 s27, s27, 32
	v_mov_b32_e32 v23, s30
	s_addk_co_i32 s30, 0xe8
	ds_load_b128 v[24:27], v23
	ds_load_b128 v[28:31], v23 offset:16
	s_sub_co_i32 s30, s30, s31
	s_delay_alu instid0(SALU_CYCLE_1) | instskip(SKIP_3) | instid1(VALU_DEP_2)
	s_add_co_i32 s29, s30, s29
	s_wait_dscnt 0x1
	v_div_scale_f64 v[32:33], null, v[24:25], v[24:25], v[0:1]
	v_div_scale_f64 v[38:39], vcc_lo, v[0:1], v[24:25], v[0:1]
	v_rcp_f64_e32 v[34:35], v[32:33]
	v_nop
	s_delay_alu instid0(TRANS32_DEP_1) | instskip(NEXT) | instid1(VALU_DEP_1)
	v_fma_f64 v[36:37], -v[32:33], v[34:35], 1.0
	v_fmac_f64_e32 v[34:35], v[34:35], v[36:37]
	s_delay_alu instid0(VALU_DEP_1) | instskip(NEXT) | instid1(VALU_DEP_1)
	v_fma_f64 v[36:37], -v[32:33], v[34:35], 1.0
	v_fmac_f64_e32 v[34:35], v[34:35], v[36:37]
	s_delay_alu instid0(VALU_DEP_1) | instskip(NEXT) | instid1(VALU_DEP_1)
	v_mul_f64_e32 v[36:37], v[38:39], v[34:35]
	v_fma_f64 v[32:33], -v[32:33], v[36:37], v[38:39]
	s_delay_alu instid0(VALU_DEP_1) | instskip(NEXT) | instid1(VALU_DEP_1)
	v_div_fmas_f64 v[32:33], v[32:33], v[34:35], v[36:37]
	v_div_fixup_f64 v[32:33], v[32:33], v[24:25], v[0:1]
	s_delay_alu instid0(VALU_DEP_1)
	v_fma_f64 v[34:35], -v[32:33], v[26:27], v[2:3]
	ds_load_2addr_b64 v[0:3], v23 offset0:29 offset1:30
	ds_load_b128 v[24:27], v23 offset:464
	s_wait_dscnt 0x2
	v_fma_f64 v[6:7], -v[32:33], v[28:29], v[6:7]
	v_fma_f64 v[4:5], -v[32:33], v[30:31], v[4:5]
	s_wait_dscnt 0x1
	v_div_scale_f64 v[36:37], null, v[0:1], v[0:1], v[34:35]
	v_div_scale_f64 v[42:43], vcc_lo, v[34:35], v[0:1], v[34:35]
	s_delay_alu instid0(VALU_DEP_2) | instskip(SKIP_1) | instid1(TRANS32_DEP_1)
	v_rcp_f64_e32 v[38:39], v[36:37]
	v_nop
	v_fma_f64 v[40:41], -v[36:37], v[38:39], 1.0
	s_delay_alu instid0(VALU_DEP_1) | instskip(NEXT) | instid1(VALU_DEP_1)
	v_fmac_f64_e32 v[38:39], v[38:39], v[40:41]
	v_fma_f64 v[40:41], -v[36:37], v[38:39], 1.0
	s_delay_alu instid0(VALU_DEP_1) | instskip(NEXT) | instid1(VALU_DEP_1)
	v_fmac_f64_e32 v[38:39], v[38:39], v[40:41]
	v_mul_f64_e32 v[40:41], v[42:43], v[38:39]
	s_delay_alu instid0(VALU_DEP_1) | instskip(NEXT) | instid1(VALU_DEP_1)
	v_fma_f64 v[36:37], -v[36:37], v[40:41], v[42:43]
	v_div_fmas_f64 v[36:37], v[36:37], v[38:39], v[40:41]
	s_delay_alu instid0(VALU_DEP_1) | instskip(NEXT) | instid1(VALU_DEP_1)
	v_div_fixup_f64 v[0:1], v[36:37], v[0:1], v[34:35]
	v_fma_f64 v[2:3], -v[0:1], v[2:3], v[6:7]
	s_wait_dscnt 0x0
	s_delay_alu instid0(VALU_DEP_1) | instskip(SKIP_1) | instid1(VALU_DEP_2)
	v_div_scale_f64 v[6:7], null, v[24:25], v[24:25], v[2:3]
	v_div_scale_f64 v[36:37], vcc_lo, v[2:3], v[24:25], v[2:3]
	v_rcp_f64_e32 v[28:29], v[6:7]
	v_nop
	s_delay_alu instid0(TRANS32_DEP_1) | instskip(NEXT) | instid1(VALU_DEP_1)
	v_fma_f64 v[34:35], -v[6:7], v[28:29], 1.0
	v_fmac_f64_e32 v[28:29], v[28:29], v[34:35]
	s_delay_alu instid0(VALU_DEP_1) | instskip(NEXT) | instid1(VALU_DEP_1)
	v_fma_f64 v[34:35], -v[6:7], v[28:29], 1.0
	v_fmac_f64_e32 v[28:29], v[28:29], v[34:35]
	s_delay_alu instid0(VALU_DEP_1) | instskip(NEXT) | instid1(VALU_DEP_1)
	v_mul_f64_e32 v[34:35], v[36:37], v[28:29]
	v_fma_f64 v[6:7], -v[6:7], v[34:35], v[36:37]
	s_delay_alu instid0(VALU_DEP_1)
	v_div_fmas_f64 v[6:7], v[6:7], v[28:29], v[34:35]
	v_mov_b32_e32 v28, s29
	s_add_co_i32 s29, s28, 4
	s_add_co_i32 s28, s28, 7
	ds_load_b64 v[28:29], v28 offset:24
	ds_load_b64 v[30:31], v23 offset:696
	s_cmp_ge_i32 s28, s1
	ds_store_2addr_b64 v21, v[32:33], v[0:1] offset1:28
	s_wait_dscnt 0x2
	v_fma_f64 v[4:5], -v[0:1], v[28:29], v[4:5]
	v_div_fixup_f64 v[2:3], v[6:7], v[24:25], v[2:3]
	s_delay_alu instid0(VALU_DEP_1) | instskip(SKIP_1) | instid1(VALU_DEP_1)
	v_fma_f64 v[4:5], -v[2:3], v[26:27], v[4:5]
	s_wait_dscnt 0x1
	v_div_scale_f64 v[6:7], null, v[30:31], v[30:31], v[4:5]
	s_delay_alu instid0(VALU_DEP_1) | instskip(SKIP_1) | instid1(TRANS32_DEP_1)
	v_rcp_f64_e32 v[24:25], v[6:7]
	v_nop
	v_fma_f64 v[26:27], -v[6:7], v[24:25], 1.0
	s_delay_alu instid0(VALU_DEP_1) | instskip(NEXT) | instid1(VALU_DEP_1)
	v_fmac_f64_e32 v[24:25], v[24:25], v[26:27]
	v_fma_f64 v[26:27], -v[6:7], v[24:25], 1.0
	s_delay_alu instid0(VALU_DEP_1) | instskip(SKIP_1) | instid1(VALU_DEP_1)
	v_fmac_f64_e32 v[24:25], v[24:25], v[26:27]
	v_div_scale_f64 v[26:27], vcc_lo, v[4:5], v[30:31], v[4:5]
	v_mul_f64_e32 v[28:29], v[26:27], v[24:25]
	s_delay_alu instid0(VALU_DEP_1) | instskip(NEXT) | instid1(VALU_DEP_1)
	v_fma_f64 v[6:7], -v[6:7], v[28:29], v[26:27]
	v_div_fmas_f64 v[6:7], v[6:7], v[24:25], v[28:29]
	s_delay_alu instid0(VALU_DEP_1)
	v_div_fixup_f64 v[4:5], v[6:7], v[30:31], v[4:5]
	ds_store_b64 v21, v[2:3] offset:448
	ds_store_b64 v22, v[4:5]
	s_cbranch_scc1 .LBB101_20
; %bb.19:                               ;   in Loop: Header=BB101_16 Depth=2
	s_mov_b32 s28, s29
	s_branch .LBB101_16
.LBB101_20:                             ;   in Loop: Header=BB101_3 Depth=1
	s_cmp_ge_i32 s29, s1
	s_cbranch_scc1 .LBB101_25
; %bb.21:                               ;   in Loop: Header=BB101_3 Depth=1
	s_lshl_b32 s27, s29, 3
	s_branch .LBB101_23
.LBB101_22:                             ;   in Loop: Header=BB101_23 Depth=2
	s_lshl_b32 s30, s29, 3
	s_add_co_i32 s29, s29, 1
	s_add_co_i32 s28, s30, s28
	;; [unrolled: 1-line block ×3, first 2 shown]
	v_mov_b32_e32 v3, s28
	s_cmp_ge_i32 s29, s1
	ds_load_b64 v[4:5], v3
	s_wait_dscnt 0x0
	v_div_scale_f64 v[6:7], null, v[4:5], v[4:5], v[0:1]
	s_delay_alu instid0(VALU_DEP_1) | instskip(SKIP_1) | instid1(TRANS32_DEP_1)
	v_rcp_f64_e32 v[22:23], v[6:7]
	v_nop
	v_fma_f64 v[24:25], -v[6:7], v[22:23], 1.0
	s_delay_alu instid0(VALU_DEP_1) | instskip(NEXT) | instid1(VALU_DEP_1)
	v_fmac_f64_e32 v[22:23], v[22:23], v[24:25]
	v_fma_f64 v[24:25], -v[6:7], v[22:23], 1.0
	s_delay_alu instid0(VALU_DEP_1) | instskip(SKIP_1) | instid1(VALU_DEP_1)
	v_fmac_f64_e32 v[22:23], v[22:23], v[24:25]
	v_div_scale_f64 v[24:25], vcc_lo, v[0:1], v[4:5], v[0:1]
	v_mul_f64_e32 v[26:27], v[24:25], v[22:23]
	s_delay_alu instid0(VALU_DEP_1) | instskip(NEXT) | instid1(VALU_DEP_1)
	v_fma_f64 v[6:7], -v[6:7], v[26:27], v[24:25]
	v_div_fmas_f64 v[6:7], v[6:7], v[22:23], v[26:27]
	s_delay_alu instid0(VALU_DEP_1)
	v_div_fixup_f64 v[0:1], v[6:7], v[4:5], v[0:1]
	ds_store_b64 v2, v[0:1]
	s_cbranch_scc1 .LBB101_25
.LBB101_23:                             ;   Parent Loop BB101_3 Depth=1
                                        ; =>  This Loop Header: Depth=2
                                        ;       Child Loop BB101_24 Depth 3
	s_mul_i32 s28, s29, 0xe0
	s_cmp_eq_u32 s29, 0
	v_dual_mov_b32 v3, v18 :: v_dual_add_nc_u32 v2, s28, v18
	s_mov_b32 s30, s27
	s_mov_b32 s31, s29
	ds_load_b64 v[0:1], v2
	s_cbranch_scc1 .LBB101_22
.LBB101_24:                             ;   Parent Loop BB101_3 Depth=1
                                        ;     Parent Loop BB101_23 Depth=2
                                        ; =>    This Inner Loop Header: Depth=3
	v_mov_b32_e32 v6, s30
	s_add_co_i32 s31, s31, -1
	s_addk_co_i32 s30, 0xe0
	s_cmp_eq_u32 s31, 0
	ds_load_b64 v[4:5], v3
	ds_load_b64 v[6:7], v6
	v_add_nc_u32_e32 v3, 0xe0, v3
	s_wait_dscnt 0x0
	v_fma_f64 v[0:1], -v[4:5], v[6:7], v[0:1]
	s_cbranch_scc0 .LBB101_24
	s_branch .LBB101_22
.LBB101_25:                             ;   in Loop: Header=BB101_3 Depth=1
	s_mov_b32 s27, 0
.LBB101_26:                             ;   in Loop: Header=BB101_3 Depth=1
	s_delay_alu instid0(SALU_CYCLE_1)
	s_and_b32 vcc_lo, exec_lo, s27
	s_cbranch_vccz .LBB101_46
; %bb.27:                               ;   in Loop: Header=BB101_3 Depth=1
	s_mov_b32 s29, s25
	s_and_not1_b32 vcc_lo, exec_lo, s22
	s_mov_b32 s27, s10
	s_mov_b32 s28, s25
	s_cbranch_vccnz .LBB101_33
.LBB101_28:                             ;   Parent Loop BB101_3 Depth=1
                                        ; =>  This Loop Header: Depth=2
                                        ;       Child Loop BB101_29 Depth 3
	s_mul_i32 s30, s28, 0xe0
	s_mov_b32 s31, s27
	s_add_co_i32 s29, s30, 0xfffffd60
	s_delay_alu instid0(SALU_CYCLE_1) | instskip(SKIP_2) | instid1(VALU_DEP_1)
	v_dual_add_nc_u32 v21, s30, v18 :: v_dual_add_nc_u32 v24, s29, v18
	s_cmp_le_i32 s25, s28
	s_mov_b32 s33, s25
	v_dual_mov_b32 v25, v9 :: v_dual_add_nc_u32 v22, 0xffffff20, v21
	v_add_nc_u32_e32 v23, 0xfffffe40, v21
	ds_load_b64 v[6:7], v21
	ds_load_b64 v[4:5], v22
	;; [unrolled: 1-line block ×4, first 2 shown]
	s_cbranch_scc1 .LBB101_30
.LBB101_29:                             ;   Parent Loop BB101_3 Depth=1
                                        ;     Parent Loop BB101_28 Depth=2
                                        ; =>    This Inner Loop Header: Depth=3
	v_mov_b32_e32 v30, s31
	s_add_co_i32 s33, s33, -1
	s_addk_co_i32 s31, 0xff20
	s_cmp_le_i32 s33, s28
	ds_load_b64 v[34:35], v25
	ds_load_2addr_b64 v[26:29], v30 offset0:2 offset1:3
	ds_load_2addr_b64 v[30:33], v30 offset1:1
	v_add_nc_u32_e32 v25, 0xffffff20, v25
	s_wait_dscnt 0x1
	v_fma_f64 v[6:7], -v[34:35], v[28:29], v[6:7]
	v_fma_f64 v[4:5], -v[34:35], v[26:27], v[4:5]
	s_wait_dscnt 0x0
	v_fma_f64 v[2:3], -v[34:35], v[32:33], v[2:3]
	v_fma_f64 v[0:1], -v[34:35], v[30:31], v[0:1]
	s_cbranch_scc0 .LBB101_29
.LBB101_30:                             ;   in Loop: Header=BB101_28 Depth=2
	s_add_co_i32 s31, s28, -3
; %bb.31:                               ;   in Loop: Header=BB101_28 Depth=2
	s_lshl_b32 s33, s28, 3
	s_lshl_b32 s31, s31, 3
	s_add_co_i32 s34, s33, s30
	s_add_co_i32 s30, s30, s31
	s_add_co_i32 s35, s34, -8
	s_add_co_i32 s31, s30, 0xffffff20
	v_mov_b32_e32 v25, s35
	s_add_co_i32 s35, s34, 0xffffff18
	s_sub_co_i32 s34, s34, 24
	s_addk_co_i32 s30, 0xfe40
	s_add_co_i32 s33, s33, s29
	ds_load_2addr_b64 v[26:29], v25 offset1:1
	s_sub_co_i32 s29, s33, 24
	s_sub_co_i32 s27, s27, 32
	s_wait_dscnt 0x0
	v_div_scale_f64 v[32:33], null, v[28:29], v[28:29], v[6:7]
	v_div_scale_f64 v[38:39], vcc_lo, v[6:7], v[28:29], v[6:7]
	s_delay_alu instid0(VALU_DEP_2) | instskip(SKIP_1) | instid1(TRANS32_DEP_1)
	v_rcp_f64_e32 v[34:35], v[32:33]
	v_nop
	v_fma_f64 v[36:37], -v[32:33], v[34:35], 1.0
	s_delay_alu instid0(VALU_DEP_1) | instskip(NEXT) | instid1(VALU_DEP_1)
	v_fmac_f64_e32 v[34:35], v[34:35], v[36:37]
	v_fma_f64 v[36:37], -v[32:33], v[34:35], 1.0
	s_delay_alu instid0(VALU_DEP_1) | instskip(NEXT) | instid1(VALU_DEP_1)
	v_fmac_f64_e32 v[34:35], v[34:35], v[36:37]
	v_dual_mul_f64 v[36:37], v[38:39], v[34:35] :: v_dual_mov_b32 v25, s35
	s_delay_alu instid0(VALU_DEP_1) | instskip(SKIP_3) | instid1(VALU_DEP_1)
	v_fma_f64 v[32:33], -v[32:33], v[36:37], v[38:39]
	ds_load_b64 v[30:31], v25
	v_mov_b32_e32 v25, s31
	v_div_fmas_f64 v[32:33], v[32:33], v[34:35], v[36:37]
	v_div_fixup_f64 v[32:33], v[32:33], v[28:29], v[6:7]
	s_delay_alu instid0(VALU_DEP_1) | instskip(SKIP_1) | instid1(VALU_DEP_1)
	v_fma_f64 v[34:35], -v[32:33], v[26:27], v[4:5]
	s_wait_dscnt 0x0
	v_div_scale_f64 v[4:5], null, v[30:31], v[30:31], v[34:35]
	v_div_scale_f64 v[28:29], vcc_lo, v[34:35], v[30:31], v[34:35]
	s_delay_alu instid0(VALU_DEP_2) | instskip(SKIP_1) | instid1(TRANS32_DEP_1)
	v_rcp_f64_e32 v[6:7], v[4:5]
	v_nop
	v_fma_f64 v[26:27], -v[4:5], v[6:7], 1.0
	s_delay_alu instid0(VALU_DEP_1) | instskip(NEXT) | instid1(VALU_DEP_1)
	v_fmac_f64_e32 v[6:7], v[6:7], v[26:27]
	v_fma_f64 v[26:27], -v[4:5], v[6:7], 1.0
	s_delay_alu instid0(VALU_DEP_1) | instskip(NEXT) | instid1(VALU_DEP_1)
	v_fmac_f64_e32 v[6:7], v[6:7], v[26:27]
	v_mul_f64_e32 v[26:27], v[28:29], v[6:7]
	s_delay_alu instid0(VALU_DEP_1) | instskip(NEXT) | instid1(VALU_DEP_1)
	v_fma_f64 v[4:5], -v[4:5], v[26:27], v[28:29]
	v_div_fmas_f64 v[36:37], v[4:5], v[6:7], v[26:27]
	v_mov_b32_e32 v4, s34
	ds_load_2addr_b64 v[26:29], v25 offset1:1
	v_mov_b32_e32 v25, s30
	ds_load_2addr_b64 v[4:7], v4 offset1:1
	s_wait_dscnt 0x0
	v_fma_f64 v[2:3], -v[32:33], v[6:7], v[2:3]
	v_fma_f64 v[0:1], -v[32:33], v[4:5], v[0:1]
	v_div_fixup_f64 v[6:7], v[36:37], v[30:31], v[34:35]
	s_delay_alu instid0(VALU_DEP_1)
	v_fma_f64 v[2:3], -v[6:7], v[28:29], v[2:3]
	ds_load_2addr_b64 v[28:31], v25 offset1:1
	v_dual_fma_f64 v[0:1], -v[6:7], v[26:27], v[0:1] :: v_dual_mov_b32 v25, s29
	s_add_co_i32 s29, s28, -4
	s_cmp_lt_i32 s28, 7
	ds_load_b64 v[34:35], v25
	s_wait_dscnt 0x1
	v_div_scale_f64 v[36:37], null, v[30:31], v[30:31], v[2:3]
	v_div_scale_f64 v[42:43], vcc_lo, v[2:3], v[30:31], v[2:3]
	s_delay_alu instid0(VALU_DEP_2) | instskip(SKIP_1) | instid1(TRANS32_DEP_1)
	v_rcp_f64_e32 v[38:39], v[36:37]
	v_nop
	v_fma_f64 v[40:41], -v[36:37], v[38:39], 1.0
	s_delay_alu instid0(VALU_DEP_1) | instskip(NEXT) | instid1(VALU_DEP_1)
	v_fmac_f64_e32 v[38:39], v[38:39], v[40:41]
	v_fma_f64 v[40:41], -v[36:37], v[38:39], 1.0
	s_delay_alu instid0(VALU_DEP_1) | instskip(NEXT) | instid1(VALU_DEP_1)
	v_fmac_f64_e32 v[38:39], v[38:39], v[40:41]
	v_mul_f64_e32 v[40:41], v[42:43], v[38:39]
	s_delay_alu instid0(VALU_DEP_1) | instskip(NEXT) | instid1(VALU_DEP_1)
	v_fma_f64 v[36:37], -v[36:37], v[40:41], v[42:43]
	v_div_fmas_f64 v[4:5], v[36:37], v[38:39], v[40:41]
	s_delay_alu instid0(VALU_DEP_1) | instskip(NEXT) | instid1(VALU_DEP_1)
	v_div_fixup_f64 v[2:3], v[4:5], v[30:31], v[2:3]
	v_fma_f64 v[0:1], -v[2:3], v[28:29], v[0:1]
	s_wait_dscnt 0x0
	s_delay_alu instid0(VALU_DEP_1) | instskip(NEXT) | instid1(VALU_DEP_1)
	v_div_scale_f64 v[4:5], null, v[34:35], v[34:35], v[0:1]
	v_rcp_f64_e32 v[26:27], v[4:5]
	v_nop
	s_delay_alu instid0(TRANS32_DEP_1) | instskip(NEXT) | instid1(VALU_DEP_1)
	v_fma_f64 v[28:29], -v[4:5], v[26:27], 1.0
	v_fmac_f64_e32 v[26:27], v[26:27], v[28:29]
	s_delay_alu instid0(VALU_DEP_1) | instskip(NEXT) | instid1(VALU_DEP_1)
	v_fma_f64 v[28:29], -v[4:5], v[26:27], 1.0
	v_fmac_f64_e32 v[26:27], v[26:27], v[28:29]
	v_div_scale_f64 v[28:29], vcc_lo, v[0:1], v[34:35], v[0:1]
	s_delay_alu instid0(VALU_DEP_1) | instskip(NEXT) | instid1(VALU_DEP_1)
	v_mul_f64_e32 v[30:31], v[28:29], v[26:27]
	v_fma_f64 v[4:5], -v[4:5], v[30:31], v[28:29]
	s_delay_alu instid0(VALU_DEP_1) | instskip(NEXT) | instid1(VALU_DEP_1)
	v_div_fmas_f64 v[4:5], v[4:5], v[26:27], v[30:31]
	v_div_fixup_f64 v[0:1], v[4:5], v[34:35], v[0:1]
	ds_store_b64 v21, v[32:33]
	ds_store_b64 v22, v[6:7]
	;; [unrolled: 1-line block ×4, first 2 shown]
	s_cbranch_scc1 .LBB101_33
; %bb.32:                               ;   in Loop: Header=BB101_28 Depth=2
	s_mov_b32 s28, s29
	s_branch .LBB101_28
.LBB101_33:                             ;   in Loop: Header=BB101_3 Depth=1
	s_cmp_lt_i32 s29, 0
	s_cbranch_scc1 .LBB101_46
; %bb.34:                               ;   in Loop: Header=BB101_3 Depth=1
	s_bitcmp1_b32 s29, 0
	s_cselect_b32 s27, -1, 0
	s_delay_alu instid0(SALU_CYCLE_1)
	s_and_b32 vcc_lo, exec_lo, s27
	s_mov_b32 s27, s29
	s_cbranch_vccnz .LBB101_39
; %bb.35:                               ;   in Loop: Header=BB101_3 Depth=1
	s_mul_i32 s27, s29, 0xe0
	s_cmp_le_i32 s25, s29
	v_add_nc_u32_e32 v2, s27, v18
	ds_load_b64 v[0:1], v2
	s_cbranch_scc1 .LBB101_38
; %bb.36:                               ;   in Loop: Header=BB101_3 Depth=1
	v_mov_b32_e32 v3, v9
	s_lshl_b32 s28, s29, 3
	s_mov_b32 s30, s25
	s_add_co_i32 s28, s11, s28
.LBB101_37:                             ;   Parent Loop BB101_3 Depth=1
                                        ; =>  This Inner Loop Header: Depth=2
	s_delay_alu instid0(SALU_CYCLE_1)
	v_mov_b32_e32 v6, s28
	s_add_co_i32 s30, s30, -1
	s_addk_co_i32 s28, 0xff20
	s_cmp_gt_i32 s30, s29
	ds_load_b64 v[4:5], v3
	ds_load_b64 v[6:7], v6
	v_add_nc_u32_e32 v3, 0xffffff20, v3
	s_wait_dscnt 0x0
	v_fma_f64 v[0:1], -v[4:5], v[6:7], v[0:1]
	s_cbranch_scc1 .LBB101_37
.LBB101_38:                             ;   in Loop: Header=BB101_3 Depth=1
	s_lshl_b32 s28, s29, 3
	s_delay_alu instid0(SALU_CYCLE_1) | instskip(NEXT) | instid1(SALU_CYCLE_1)
	s_add_co_i32 s27, s28, s27
	v_mov_b32_e32 v3, s27
	s_add_co_i32 s27, s29, -1
	ds_load_b64 v[4:5], v3
	s_wait_dscnt 0x0
	v_div_scale_f64 v[6:7], null, v[4:5], v[4:5], v[0:1]
	s_delay_alu instid0(VALU_DEP_1) | instskip(SKIP_1) | instid1(TRANS32_DEP_1)
	v_rcp_f64_e32 v[22:23], v[6:7]
	v_nop
	v_fma_f64 v[24:25], -v[6:7], v[22:23], 1.0
	s_delay_alu instid0(VALU_DEP_1) | instskip(NEXT) | instid1(VALU_DEP_1)
	v_fmac_f64_e32 v[22:23], v[22:23], v[24:25]
	v_fma_f64 v[24:25], -v[6:7], v[22:23], 1.0
	s_delay_alu instid0(VALU_DEP_1) | instskip(SKIP_1) | instid1(VALU_DEP_1)
	v_fmac_f64_e32 v[22:23], v[22:23], v[24:25]
	v_div_scale_f64 v[24:25], vcc_lo, v[0:1], v[4:5], v[0:1]
	v_mul_f64_e32 v[26:27], v[24:25], v[22:23]
	s_delay_alu instid0(VALU_DEP_1) | instskip(NEXT) | instid1(VALU_DEP_1)
	v_fma_f64 v[6:7], -v[6:7], v[26:27], v[24:25]
	v_div_fmas_f64 v[6:7], v[6:7], v[22:23], v[26:27]
	s_delay_alu instid0(VALU_DEP_1)
	v_div_fixup_f64 v[0:1], v[6:7], v[4:5], v[0:1]
	ds_store_b64 v2, v[0:1]
.LBB101_39:                             ;   in Loop: Header=BB101_3 Depth=1
	s_cmp_eq_u32 s29, 0
	s_cbranch_scc1 .LBB101_46
; %bb.40:                               ;   in Loop: Header=BB101_3 Depth=1
	s_lshl_b32 s29, s27, 3
	s_delay_alu instid0(SALU_CYCLE_1)
	s_add_co_i32 s28, s11, s29
	s_add_co_i32 s29, s16, s29
	s_branch .LBB101_42
.LBB101_41:                             ;   in Loop: Header=BB101_42 Depth=2
	s_addk_co_i32 s30, 0xff18
	s_add_co_i32 s28, s28, -16
	v_mov_b32_e32 v0, s30
	s_add_co_i32 s30, s27, -2
	s_add_co_i32 s29, s29, -16
	s_cmp_lt_i32 s27, 2
	s_mov_b32 s27, s30
	ds_load_b64 v[0:1], v0
	s_wait_dscnt 0x0
	v_div_scale_f64 v[6:7], null, v[0:1], v[0:1], v[2:3]
	s_delay_alu instid0(VALU_DEP_1) | instskip(SKIP_1) | instid1(TRANS32_DEP_1)
	v_rcp_f64_e32 v[22:23], v[6:7]
	v_nop
	v_fma_f64 v[24:25], -v[6:7], v[22:23], 1.0
	s_delay_alu instid0(VALU_DEP_1) | instskip(NEXT) | instid1(VALU_DEP_1)
	v_fmac_f64_e32 v[22:23], v[22:23], v[24:25]
	v_fma_f64 v[24:25], -v[6:7], v[22:23], 1.0
	s_delay_alu instid0(VALU_DEP_1) | instskip(SKIP_1) | instid1(VALU_DEP_1)
	v_fmac_f64_e32 v[22:23], v[22:23], v[24:25]
	v_div_scale_f64 v[24:25], vcc_lo, v[2:3], v[0:1], v[2:3]
	v_mul_f64_e32 v[26:27], v[24:25], v[22:23]
	s_delay_alu instid0(VALU_DEP_1) | instskip(NEXT) | instid1(VALU_DEP_1)
	v_fma_f64 v[6:7], -v[6:7], v[26:27], v[24:25]
	v_div_fmas_f64 v[6:7], v[6:7], v[22:23], v[26:27]
	s_delay_alu instid0(VALU_DEP_1)
	v_div_fixup_f64 v[0:1], v[6:7], v[0:1], v[2:3]
	ds_store_b64 v5, v[0:1]
	s_cbranch_scc1 .LBB101_46
.LBB101_42:                             ;   Parent Loop BB101_3 Depth=1
                                        ; =>  This Loop Header: Depth=2
                                        ;       Child Loop BB101_43 Depth 3
                                        ;       Child Loop BB101_45 Depth 3
	s_mul_i32 s31, s27, 0xe0
	s_cmp_le_i32 s25, s27
	v_dual_add_nc_u32 v4, s31, v18 :: v_dual_mov_b32 v2, v9
	s_mov_b32 s30, s28
	s_mov_b32 s33, s25
	ds_load_b64 v[0:1], v4
	s_cbranch_scc1 .LBB101_44
.LBB101_43:                             ;   Parent Loop BB101_3 Depth=1
                                        ;     Parent Loop BB101_42 Depth=2
                                        ; =>    This Inner Loop Header: Depth=3
	v_mov_b32_e32 v3, s30
	s_add_co_i32 s33, s33, -1
	s_addk_co_i32 s30, 0xff20
	s_cmp_le_i32 s33, s27
	ds_load_b64 v[6:7], v2
	ds_load_b64 v[22:23], v3
	v_add_nc_u32_e32 v2, 0xffffff20, v2
	s_wait_dscnt 0x0
	v_fma_f64 v[0:1], -v[6:7], v[22:23], v[0:1]
	s_cbranch_scc0 .LBB101_43
.LBB101_44:                             ;   in Loop: Header=BB101_42 Depth=2
	s_lshl_b32 s30, s27, 3
	s_mov_b32 s33, s1
	s_add_co_i32 s30, s30, s31
	s_addk_co_i32 s31, 0xff20
	s_delay_alu instid0(SALU_CYCLE_1)
	v_dual_mov_b32 v2, s30 :: v_dual_add_nc_u32 v5, s31, v18
	s_cmp_le_i32 s1, s27
	s_mov_b32 s31, s29
	ds_load_b64 v[6:7], v2
	ds_load_b64 v[2:3], v5
	s_wait_dscnt 0x1
	v_div_scale_f64 v[22:23], null, v[6:7], v[6:7], v[0:1]
	s_delay_alu instid0(VALU_DEP_1) | instskip(SKIP_1) | instid1(TRANS32_DEP_1)
	v_rcp_f64_e32 v[24:25], v[22:23]
	v_nop
	v_fma_f64 v[26:27], -v[22:23], v[24:25], 1.0
	s_delay_alu instid0(VALU_DEP_1) | instskip(NEXT) | instid1(VALU_DEP_1)
	v_fmac_f64_e32 v[24:25], v[24:25], v[26:27]
	v_fma_f64 v[26:27], -v[22:23], v[24:25], 1.0
	s_delay_alu instid0(VALU_DEP_1) | instskip(SKIP_1) | instid1(VALU_DEP_1)
	v_fmac_f64_e32 v[24:25], v[24:25], v[26:27]
	v_div_scale_f64 v[26:27], vcc_lo, v[0:1], v[6:7], v[0:1]
	v_mul_f64_e32 v[28:29], v[26:27], v[24:25]
	s_delay_alu instid0(VALU_DEP_1) | instskip(NEXT) | instid1(VALU_DEP_1)
	v_fma_f64 v[22:23], -v[22:23], v[28:29], v[26:27]
	v_div_fmas_f64 v[22:23], v[22:23], v[24:25], v[28:29]
	s_delay_alu instid0(VALU_DEP_1)
	v_div_fixup_f64 v[6:7], v[22:23], v[6:7], v[0:1]
	v_mov_b32_e32 v0, v9
	ds_store_b64 v4, v[6:7]
	s_cbranch_scc1 .LBB101_41
.LBB101_45:                             ;   Parent Loop BB101_3 Depth=1
                                        ;     Parent Loop BB101_42 Depth=2
                                        ; =>    This Inner Loop Header: Depth=3
	v_mov_b32_e32 v1, s31
	s_add_co_i32 s33, s33, -1
	s_addk_co_i32 s31, 0xff20
	s_cmp_gt_i32 s33, s27
	ds_load_b64 v[6:7], v0
	ds_load_b64 v[22:23], v1
	v_add_nc_u32_e32 v0, 0xffffff20, v0
	s_wait_dscnt 0x0
	v_fma_f64 v[2:3], -v[6:7], v[22:23], v[2:3]
	s_cbranch_scc1 .LBB101_45
	s_branch .LBB101_41
.LBB101_46:                             ;   in Loop: Header=BB101_3 Depth=1
	s_mov_b32 s27, 0
.LBB101_47:                             ;   in Loop: Header=BB101_3 Depth=1
	s_delay_alu instid0(SALU_CYCLE_1)
	s_and_not1_b32 vcc_lo, exec_lo, s27
	s_cbranch_vccnz .LBB101_66
; %bb.48:                               ;   in Loop: Header=BB101_3 Depth=1
	s_mov_b32 s29, s25
	s_and_not1_b32 vcc_lo, exec_lo, s22
	s_mov_b32 s27, s17
	s_mov_b32 s28, s25
	s_cbranch_vccnz .LBB101_53
.LBB101_49:                             ;   Parent Loop BB101_3 Depth=1
                                        ; =>  This Loop Header: Depth=2
                                        ;       Child Loop BB101_50 Depth 3
	s_mul_i32 s29, s28, 28
	s_cmp_le_i32 s25, s28
	v_lshl_add_u32 v21, s29, 3, v18
	s_mov_b32 s30, s27
	s_mov_b32 s31, s25
	s_delay_alu instid0(VALU_DEP_1)
	v_dual_mov_b32 v25, v9 :: v_dual_add_nc_u32 v22, 0xffffff20, v21
	v_add_nc_u32_e32 v23, 0xfffffe40, v21
	v_add_nc_u32_e32 v24, 0xfffffd60, v21
	ds_load_b64 v[6:7], v21
	ds_load_b64 v[4:5], v22
	;; [unrolled: 1-line block ×4, first 2 shown]
	s_cbranch_scc1 .LBB101_51
.LBB101_50:                             ;   Parent Loop BB101_3 Depth=1
                                        ;     Parent Loop BB101_49 Depth=2
                                        ; =>    This Inner Loop Header: Depth=3
	v_mov_b32_e32 v30, s30
	s_add_co_i32 s31, s31, -1
	s_add_co_i32 s30, s30, -8
	s_cmp_le_i32 s31, s28
	ds_load_b64 v[34:35], v25
	ds_load_2addr_b64 v[26:29], v30 offset0:56 offset1:84
	ds_load_2addr_b64 v[30:33], v30 offset1:28
	v_add_nc_u32_e32 v25, 0xffffff20, v25
	s_wait_dscnt 0x1
	v_fma_f64 v[6:7], -v[34:35], v[28:29], v[6:7]
	v_fma_f64 v[4:5], -v[34:35], v[26:27], v[4:5]
	s_wait_dscnt 0x0
	v_fma_f64 v[2:3], -v[34:35], v[32:33], v[2:3]
	v_fma_f64 v[0:1], -v[34:35], v[30:31], v[0:1]
	s_cbranch_scc0 .LBB101_50
.LBB101_51:                             ;   in Loop: Header=BB101_49 Depth=2
	s_mul_i32 s30, s28, 0xe8
	s_lshl_b32 s29, s29, 3
	v_mov_b32_e32 v25, s30
	s_lshl_b32 s30, s28, 3
	s_addk_co_i32 s27, 0xfc80
	s_add_co_i32 s29, s29, s30
	s_delay_alu instid0(SALU_CYCLE_1) | instskip(SKIP_4) | instid1(VALU_DEP_2)
	s_add_co_i32 s30, s29, 0xffffff18
	ds_load_b64 v[30:31], v25
	s_wait_dscnt 0x0
	v_div_scale_f64 v[32:33], null, v[30:31], v[30:31], v[6:7]
	v_div_scale_f64 v[38:39], vcc_lo, v[6:7], v[30:31], v[6:7]
	v_rcp_f64_e32 v[34:35], v[32:33]
	v_nop
	s_delay_alu instid0(TRANS32_DEP_1) | instskip(NEXT) | instid1(VALU_DEP_1)
	v_fma_f64 v[36:37], -v[32:33], v[34:35], 1.0
	v_fmac_f64_e32 v[34:35], v[34:35], v[36:37]
	s_delay_alu instid0(VALU_DEP_1) | instskip(NEXT) | instid1(VALU_DEP_1)
	v_fma_f64 v[36:37], -v[32:33], v[34:35], 1.0
	v_fmac_f64_e32 v[34:35], v[34:35], v[36:37]
	s_delay_alu instid0(VALU_DEP_1) | instskip(SKIP_1) | instid1(VALU_DEP_1)
	v_dual_mul_f64 v[36:37], v[38:39], v[34:35] :: v_dual_mov_b32 v25, s30
	s_add_co_i32 s30, s29, 0xfffffe40
	v_fma_f64 v[32:33], -v[32:33], v[36:37], v[38:39]
	ds_load_2addr_b64 v[26:29], v25 offset1:1
	v_div_fmas_f64 v[32:33], v[32:33], v[34:35], v[36:37]
	s_delay_alu instid0(VALU_DEP_1) | instskip(SKIP_1) | instid1(VALU_DEP_1)
	v_div_fixup_f64 v[34:35], v[32:33], v[30:31], v[6:7]
	s_wait_dscnt 0x0
	v_fma_f64 v[28:29], -v[34:35], v[28:29], v[4:5]
	s_delay_alu instid0(VALU_DEP_1) | instskip(SKIP_1) | instid1(VALU_DEP_2)
	v_div_scale_f64 v[4:5], null, v[26:27], v[26:27], v[28:29]
	v_div_scale_f64 v[32:33], vcc_lo, v[28:29], v[26:27], v[28:29]
	v_rcp_f64_e32 v[6:7], v[4:5]
	v_nop
	s_delay_alu instid0(TRANS32_DEP_1) | instskip(NEXT) | instid1(VALU_DEP_1)
	v_fma_f64 v[30:31], -v[4:5], v[6:7], 1.0
	v_fmac_f64_e32 v[6:7], v[6:7], v[30:31]
	s_delay_alu instid0(VALU_DEP_1) | instskip(NEXT) | instid1(VALU_DEP_1)
	v_fma_f64 v[30:31], -v[4:5], v[6:7], 1.0
	v_fmac_f64_e32 v[6:7], v[6:7], v[30:31]
	s_delay_alu instid0(VALU_DEP_1) | instskip(NEXT) | instid1(VALU_DEP_1)
	v_mul_f64_e32 v[30:31], v[32:33], v[6:7]
	v_fma_f64 v[4:5], -v[4:5], v[30:31], v[32:33]
	s_delay_alu instid0(VALU_DEP_1)
	v_div_fmas_f64 v[30:31], v[4:5], v[6:7], v[30:31]
	v_mov_b32_e32 v4, s30
	s_add_co_i32 s30, s29, 0xfffffe30
	ds_load_b64 v[32:33], v4
	v_mov_b32_e32 v4, s30
	s_add_co_i32 s30, s29, 0xfffffd58
	s_addk_co_i32 s29, 0xfd48
	v_mov_b32_e32 v25, s30
	ds_load_2addr_b64 v[4:7], v4 offset1:1
	s_wait_dscnt 0x1
	v_fma_f64 v[2:3], -v[34:35], v[32:33], v[2:3]
	v_div_fixup_f64 v[36:37], v[30:31], v[26:27], v[28:29]
	s_wait_dscnt 0x0
	s_delay_alu instid0(VALU_DEP_1) | instskip(NEXT) | instid1(VALU_DEP_1)
	v_fma_f64 v[2:3], -v[36:37], v[6:7], v[2:3]
	v_div_scale_f64 v[6:7], null, v[4:5], v[4:5], v[2:3]
	v_div_scale_f64 v[28:29], vcc_lo, v[2:3], v[4:5], v[2:3]
	s_delay_alu instid0(VALU_DEP_2) | instskip(SKIP_1) | instid1(TRANS32_DEP_1)
	v_rcp_f64_e32 v[38:39], v[6:7]
	v_nop
	v_fma_f64 v[26:27], -v[6:7], v[38:39], 1.0
	s_delay_alu instid0(VALU_DEP_1) | instskip(NEXT) | instid1(VALU_DEP_1)
	v_fmac_f64_e32 v[38:39], v[38:39], v[26:27]
	v_fma_f64 v[26:27], -v[6:7], v[38:39], 1.0
	s_delay_alu instid0(VALU_DEP_1) | instskip(NEXT) | instid1(VALU_DEP_1)
	v_fmac_f64_e32 v[38:39], v[38:39], v[26:27]
	v_mul_f64_e32 v[40:41], v[28:29], v[38:39]
	s_delay_alu instid0(VALU_DEP_1)
	v_fma_f64 v[6:7], -v[6:7], v[40:41], v[28:29]
	ds_load_2addr_b64 v[26:29], v25 offset1:1
	v_mov_b32_e32 v25, s29
	s_add_co_i32 s29, s28, -4
	s_cmp_lt_i32 s28, 7
	ds_load_2addr_b64 v[30:33], v25 offset1:1
	s_wait_dscnt 0x1
	v_fma_f64 v[0:1], -v[34:35], v[28:29], v[0:1]
	v_div_fmas_f64 v[6:7], v[6:7], v[38:39], v[40:41]
	s_delay_alu instid0(VALU_DEP_2) | instskip(NEXT) | instid1(VALU_DEP_2)
	v_fma_f64 v[0:1], -v[36:37], v[26:27], v[0:1]
	v_div_fixup_f64 v[2:3], v[6:7], v[4:5], v[2:3]
	s_wait_dscnt 0x0
	s_delay_alu instid0(VALU_DEP_1) | instskip(NEXT) | instid1(VALU_DEP_1)
	v_fma_f64 v[0:1], -v[2:3], v[32:33], v[0:1]
	v_div_scale_f64 v[4:5], null, v[30:31], v[30:31], v[0:1]
	s_delay_alu instid0(VALU_DEP_1) | instskip(SKIP_1) | instid1(TRANS32_DEP_1)
	v_rcp_f64_e32 v[6:7], v[4:5]
	v_nop
	v_fma_f64 v[26:27], -v[4:5], v[6:7], 1.0
	s_delay_alu instid0(VALU_DEP_1) | instskip(NEXT) | instid1(VALU_DEP_1)
	v_fmac_f64_e32 v[6:7], v[6:7], v[26:27]
	v_fma_f64 v[26:27], -v[4:5], v[6:7], 1.0
	s_delay_alu instid0(VALU_DEP_1) | instskip(SKIP_1) | instid1(VALU_DEP_1)
	v_fmac_f64_e32 v[6:7], v[6:7], v[26:27]
	v_div_scale_f64 v[26:27], vcc_lo, v[0:1], v[30:31], v[0:1]
	v_mul_f64_e32 v[28:29], v[26:27], v[6:7]
	s_delay_alu instid0(VALU_DEP_1) | instskip(NEXT) | instid1(VALU_DEP_1)
	v_fma_f64 v[4:5], -v[4:5], v[28:29], v[26:27]
	v_div_fmas_f64 v[4:5], v[4:5], v[6:7], v[28:29]
	s_delay_alu instid0(VALU_DEP_1)
	v_div_fixup_f64 v[0:1], v[4:5], v[30:31], v[0:1]
	ds_store_b64 v21, v[34:35]
	ds_store_b64 v22, v[36:37]
	;; [unrolled: 1-line block ×4, first 2 shown]
	s_cbranch_scc1 .LBB101_53
; %bb.52:                               ;   in Loop: Header=BB101_49 Depth=2
	s_mov_b32 s28, s29
	s_branch .LBB101_49
.LBB101_53:                             ;   in Loop: Header=BB101_3 Depth=1
	s_cmp_lt_i32 s29, 0
	s_cbranch_scc1 .LBB101_66
; %bb.54:                               ;   in Loop: Header=BB101_3 Depth=1
	s_bitcmp1_b32 s29, 0
	s_cselect_b32 s27, -1, 0
	s_delay_alu instid0(SALU_CYCLE_1)
	s_and_b32 vcc_lo, exec_lo, s27
	s_mov_b32 s27, s29
	s_cbranch_vccnz .LBB101_59
; %bb.55:                               ;   in Loop: Header=BB101_3 Depth=1
	v_mad_u32 v2, 0xe0, s29, v18
	s_cmp_le_i32 s25, s29
	ds_load_b64 v[0:1], v2
	s_cbranch_scc1 .LBB101_58
; %bb.56:                               ;   in Loop: Header=BB101_3 Depth=1
	v_mov_b32_e32 v3, v9
	s_mul_i32 s27, s29, 0xe0
	s_mov_b32 s28, s25
	s_add_co_i32 s27, s20, s27
.LBB101_57:                             ;   Parent Loop BB101_3 Depth=1
                                        ; =>  This Inner Loop Header: Depth=2
	s_delay_alu instid0(SALU_CYCLE_1)
	v_mov_b32_e32 v6, s27
	s_add_co_i32 s28, s28, -1
	s_add_co_i32 s27, s27, -8
	s_cmp_gt_u32 s28, s29
	ds_load_b64 v[4:5], v3
	ds_load_b64 v[6:7], v6
	v_add_nc_u32_e32 v3, 0xffffff20, v3
	s_wait_dscnt 0x0
	v_fma_f64 v[0:1], -v[4:5], v[6:7], v[0:1]
	s_cbranch_scc1 .LBB101_57
.LBB101_58:                             ;   in Loop: Header=BB101_3 Depth=1
	s_mul_i32 s27, s29, 0xe8
	s_delay_alu instid0(SALU_CYCLE_1) | instskip(SKIP_4) | instid1(VALU_DEP_1)
	v_mov_b32_e32 v3, s27
	s_add_co_i32 s27, s29, -1
	ds_load_b64 v[4:5], v3
	s_wait_dscnt 0x0
	v_div_scale_f64 v[6:7], null, v[4:5], v[4:5], v[0:1]
	v_rcp_f64_e32 v[22:23], v[6:7]
	v_nop
	s_delay_alu instid0(TRANS32_DEP_1) | instskip(NEXT) | instid1(VALU_DEP_1)
	v_fma_f64 v[24:25], -v[6:7], v[22:23], 1.0
	v_fmac_f64_e32 v[22:23], v[22:23], v[24:25]
	s_delay_alu instid0(VALU_DEP_1) | instskip(NEXT) | instid1(VALU_DEP_1)
	v_fma_f64 v[24:25], -v[6:7], v[22:23], 1.0
	v_fmac_f64_e32 v[22:23], v[22:23], v[24:25]
	v_div_scale_f64 v[24:25], vcc_lo, v[0:1], v[4:5], v[0:1]
	s_delay_alu instid0(VALU_DEP_1) | instskip(NEXT) | instid1(VALU_DEP_1)
	v_mul_f64_e32 v[26:27], v[24:25], v[22:23]
	v_fma_f64 v[6:7], -v[6:7], v[26:27], v[24:25]
	s_delay_alu instid0(VALU_DEP_1) | instskip(NEXT) | instid1(VALU_DEP_1)
	v_div_fmas_f64 v[6:7], v[6:7], v[22:23], v[26:27]
	v_div_fixup_f64 v[0:1], v[6:7], v[4:5], v[0:1]
	ds_store_b64 v2, v[0:1]
.LBB101_59:                             ;   in Loop: Header=BB101_3 Depth=1
	s_cmp_eq_u32 s29, 0
	s_cbranch_scc1 .LBB101_66
; %bb.60:                               ;   in Loop: Header=BB101_3 Depth=1
	s_mul_i32 s29, s27, 0xe0
	s_delay_alu instid0(SALU_CYCLE_1)
	s_add_co_i32 s28, s20, s29
	s_add_co_i32 s29, s21, s29
	s_branch .LBB101_62
.LBB101_61:                             ;   in Loop: Header=BB101_62 Depth=2
	s_addk_co_i32 s30, 0xff18
	s_add_co_i32 s27, s27, -2
	v_mov_b32_e32 v0, s30
	s_addk_co_i32 s28, 0xfe40
	s_addk_co_i32 s29, 0xfe40
	s_cmp_eq_u32 s31, 0
	ds_load_b64 v[0:1], v0
	s_wait_dscnt 0x0
	v_div_scale_f64 v[6:7], null, v[0:1], v[0:1], v[2:3]
	s_delay_alu instid0(VALU_DEP_1) | instskip(SKIP_1) | instid1(TRANS32_DEP_1)
	v_rcp_f64_e32 v[22:23], v[6:7]
	v_nop
	v_fma_f64 v[24:25], -v[6:7], v[22:23], 1.0
	s_delay_alu instid0(VALU_DEP_1) | instskip(NEXT) | instid1(VALU_DEP_1)
	v_fmac_f64_e32 v[22:23], v[22:23], v[24:25]
	v_fma_f64 v[24:25], -v[6:7], v[22:23], 1.0
	s_delay_alu instid0(VALU_DEP_1) | instskip(SKIP_1) | instid1(VALU_DEP_1)
	v_fmac_f64_e32 v[22:23], v[22:23], v[24:25]
	v_div_scale_f64 v[24:25], vcc_lo, v[2:3], v[0:1], v[2:3]
	v_mul_f64_e32 v[26:27], v[24:25], v[22:23]
	s_delay_alu instid0(VALU_DEP_1) | instskip(NEXT) | instid1(VALU_DEP_1)
	v_fma_f64 v[6:7], -v[6:7], v[26:27], v[24:25]
	v_div_fmas_f64 v[6:7], v[6:7], v[22:23], v[26:27]
	s_delay_alu instid0(VALU_DEP_1)
	v_div_fixup_f64 v[0:1], v[6:7], v[0:1], v[2:3]
	ds_store_b64 v5, v[0:1]
	s_cbranch_scc1 .LBB101_66
.LBB101_62:                             ;   Parent Loop BB101_3 Depth=1
                                        ; =>  This Loop Header: Depth=2
                                        ;       Child Loop BB101_63 Depth 3
                                        ;       Child Loop BB101_65 Depth 3
	v_mad_u32 v4, 0xe0, s27, v18
	v_mov_b32_e32 v2, v9
	s_cmp_le_i32 s25, s27
	s_mov_b32 s30, s28
	s_mov_b32 s31, s25
	ds_load_b64 v[0:1], v4
	s_cbranch_scc1 .LBB101_64
.LBB101_63:                             ;   Parent Loop BB101_3 Depth=1
                                        ;     Parent Loop BB101_62 Depth=2
                                        ; =>    This Inner Loop Header: Depth=3
	v_mov_b32_e32 v3, s30
	s_add_co_i32 s31, s31, -1
	s_add_co_i32 s30, s30, -8
	s_cmp_le_u32 s31, s27
	ds_load_b64 v[6:7], v2
	ds_load_b64 v[22:23], v3
	v_add_nc_u32_e32 v2, 0xffffff20, v2
	s_wait_dscnt 0x0
	v_fma_f64 v[0:1], -v[6:7], v[22:23], v[0:1]
	s_cbranch_scc0 .LBB101_63
.LBB101_64:                             ;   in Loop: Header=BB101_62 Depth=2
	s_mul_i32 s30, s27, 0xe8
	s_add_co_i32 s31, s27, -1
	v_dual_mov_b32 v2, s30 :: v_dual_add_nc_u32 v5, 0xffffff20, v4
	s_cmp_le_i32 s1, s27
	s_mov_b32 s33, s29
	s_mov_b32 s34, s25
	ds_load_b64 v[6:7], v2
	ds_load_b64 v[2:3], v5
	s_wait_dscnt 0x1
	v_div_scale_f64 v[22:23], null, v[6:7], v[6:7], v[0:1]
	s_delay_alu instid0(VALU_DEP_1) | instskip(SKIP_1) | instid1(TRANS32_DEP_1)
	v_rcp_f64_e32 v[24:25], v[22:23]
	v_nop
	v_fma_f64 v[26:27], -v[22:23], v[24:25], 1.0
	s_delay_alu instid0(VALU_DEP_1) | instskip(NEXT) | instid1(VALU_DEP_1)
	v_fmac_f64_e32 v[24:25], v[24:25], v[26:27]
	v_fma_f64 v[26:27], -v[22:23], v[24:25], 1.0
	s_delay_alu instid0(VALU_DEP_1) | instskip(SKIP_1) | instid1(VALU_DEP_1)
	v_fmac_f64_e32 v[24:25], v[24:25], v[26:27]
	v_div_scale_f64 v[26:27], vcc_lo, v[0:1], v[6:7], v[0:1]
	v_mul_f64_e32 v[28:29], v[26:27], v[24:25]
	s_delay_alu instid0(VALU_DEP_1) | instskip(NEXT) | instid1(VALU_DEP_1)
	v_fma_f64 v[22:23], -v[22:23], v[28:29], v[26:27]
	v_div_fmas_f64 v[22:23], v[22:23], v[24:25], v[28:29]
	s_delay_alu instid0(VALU_DEP_1)
	v_div_fixup_f64 v[6:7], v[22:23], v[6:7], v[0:1]
	v_mov_b32_e32 v0, v9
	ds_store_b64 v4, v[6:7]
	s_cbranch_scc1 .LBB101_61
.LBB101_65:                             ;   Parent Loop BB101_3 Depth=1
                                        ;     Parent Loop BB101_62 Depth=2
                                        ; =>    This Inner Loop Header: Depth=3
	v_mov_b32_e32 v1, s33
	s_add_co_i32 s34, s34, -1
	s_add_co_i32 s33, s33, -8
	s_cmp_gt_u32 s34, s31
	ds_load_b64 v[6:7], v0
	ds_load_b64 v[22:23], v1
	v_add_nc_u32_e32 v0, 0xffffff20, v0
	s_wait_dscnt 0x0
	v_fma_f64 v[2:3], -v[6:7], v[22:23], v[2:3]
	s_cbranch_scc1 .LBB101_65
	s_branch .LBB101_61
.LBB101_66:                             ;   in Loop: Header=BB101_3 Depth=1
	s_mov_b32 s27, 0
.LBB101_67:                             ;   in Loop: Header=BB101_3 Depth=1
	s_delay_alu instid0(SALU_CYCLE_1)
	s_and_not1_b32 vcc_lo, exec_lo, s27
	s_cbranch_vccnz .LBB101_79
; %bb.68:                               ;   in Loop: Header=BB101_3 Depth=1
	s_and_not1_b32 vcc_lo, exec_lo, s22
	s_mov_b32 s29, 0
	s_cbranch_vccnz .LBB101_74
; %bb.69:                               ;   in Loop: Header=BB101_3 Depth=1
	s_mov_b32 s27, 0
	s_mov_b32 s28, 0
.LBB101_70:                             ;   Parent Loop BB101_3 Depth=1
                                        ; =>  This Loop Header: Depth=2
                                        ;       Child Loop BB101_71 Depth 3
	s_delay_alu instid0(SALU_CYCLE_1)
	s_mul_i32 s29, s28, 28
	v_mov_b32_e32 v22, v18
	v_lshl_add_u32 v21, s29, 3, v18
	s_cmp_eq_u32 s28, 0
	s_mov_b32 s30, s27
	s_mov_b32 s31, s28
	ds_load_2addr_b64 v[4:7], v21 offset1:28
	ds_load_2addr_b64 v[0:3], v21 offset0:56 offset1:84
	s_cbranch_scc1 .LBB101_72
.LBB101_71:                             ;   Parent Loop BB101_3 Depth=1
                                        ;     Parent Loop BB101_70 Depth=2
                                        ; =>    This Inner Loop Header: Depth=3
	v_mov_b32_e32 v23, s30
	s_add_co_i32 s31, s31, -1
	s_add_co_i32 s30, s30, 8
	s_cmp_eq_u32 s31, 0
	ds_load_b64 v[32:33], v22
	ds_load_2addr_b64 v[24:27], v23 offset1:28
	ds_load_2addr_b64 v[28:31], v23 offset0:56 offset1:84
	v_add_nc_u32_e32 v22, 0xe0, v22
	s_wait_dscnt 0x1
	v_fma_f64 v[4:5], -v[32:33], v[24:25], v[4:5]
	v_fma_f64 v[6:7], -v[32:33], v[26:27], v[6:7]
	s_wait_dscnt 0x0
	v_fma_f64 v[0:1], -v[32:33], v[28:29], v[0:1]
	v_fma_f64 v[2:3], -v[32:33], v[30:31], v[2:3]
	s_cbranch_scc0 .LBB101_71
.LBB101_72:                             ;   in Loop: Header=BB101_70 Depth=2
	s_mul_i32 s30, s28, 0xe8
	s_lshl_b32 s29, s29, 3
	v_mov_b32_e32 v22, s30
	s_lshl_b32 s30, s28, 3
	s_addk_co_i32 s27, 0x380
	s_add_co_i32 s29, s29, s30
	s_delay_alu instid0(SALU_CYCLE_1)
	v_mov_b32_e32 v38, s29
	ds_load_b64 v[26:27], v22
	s_add_co_i32 s29, s28, 4
	s_add_co_i32 s28, s28, 7
	ds_load_b128 v[22:25], v38 offset:224
	s_cmp_ge_i32 s28, s1
	s_wait_dscnt 0x1
	v_div_scale_f64 v[28:29], null, v[26:27], v[26:27], v[4:5]
	v_div_scale_f64 v[34:35], vcc_lo, v[4:5], v[26:27], v[4:5]
	s_delay_alu instid0(VALU_DEP_2) | instskip(SKIP_1) | instid1(TRANS32_DEP_1)
	v_rcp_f64_e32 v[30:31], v[28:29]
	v_nop
	v_fma_f64 v[32:33], -v[28:29], v[30:31], 1.0
	s_delay_alu instid0(VALU_DEP_1) | instskip(NEXT) | instid1(VALU_DEP_1)
	v_fmac_f64_e32 v[30:31], v[30:31], v[32:33]
	v_fma_f64 v[32:33], -v[28:29], v[30:31], 1.0
	s_delay_alu instid0(VALU_DEP_1) | instskip(NEXT) | instid1(VALU_DEP_1)
	v_fmac_f64_e32 v[30:31], v[30:31], v[32:33]
	v_mul_f64_e32 v[32:33], v[34:35], v[30:31]
	s_delay_alu instid0(VALU_DEP_1) | instskip(NEXT) | instid1(VALU_DEP_1)
	v_fma_f64 v[28:29], -v[28:29], v[32:33], v[34:35]
	v_div_fmas_f64 v[28:29], v[28:29], v[30:31], v[32:33]
	s_delay_alu instid0(VALU_DEP_1) | instskip(SKIP_1) | instid1(VALU_DEP_1)
	v_div_fixup_f64 v[26:27], v[28:29], v[26:27], v[4:5]
	s_wait_dscnt 0x0
	v_fma_f64 v[22:23], -v[26:27], v[22:23], v[6:7]
	s_delay_alu instid0(VALU_DEP_1) | instskip(SKIP_1) | instid1(VALU_DEP_2)
	v_div_scale_f64 v[4:5], null, v[24:25], v[24:25], v[22:23]
	v_div_scale_f64 v[30:31], vcc_lo, v[22:23], v[24:25], v[22:23]
	v_rcp_f64_e32 v[6:7], v[4:5]
	v_nop
	s_delay_alu instid0(TRANS32_DEP_1) | instskip(NEXT) | instid1(VALU_DEP_1)
	v_fma_f64 v[28:29], -v[4:5], v[6:7], 1.0
	v_fmac_f64_e32 v[6:7], v[6:7], v[28:29]
	s_delay_alu instid0(VALU_DEP_1) | instskip(NEXT) | instid1(VALU_DEP_1)
	v_fma_f64 v[28:29], -v[4:5], v[6:7], 1.0
	v_fmac_f64_e32 v[6:7], v[6:7], v[28:29]
	s_delay_alu instid0(VALU_DEP_1) | instskip(NEXT) | instid1(VALU_DEP_1)
	v_mul_f64_e32 v[28:29], v[30:31], v[6:7]
	v_fma_f64 v[4:5], -v[4:5], v[28:29], v[30:31]
	s_delay_alu instid0(VALU_DEP_1)
	v_div_fmas_f64 v[28:29], v[4:5], v[6:7], v[28:29]
	ds_load_b128 v[4:7], v38 offset:448
	ds_load_b64 v[30:31], v38 offset:464
	s_wait_dscnt 0x1
	v_fma_f64 v[0:1], -v[26:27], v[4:5], v[0:1]
	v_div_fixup_f64 v[28:29], v[28:29], v[24:25], v[22:23]
	s_delay_alu instid0(VALU_DEP_1) | instskip(SKIP_1) | instid1(VALU_DEP_1)
	v_fma_f64 v[0:1], -v[28:29], v[6:7], v[0:1]
	s_wait_dscnt 0x0
	v_div_scale_f64 v[4:5], null, v[30:31], v[30:31], v[0:1]
	v_div_scale_f64 v[22:23], vcc_lo, v[0:1], v[30:31], v[0:1]
	s_delay_alu instid0(VALU_DEP_2) | instskip(SKIP_1) | instid1(TRANS32_DEP_1)
	v_rcp_f64_e32 v[32:33], v[4:5]
	v_nop
	v_fma_f64 v[6:7], -v[4:5], v[32:33], 1.0
	s_delay_alu instid0(VALU_DEP_1) | instskip(NEXT) | instid1(VALU_DEP_1)
	v_fmac_f64_e32 v[32:33], v[32:33], v[6:7]
	v_fma_f64 v[6:7], -v[4:5], v[32:33], 1.0
	s_delay_alu instid0(VALU_DEP_1) | instskip(NEXT) | instid1(VALU_DEP_1)
	v_fmac_f64_e32 v[32:33], v[32:33], v[6:7]
	v_mul_f64_e32 v[34:35], v[22:23], v[32:33]
	s_delay_alu instid0(VALU_DEP_1)
	v_fma_f64 v[36:37], -v[4:5], v[34:35], v[22:23]
	ds_load_b128 v[4:7], v38 offset:672
	ds_load_b128 v[22:25], v38 offset:688
	s_wait_dscnt 0x1
	v_fma_f64 v[2:3], -v[26:27], v[4:5], v[2:3]
	v_div_fmas_f64 v[4:5], v[36:37], v[32:33], v[34:35]
	s_delay_alu instid0(VALU_DEP_2) | instskip(NEXT) | instid1(VALU_DEP_2)
	v_fma_f64 v[2:3], -v[28:29], v[6:7], v[2:3]
	v_div_fixup_f64 v[0:1], v[4:5], v[30:31], v[0:1]
	s_wait_dscnt 0x0
	s_delay_alu instid0(VALU_DEP_1) | instskip(NEXT) | instid1(VALU_DEP_1)
	v_fma_f64 v[2:3], -v[0:1], v[22:23], v[2:3]
	v_div_scale_f64 v[4:5], null, v[24:25], v[24:25], v[2:3]
	s_delay_alu instid0(VALU_DEP_1) | instskip(SKIP_1) | instid1(TRANS32_DEP_1)
	v_rcp_f64_e32 v[6:7], v[4:5]
	v_nop
	v_fma_f64 v[22:23], -v[4:5], v[6:7], 1.0
	s_delay_alu instid0(VALU_DEP_1) | instskip(NEXT) | instid1(VALU_DEP_1)
	v_fmac_f64_e32 v[6:7], v[6:7], v[22:23]
	v_fma_f64 v[22:23], -v[4:5], v[6:7], 1.0
	s_delay_alu instid0(VALU_DEP_1) | instskip(SKIP_1) | instid1(VALU_DEP_1)
	v_fmac_f64_e32 v[6:7], v[6:7], v[22:23]
	v_div_scale_f64 v[22:23], vcc_lo, v[2:3], v[24:25], v[2:3]
	v_mul_f64_e32 v[30:31], v[22:23], v[6:7]
	s_delay_alu instid0(VALU_DEP_1) | instskip(NEXT) | instid1(VALU_DEP_1)
	v_fma_f64 v[4:5], -v[4:5], v[30:31], v[22:23]
	v_div_fmas_f64 v[4:5], v[4:5], v[6:7], v[30:31]
	s_delay_alu instid0(VALU_DEP_1)
	v_div_fixup_f64 v[2:3], v[4:5], v[24:25], v[2:3]
	ds_store_2addr_b64 v21, v[26:27], v[28:29] offset1:28
	ds_store_2addr_b64 v21, v[0:1], v[2:3] offset0:56 offset1:84
	s_cbranch_scc1 .LBB101_74
; %bb.73:                               ;   in Loop: Header=BB101_70 Depth=2
	s_mov_b32 s28, s29
	s_branch .LBB101_70
.LBB101_74:                             ;   in Loop: Header=BB101_3 Depth=1
	s_cmp_ge_i32 s29, s1
	s_cbranch_scc1 .LBB101_79
; %bb.75:                               ;   in Loop: Header=BB101_3 Depth=1
	s_mul_i32 s27, s29, 0xe0
	s_branch .LBB101_77
.LBB101_76:                             ;   in Loop: Header=BB101_77 Depth=2
	s_mul_i32 s28, s29, 0xe8
	s_add_co_i32 s29, s29, 1
	v_mov_b32_e32 v3, s28
	s_addk_co_i32 s27, 0xe0
	s_cmp_ge_i32 s29, s1
	ds_load_b64 v[4:5], v3
	s_wait_dscnt 0x0
	v_div_scale_f64 v[6:7], null, v[4:5], v[4:5], v[0:1]
	s_delay_alu instid0(VALU_DEP_1) | instskip(SKIP_1) | instid1(TRANS32_DEP_1)
	v_rcp_f64_e32 v[22:23], v[6:7]
	v_nop
	v_fma_f64 v[24:25], -v[6:7], v[22:23], 1.0
	s_delay_alu instid0(VALU_DEP_1) | instskip(NEXT) | instid1(VALU_DEP_1)
	v_fmac_f64_e32 v[22:23], v[22:23], v[24:25]
	v_fma_f64 v[24:25], -v[6:7], v[22:23], 1.0
	s_delay_alu instid0(VALU_DEP_1) | instskip(SKIP_1) | instid1(VALU_DEP_1)
	v_fmac_f64_e32 v[22:23], v[22:23], v[24:25]
	v_div_scale_f64 v[24:25], vcc_lo, v[0:1], v[4:5], v[0:1]
	v_mul_f64_e32 v[26:27], v[24:25], v[22:23]
	s_delay_alu instid0(VALU_DEP_1) | instskip(NEXT) | instid1(VALU_DEP_1)
	v_fma_f64 v[6:7], -v[6:7], v[26:27], v[24:25]
	v_div_fmas_f64 v[6:7], v[6:7], v[22:23], v[26:27]
	s_delay_alu instid0(VALU_DEP_1)
	v_div_fixup_f64 v[0:1], v[6:7], v[4:5], v[0:1]
	ds_store_b64 v2, v[0:1]
	s_cbranch_scc1 .LBB101_79
.LBB101_77:                             ;   Parent Loop BB101_3 Depth=1
                                        ; =>  This Loop Header: Depth=2
                                        ;       Child Loop BB101_78 Depth 3
	v_mad_u32 v2, 0xe0, s29, v18
	v_mov_b32_e32 v3, v18
	s_cmp_eq_u32 s29, 0
	s_mov_b32 s28, s27
	s_mov_b32 s30, s29
	ds_load_b64 v[0:1], v2
	s_cbranch_scc1 .LBB101_76
.LBB101_78:                             ;   Parent Loop BB101_3 Depth=1
                                        ;     Parent Loop BB101_77 Depth=2
                                        ; =>    This Inner Loop Header: Depth=3
	v_mov_b32_e32 v6, s28
	s_add_co_i32 s30, s30, -1
	s_add_co_i32 s28, s28, 8
	s_cmp_eq_u32 s30, 0
	ds_load_b64 v[4:5], v3
	ds_load_b64 v[6:7], v6
	v_add_nc_u32_e32 v3, 0xe0, v3
	s_wait_dscnt 0x0
	v_fma_f64 v[0:1], -v[4:5], v[6:7], v[0:1]
	s_cbranch_scc0 .LBB101_78
	s_branch .LBB101_76
.LBB101_79:                             ;   in Loop: Header=BB101_3 Depth=1
	s_and_saveexec_b32 s27, s26
	s_cbranch_execz .LBB101_2
; %bb.80:                               ;   in Loop: Header=BB101_3 Depth=1
	v_mov_b32_e32 v0, v18
	s_mov_b32 s28, s24
.LBB101_81:                             ;   Parent Loop BB101_3 Depth=1
                                        ; =>  This Inner Loop Header: Depth=2
	ds_load_b64 v[2:3], v0
	v_add_nc_u32_e32 v0, 0xe0, v0
	s_add_co_i32 s28, s28, -1
	s_delay_alu instid0(SALU_CYCLE_1)
	s_cmp_lg_u32 s28, 0
	s_wait_dscnt 0x0
	global_store_b64 v[16:17], v[2:3], off
	s_wait_xcnt 0x0
	v_add_nc_u64_e32 v[16:17], s[6:7], v[16:17]
	s_cbranch_scc1 .LBB101_81
	s_branch .LBB101_2
.LBB101_82:
	s_endpgm
	.section	.rodata,"a",@progbits
	.p2align	6, 0x0
	.amdhsa_kernel _ZL31rocblas_trsm_small_right_deviceIddPKdPdLi28EEv13rocblas_fill_18rocblas_operation_17rocblas_diagonal_iiT0_T1_lilT2_lili
		.amdhsa_group_segment_fixed_size 12544
		.amdhsa_private_segment_fixed_size 0
		.amdhsa_kernarg_size 360
		.amdhsa_user_sgpr_count 2
		.amdhsa_user_sgpr_dispatch_ptr 0
		.amdhsa_user_sgpr_queue_ptr 0
		.amdhsa_user_sgpr_kernarg_segment_ptr 1
		.amdhsa_user_sgpr_dispatch_id 0
		.amdhsa_user_sgpr_kernarg_preload_length 0
		.amdhsa_user_sgpr_kernarg_preload_offset 0
		.amdhsa_user_sgpr_private_segment_size 0
		.amdhsa_wavefront_size32 1
		.amdhsa_uses_dynamic_stack 0
		.amdhsa_enable_private_segment 0
		.amdhsa_system_sgpr_workgroup_id_x 1
		.amdhsa_system_sgpr_workgroup_id_y 0
		.amdhsa_system_sgpr_workgroup_id_z 1
		.amdhsa_system_sgpr_workgroup_info 0
		.amdhsa_system_vgpr_workitem_id 0
		.amdhsa_next_free_vgpr 129
		.amdhsa_next_free_sgpr 38
		.amdhsa_named_barrier_count 0
		.amdhsa_reserve_vcc 1
		.amdhsa_float_round_mode_32 0
		.amdhsa_float_round_mode_16_64 0
		.amdhsa_float_denorm_mode_32 3
		.amdhsa_float_denorm_mode_16_64 3
		.amdhsa_fp16_overflow 0
		.amdhsa_memory_ordered 1
		.amdhsa_forward_progress 1
		.amdhsa_inst_pref_size 49
		.amdhsa_round_robin_scheduling 0
		.amdhsa_exception_fp_ieee_invalid_op 0
		.amdhsa_exception_fp_denorm_src 0
		.amdhsa_exception_fp_ieee_div_zero 0
		.amdhsa_exception_fp_ieee_overflow 0
		.amdhsa_exception_fp_ieee_underflow 0
		.amdhsa_exception_fp_ieee_inexact 0
		.amdhsa_exception_int_div_zero 0
	.end_amdhsa_kernel
	.section	.text._ZL31rocblas_trsm_small_right_deviceIddPKdPdLi28EEv13rocblas_fill_18rocblas_operation_17rocblas_diagonal_iiT0_T1_lilT2_lili,"axG",@progbits,_ZL31rocblas_trsm_small_right_deviceIddPKdPdLi28EEv13rocblas_fill_18rocblas_operation_17rocblas_diagonal_iiT0_T1_lilT2_lili,comdat
.Lfunc_end101:
	.size	_ZL31rocblas_trsm_small_right_deviceIddPKdPdLi28EEv13rocblas_fill_18rocblas_operation_17rocblas_diagonal_iiT0_T1_lilT2_lili, .Lfunc_end101-_ZL31rocblas_trsm_small_right_deviceIddPKdPdLi28EEv13rocblas_fill_18rocblas_operation_17rocblas_diagonal_iiT0_T1_lilT2_lili
                                        ; -- End function
	.set _ZL31rocblas_trsm_small_right_deviceIddPKdPdLi28EEv13rocblas_fill_18rocblas_operation_17rocblas_diagonal_iiT0_T1_lilT2_lili.num_vgpr, 44
	.set _ZL31rocblas_trsm_small_right_deviceIddPKdPdLi28EEv13rocblas_fill_18rocblas_operation_17rocblas_diagonal_iiT0_T1_lilT2_lili.num_agpr, 0
	.set _ZL31rocblas_trsm_small_right_deviceIddPKdPdLi28EEv13rocblas_fill_18rocblas_operation_17rocblas_diagonal_iiT0_T1_lilT2_lili.numbered_sgpr, 38
	.set _ZL31rocblas_trsm_small_right_deviceIddPKdPdLi28EEv13rocblas_fill_18rocblas_operation_17rocblas_diagonal_iiT0_T1_lilT2_lili.num_named_barrier, 0
	.set _ZL31rocblas_trsm_small_right_deviceIddPKdPdLi28EEv13rocblas_fill_18rocblas_operation_17rocblas_diagonal_iiT0_T1_lilT2_lili.private_seg_size, 0
	.set _ZL31rocblas_trsm_small_right_deviceIddPKdPdLi28EEv13rocblas_fill_18rocblas_operation_17rocblas_diagonal_iiT0_T1_lilT2_lili.uses_vcc, 1
	.set _ZL31rocblas_trsm_small_right_deviceIddPKdPdLi28EEv13rocblas_fill_18rocblas_operation_17rocblas_diagonal_iiT0_T1_lilT2_lili.uses_flat_scratch, 0
	.set _ZL31rocblas_trsm_small_right_deviceIddPKdPdLi28EEv13rocblas_fill_18rocblas_operation_17rocblas_diagonal_iiT0_T1_lilT2_lili.has_dyn_sized_stack, 0
	.set _ZL31rocblas_trsm_small_right_deviceIddPKdPdLi28EEv13rocblas_fill_18rocblas_operation_17rocblas_diagonal_iiT0_T1_lilT2_lili.has_recursion, 0
	.set _ZL31rocblas_trsm_small_right_deviceIddPKdPdLi28EEv13rocblas_fill_18rocblas_operation_17rocblas_diagonal_iiT0_T1_lilT2_lili.has_indirect_call, 0
	.section	.AMDGPU.csdata,"",@progbits
; Kernel info:
; codeLenInByte = 6204
; TotalNumSgprs: 40
; NumVgprs: 44
; ScratchSize: 0
; MemoryBound: 0
; FloatMode: 240
; IeeeMode: 1
; LDSByteSize: 12544 bytes/workgroup (compile time only)
; SGPRBlocks: 0
; VGPRBlocks: 8
; NumSGPRsForWavesPerEU: 40
; NumVGPRsForWavesPerEU: 129
; NamedBarCnt: 0
; Occupancy: 7
; WaveLimiterHint : 0
; COMPUTE_PGM_RSRC2:SCRATCH_EN: 0
; COMPUTE_PGM_RSRC2:USER_SGPR: 2
; COMPUTE_PGM_RSRC2:TRAP_HANDLER: 0
; COMPUTE_PGM_RSRC2:TGID_X_EN: 1
; COMPUTE_PGM_RSRC2:TGID_Y_EN: 0
; COMPUTE_PGM_RSRC2:TGID_Z_EN: 1
; COMPUTE_PGM_RSRC2:TIDIG_COMP_CNT: 0
	.section	.text._ZL38rocblas_trsm_small_left_device_sharedBILi32ELi32ELb0EddPKdPdEv13rocblas_fill_18rocblas_operation_17rocblas_diagonal_iiT3_T4_lilT5_lili,"axG",@progbits,_ZL38rocblas_trsm_small_left_device_sharedBILi32ELi32ELb0EddPKdPdEv13rocblas_fill_18rocblas_operation_17rocblas_diagonal_iiT3_T4_lilT5_lili,comdat
	.globl	_ZL38rocblas_trsm_small_left_device_sharedBILi32ELi32ELb0EddPKdPdEv13rocblas_fill_18rocblas_operation_17rocblas_diagonal_iiT3_T4_lilT5_lili ; -- Begin function _ZL38rocblas_trsm_small_left_device_sharedBILi32ELi32ELb0EddPKdPdEv13rocblas_fill_18rocblas_operation_17rocblas_diagonal_iiT3_T4_lilT5_lili
	.p2align	8
	.type	_ZL38rocblas_trsm_small_left_device_sharedBILi32ELi32ELb0EddPKdPdEv13rocblas_fill_18rocblas_operation_17rocblas_diagonal_iiT3_T4_lilT5_lili,@function
_ZL38rocblas_trsm_small_left_device_sharedBILi32ELi32ELb0EddPKdPdEv13rocblas_fill_18rocblas_operation_17rocblas_diagonal_iiT3_T4_lilT5_lili: ; @_ZL38rocblas_trsm_small_left_device_sharedBILi32ELi32ELb0EddPKdPdEv13rocblas_fill_18rocblas_operation_17rocblas_diagonal_iiT3_T4_lilT5_lili
; %bb.0:
	s_load_b32 s15, s[0:1], 0x60
	s_bfe_u32 s2, ttmp6, 0x40014
	s_lshr_b32 s3, ttmp7, 16
	s_add_co_i32 s2, s2, 1
	s_bfe_u32 s5, ttmp6, 0x40008
	s_mul_i32 s4, s3, s2
	s_getreg_b32 s2, hwreg(HW_REG_IB_STS2, 6, 4)
	s_add_co_i32 s5, s5, s4
	s_cmp_eq_u32 s2, 0
	s_cselect_b32 s19, s3, s5
	s_wait_kmcnt 0x0
	s_cmp_ge_u32 s19, s15
	s_cbranch_scc1 .LBB102_57
; %bb.1:
	s_clause 0x4
	s_load_b96 s[12:14], s[0:1], 0x28
	s_load_b96 s[16:18], s[0:1], 0x48
	s_load_b128 s[24:27], s[0:1], 0x4
	s_load_b32 s3, s[0:1], 0x68
	s_load_b64 s[28:29], s[0:1], 0x58
	s_bfe_u32 s8, ttmp6, 0x4000c
	s_load_b128 s[4:7], s[0:1], 0x18
	s_add_co_i32 s8, s8, 1
	s_and_b32 s20, ttmp6, 15
	s_mul_i32 s21, ttmp9, s8
	s_load_b128 s[8:11], s[0:1], 0x38
	s_wait_xcnt 0x0
	s_add_co_i32 s0, s20, s21
	v_dual_lshlrev_b32 v2, 3, v0 :: v_dual_lshlrev_b32 v6, 8, v0
	v_mov_b32_e32 v3, 0
	s_delay_alu instid0(VALU_DEP_2)
	v_or_b32_e32 v10, 0x2000, v2
	s_wait_kmcnt 0x0
	s_ashr_i32 s31, s14, 31
	s_ashr_i32 s23, s18, 31
	s_min_i32 s1, s26, 32
	s_add_co_i32 s3, s3, -1
	s_add_co_i32 s20, s1, -1
	s_cmp_eq_u32 s2, 0
	s_mov_b32 s30, s14
	s_cselect_b32 s0, ttmp9, s0
	s_delay_alu instid0(SALU_CYCLE_1) | instskip(NEXT) | instid1(SALU_CYCLE_1)
	s_lshl_b32 s2, s0, 5
	s_sub_co_i32 s21, s27, s2
	s_cmp_ge_u32 s0, s3
	v_cmp_gt_i32_e64 s0, s1, v0
	s_cselect_b32 s27, s21, 32
	s_ashr_i32 s3, s2, 31
	s_cmp_lg_u32 s25, 0x84
	v_cmp_gt_i32_e32 vcc_lo, s27, v0
	s_cselect_b32 s21, -1, 0
	s_cmp_gt_i32 s26, 0
	s_cselect_b32 s25, -1, 0
	s_cmp_lg_u32 s24, 0x6f
	s_cselect_b32 s22, -1, 0
	s_lshl_b64 s[2:3], s[2:3], 3
	s_lshl_b64 s[16:17], s[16:17], 3
	v_or_b32_e32 v1, s2, v2
	s_add_nc_u64 s[10:11], s[10:11], s[16:17]
	s_delay_alu instid0(VALU_DEP_1) | instid1(SALU_CYCLE_1)
	v_mad_nc_u64_u32 v[4:5], v1, s18, s[10:11]
	s_lshl_b64 s[10:11], s[28:29], 3
	s_delay_alu instid0(VALU_DEP_1)
	v_mad_u32 v5, s3, s18, v5
	s_lshl_b64 s[2:3], s[12:13], 3
	s_lshl_b32 s13, s1, 8
	s_add_nc_u64 s[2:3], s[6:7], s[2:3]
	s_and_b32 s12, vcc_lo, s25
	s_lshl_b64 s[6:7], s[30:31], 3
	s_addk_co_i32 s13, 0xff00
	s_delay_alu instid0(VALU_DEP_1)
	v_mad_u32 v5, v1, s23, v5
	v_add_nc_u64_e32 v[0:1], s[2:3], v[2:3]
	v_add_nc_u32_e32 v3, v2, v6
	s_lshl_b64 s[2:3], s[8:9], 3
	s_get_pc_i64 s[8:9]
	s_add_nc_u64 s[8:9], s[8:9], __const._ZL38rocblas_trsm_small_left_device_sharedBILi32ELi32ELb0EddPKdPdEv13rocblas_fill_18rocblas_operation_17rocblas_diagonal_iiT3_T4_lilT5_lili.step_sizes@rel64+4
	s_branch .LBB102_3
.LBB102_2:                              ;   in Loop: Header=BB102_3 Depth=1
	s_or_b32 exec_lo, exec_lo, s14
	s_add_co_i32 s19, s19, 0x10000
	s_delay_alu instid0(SALU_CYCLE_1)
	s_cmp_lt_u32 s19, s15
	s_cbranch_scc0 .LBB102_57
.LBB102_3:                              ; =>This Loop Header: Depth=1
                                        ;     Child Loop BB102_5 Depth 2
                                        ;     Child Loop BB102_11 Depth 2
	;; [unrolled: 1-line block ×3, first 2 shown]
                                        ;       Child Loop BB102_18 Depth 3
                                        ;         Child Loop BB102_19 Depth 4
                                        ;         Child Loop BB102_22 Depth 4
                                        ;           Child Loop BB102_23 Depth 5
                                        ;         Child Loop BB102_27 Depth 4
                                        ;           Child Loop BB102_29 Depth 5
                                        ;     Child Loop BB102_37 Depth 2
                                        ;       Child Loop BB102_40 Depth 3
                                        ;         Child Loop BB102_41 Depth 4
                                        ;         Child Loop BB102_43 Depth 4
                                        ;           Child Loop BB102_44 Depth 5
                                        ;         Child Loop BB102_48 Depth 4
                                        ;           Child Loop BB102_50 Depth 5
                                        ;     Child Loop BB102_56 Depth 2
	s_and_saveexec_b32 s14, s0
	s_cbranch_execz .LBB102_9
; %bb.4:                                ;   in Loop: Header=BB102_3 Depth=1
	v_mad_nc_u64_u32 v[6:7], s2, s19, v[0:1]
	v_mov_b32_e32 v8, v2
	s_mov_b32 s16, s1
	s_delay_alu instid0(VALU_DEP_2)
	v_mad_u32 v7, s3, s19, v7
.LBB102_5:                              ;   Parent Loop BB102_3 Depth=1
                                        ; =>  This Inner Loop Header: Depth=2
	global_load_b64 v[12:13], v[6:7], off
	s_wait_xcnt 0x0
	v_add_nc_u64_e32 v[6:7], s[6:7], v[6:7]
	s_add_co_i32 s16, s16, -1
	s_delay_alu instid0(SALU_CYCLE_1)
	s_cmp_eq_u32 s16, 0
	s_wait_loadcnt 0x0
	ds_store_b64 v8, v[12:13]
	v_add_nc_u32_e32 v8, 0x100, v8
	s_cbranch_scc0 .LBB102_5
; %bb.6:                                ;   in Loop: Header=BB102_3 Depth=1
	v_mov_b64_e32 v[6:7], 1.0
	s_and_b32 vcc_lo, exec_lo, s21
	s_cbranch_vccz .LBB102_8
; %bb.7:                                ;   in Loop: Header=BB102_3 Depth=1
	ds_load_b64 v[6:7], v3
	s_wait_dscnt 0x0
	v_div_scale_f64 v[8:9], null, v[6:7], v[6:7], 1.0
	s_delay_alu instid0(VALU_DEP_1) | instskip(SKIP_1) | instid1(TRANS32_DEP_1)
	v_rcp_f64_e32 v[12:13], v[8:9]
	v_nop
	v_fma_f64 v[14:15], -v[8:9], v[12:13], 1.0
	s_delay_alu instid0(VALU_DEP_1) | instskip(NEXT) | instid1(VALU_DEP_1)
	v_fmac_f64_e32 v[12:13], v[12:13], v[14:15]
	v_fma_f64 v[14:15], -v[8:9], v[12:13], 1.0
	s_delay_alu instid0(VALU_DEP_1) | instskip(SKIP_1) | instid1(VALU_DEP_1)
	v_fmac_f64_e32 v[12:13], v[12:13], v[14:15]
	v_div_scale_f64 v[14:15], vcc_lo, 1.0, v[6:7], 1.0
	v_mul_f64_e32 v[16:17], v[14:15], v[12:13]
	s_delay_alu instid0(VALU_DEP_1) | instskip(NEXT) | instid1(VALU_DEP_1)
	v_fma_f64 v[8:9], -v[8:9], v[16:17], v[14:15]
	v_div_fmas_f64 v[8:9], v[8:9], v[12:13], v[16:17]
	s_delay_alu instid0(VALU_DEP_1)
	v_div_fixup_f64 v[6:7], v[8:9], v[6:7], 1.0
.LBB102_8:                              ;   in Loop: Header=BB102_3 Depth=1
	ds_store_b64 v3, v[6:7]
.LBB102_9:                              ;   in Loop: Header=BB102_3 Depth=1
	s_or_b32 exec_lo, exec_lo, s14
	s_delay_alu instid0(VALU_DEP_3) | instskip(NEXT) | instid1(VALU_DEP_1)
	v_mad_nc_u64_u32 v[6:7], s10, s19, v[4:5]
	v_mad_u32 v7, s11, s19, v7
	s_and_saveexec_b32 s14, s12
	s_cbranch_execz .LBB102_12
; %bb.10:                               ;   in Loop: Header=BB102_3 Depth=1
	s_delay_alu instid0(VALU_DEP_1)
	v_mov_b64_e32 v[8:9], v[6:7]
	v_mov_b32_e32 v11, v10
	s_mov_b32 s16, s1
.LBB102_11:                             ;   Parent Loop BB102_3 Depth=1
                                        ; =>  This Inner Loop Header: Depth=2
	global_load_b64 v[12:13], v[8:9], off
	s_wait_xcnt 0x0
	v_add_nc_u64_e32 v[8:9], 8, v[8:9]
	s_add_co_i32 s16, s16, -1
	s_delay_alu instid0(SALU_CYCLE_1)
	s_cmp_lg_u32 s16, 0
	s_wait_loadcnt 0x0
	v_mul_f64_e32 v[12:13], s[4:5], v[12:13]
	ds_store_b64 v11, v[12:13]
	v_add_nc_u32_e32 v11, 0x100, v11
	s_cbranch_scc1 .LBB102_11
.LBB102_12:                             ;   in Loop: Header=BB102_3 Depth=1
	s_or_b32 exec_lo, exec_lo, s14
	s_delay_alu instid0(SALU_CYCLE_1)
	s_and_not1_b32 vcc_lo, exec_lo, s22
	s_mov_b32 s14, -1
	s_wait_dscnt 0x0
	; wave barrier
	s_cbranch_vccnz .LBB102_34
; %bb.13:                               ;   in Loop: Header=BB102_3 Depth=1
	s_mov_b32 s16, 0
	s_mov_b32 s14, 0
	s_branch .LBB102_15
.LBB102_14:                             ;   in Loop: Header=BB102_15 Depth=2
	s_cmp_lt_i32 s14, s1
	s_cselect_b32 s17, -1, 0
	s_add_co_i32 s18, s16, 1
	s_cmp_lt_u32 s16, 2
	s_wait_xcnt 0x0
	s_cselect_b32 s16, -1, 0
	s_delay_alu instid0(SALU_CYCLE_1) | instskip(NEXT) | instid1(SALU_CYCLE_1)
	s_and_b32 s16, s17, s16
	s_and_b32 vcc_lo, exec_lo, s16
	s_mov_b32 s16, s18
	s_cbranch_vccz .LBB102_33
.LBB102_15:                             ;   Parent Loop BB102_3 Depth=1
                                        ; =>  This Loop Header: Depth=2
                                        ;       Child Loop BB102_18 Depth 3
                                        ;         Child Loop BB102_19 Depth 4
                                        ;         Child Loop BB102_22 Depth 4
                                        ;           Child Loop BB102_23 Depth 5
                                        ;         Child Loop BB102_27 Depth 4
                                        ;           Child Loop BB102_29 Depth 5
	s_load_b32 s17, s[8:9], s16 offset:0x0 scale_offset
	s_wait_kmcnt 0x0
	s_add_co_i32 s18, s17, -1
	s_delay_alu instid0(SALU_CYCLE_1) | instskip(NEXT) | instid1(SALU_CYCLE_1)
	s_add_co_i32 s23, s18, s14
	s_cmp_ge_i32 s23, s1
	s_cbranch_scc1 .LBB102_14
; %bb.16:                               ;   in Loop: Header=BB102_15 Depth=2
	s_lshl_b32 s23, s14, 8
	s_max_i32 s24, s17, 1
	v_add_nc_u32_e32 v11, s23, v10
	s_lshl_b32 s25, s17, 8
	s_mul_i32 s26, s14, 0x108
	s_mul_i32 s27, s17, 0x108
	s_branch .LBB102_18
.LBB102_17:                             ;   in Loop: Header=BB102_18 Depth=3
	s_add_co_i32 s14, s14, s17
	v_add_nc_u32_e32 v11, s25, v11
	s_add_co_i32 s28, s18, s14
	s_add_co_i32 s23, s23, s25
	;; [unrolled: 1-line block ×3, first 2 shown]
	s_cmp_ge_i32 s28, s1
	s_cbranch_scc1 .LBB102_14
.LBB102_18:                             ;   Parent Loop BB102_3 Depth=1
                                        ;     Parent Loop BB102_15 Depth=2
                                        ; =>    This Loop Header: Depth=3
                                        ;         Child Loop BB102_19 Depth 4
                                        ;         Child Loop BB102_22 Depth 4
                                        ;           Child Loop BB102_23 Depth 5
                                        ;         Child Loop BB102_27 Depth 4
                                        ;           Child Loop BB102_29 Depth 5
	s_wait_xcnt 0x0
	v_mov_b32_e32 v8, v11
	s_mov_b32 s28, 0
	s_mov_b32 s29, s24
.LBB102_19:                             ;   Parent Loop BB102_3 Depth=1
                                        ;     Parent Loop BB102_15 Depth=2
                                        ;       Parent Loop BB102_18 Depth=3
                                        ; =>      This Inner Loop Header: Depth=4
	ds_load_b64 v[12:13], v8
	v_add_nc_u32_e32 v8, 0x100, v8
	s_add_co_i32 s29, s29, -1
	s_wait_dscnt 0x0
	scratch_store_b64 off, v[12:13], s28
	s_wait_xcnt 0x0
	s_add_co_i32 s28, s28, 8
	s_cmp_eq_u32 s29, 0
	s_cbranch_scc0 .LBB102_19
; %bb.20:                               ;   in Loop: Header=BB102_18 Depth=3
	s_cmp_lt_i32 s14, 1
	s_cbranch_scc1 .LBB102_25
; %bb.21:                               ;   in Loop: Header=BB102_18 Depth=3
	s_mov_b32 s28, 0
	s_mov_b32 s29, s23
.LBB102_22:                             ;   Parent Loop BB102_3 Depth=1
                                        ;     Parent Loop BB102_15 Depth=2
                                        ;       Parent Loop BB102_18 Depth=3
                                        ; =>      This Loop Header: Depth=4
                                        ;           Child Loop BB102_23 Depth 5
	v_lshl_add_u32 v8, s28, 8, v10
	s_mov_b32 s30, 0
	s_mov_b32 s31, s29
	;; [unrolled: 1-line block ×3, first 2 shown]
	ds_load_b64 v[8:9], v8
.LBB102_23:                             ;   Parent Loop BB102_3 Depth=1
                                        ;     Parent Loop BB102_15 Depth=2
                                        ;       Parent Loop BB102_18 Depth=3
                                        ;         Parent Loop BB102_22 Depth=4
                                        ; =>        This Inner Loop Header: Depth=5
	scratch_load_b64 v[12:13], off, s30
	v_mov_b32_e32 v14, s31
	s_add_co_i32 s33, s33, -1
	s_addk_co_i32 s31, 0x100
	ds_load_b64 v[14:15], v14
	s_wait_loadcnt_dscnt 0x0
	v_fma_f64 v[12:13], -v[8:9], v[14:15], v[12:13]
	scratch_store_b64 off, v[12:13], s30
	s_wait_xcnt 0x0
	s_add_co_i32 s30, s30, 8
	s_cmp_eq_u32 s33, 0
	s_cbranch_scc0 .LBB102_23
; %bb.24:                               ;   in Loop: Header=BB102_22 Depth=4
	s_add_co_i32 s28, s28, 1
	s_add_co_i32 s29, s29, 8
	s_cmp_eq_u32 s28, s14
	s_cbranch_scc0 .LBB102_22
.LBB102_25:                             ;   in Loop: Header=BB102_18 Depth=3
	s_lshl_b32 s28, s14, 8
	s_mov_b32 s29, 0
	s_mov_b32 s30, s26
	s_branch .LBB102_27
.LBB102_26:                             ;   in Loop: Header=BB102_27 Depth=4
	s_wait_xcnt 0x0
	s_mulk_i32 s33, 0x108
	s_addk_co_i32 s30, 0x100
	v_mov_b32_e32 v12, s33
	s_lshl_b32 s33, s29, 3
	s_add_co_i32 s29, s29, 1
	s_delay_alu instid0(SALU_CYCLE_1)
	s_cmp_eq_u32 s29, s24
	ds_load_b64 v[12:13], v12
	s_wait_loadcnt_dscnt 0x0
	v_dual_mul_f64 v[8:9], v[12:13], v[8:9] :: v_dual_add_nc_u32 v12, s31, v10
	scratch_store_b64 off, v[8:9], s33
	ds_store_b64 v12, v[8:9]
	s_cbranch_scc1 .LBB102_17
.LBB102_27:                             ;   Parent Loop BB102_3 Depth=1
                                        ;     Parent Loop BB102_15 Depth=2
                                        ;       Parent Loop BB102_18 Depth=3
                                        ; =>      This Loop Header: Depth=4
                                        ;           Child Loop BB102_29 Depth 5
	s_cmp_lg_u32 s29, 0
	s_cbranch_scc0 .LBB102_31
; %bb.28:                               ;   in Loop: Header=BB102_27 Depth=4
	s_lshl_b32 s34, s29, 3
	s_wait_xcnt 0x0
	s_add_co_i32 s33, s29, s14
	scratch_load_b64 v[8:9], off, s34
	s_lshl_b32 s31, s33, 8
	s_mov_b32 s35, 0
	s_mov_b32 s36, s30
	;; [unrolled: 1-line block ×3, first 2 shown]
.LBB102_29:                             ;   Parent Loop BB102_3 Depth=1
                                        ;     Parent Loop BB102_15 Depth=2
                                        ;       Parent Loop BB102_18 Depth=3
                                        ;         Parent Loop BB102_27 Depth=4
                                        ; =>        This Inner Loop Header: Depth=5
	scratch_load_b64 v[12:13], off, s35
	v_mov_b32_e32 v14, s36
	s_add_co_i32 s37, s37, -1
	s_wait_xcnt 0x0
	s_add_co_i32 s35, s35, 8
	s_add_co_i32 s36, s36, 8
	s_cmp_eq_u32 s37, 0
	ds_load_b64 v[14:15], v14
	s_wait_loadcnt_dscnt 0x0
	v_fma_f64 v[8:9], -v[12:13], v[14:15], v[8:9]
	scratch_store_b64 off, v[8:9], s34
	s_cbranch_scc0 .LBB102_29
; %bb.30:                               ;   in Loop: Header=BB102_27 Depth=4
	s_wait_xcnt 0x0
	s_branch .LBB102_26
.LBB102_31:                             ;   in Loop: Header=BB102_27 Depth=4
                                        ; implicit-def: $vgpr8_vgpr9
                                        ; implicit-def: $sgpr33
                                        ; implicit-def: $sgpr31
	s_cbranch_execz .LBB102_26
; %bb.32:                               ;   in Loop: Header=BB102_27 Depth=4
	scratch_load_b64 v[8:9], off, off
	s_mov_b32 s31, s28
	s_mov_b32 s33, s14
	s_branch .LBB102_26
.LBB102_33:                             ;   in Loop: Header=BB102_3 Depth=1
	s_mov_b32 s14, 0
.LBB102_34:                             ;   in Loop: Header=BB102_3 Depth=1
	s_delay_alu instid0(SALU_CYCLE_1)
	s_and_b32 vcc_lo, exec_lo, s14
	s_cbranch_vccz .LBB102_54
; %bb.35:                               ;   in Loop: Header=BB102_3 Depth=1
	s_mov_b32 s16, 0
	s_mov_b32 s14, s20
	s_branch .LBB102_37
.LBB102_36:                             ;   in Loop: Header=BB102_37 Depth=2
	s_cmp_gt_i32 s14, -1
	s_cselect_b32 s17, -1, 0
	s_add_co_i32 s18, s16, 1
	s_cmp_lt_u32 s16, 2
	s_cselect_b32 s16, -1, 0
	s_delay_alu instid0(SALU_CYCLE_1) | instskip(NEXT) | instid1(SALU_CYCLE_1)
	s_and_b32 s16, s17, s16
	s_and_not1_b32 vcc_lo, exec_lo, s16
	s_mov_b32 s16, s18
	s_cbranch_vccnz .LBB102_54
.LBB102_37:                             ;   Parent Loop BB102_3 Depth=1
                                        ; =>  This Loop Header: Depth=2
                                        ;       Child Loop BB102_40 Depth 3
                                        ;         Child Loop BB102_41 Depth 4
                                        ;         Child Loop BB102_43 Depth 4
                                        ;           Child Loop BB102_44 Depth 5
                                        ;         Child Loop BB102_48 Depth 4
                                        ;           Child Loop BB102_50 Depth 5
	s_load_b32 s17, s[8:9], s16 offset:0x0 scale_offset
	s_wait_kmcnt 0x0
	s_add_co_i32 s18, s17, -1
	s_delay_alu instid0(SALU_CYCLE_1)
	s_cmp_lt_i32 s14, s18
	s_cbranch_scc1 .LBB102_36
; %bb.38:                               ;   in Loop: Header=BB102_37 Depth=2
	v_lshl_add_u32 v11, s14, 8, v10
	s_lshl_b32 s24, s17, 8
	s_lshl_b32 s25, s14, 3
	s_lshl_b32 s26, s17, 3
	s_max_i32 s23, s17, 1
	s_sub_co_i32 s24, 0, s24
	s_add_co_i32 s25, s13, s25
	s_sub_co_i32 s26, 0, s26
	s_mul_i32 s27, s14, 0x108
	s_mul_i32 s28, s17, 0xfffffef8
	s_branch .LBB102_40
.LBB102_39:                             ;   in Loop: Header=BB102_40 Depth=3
	v_add_nc_u32_e32 v11, s24, v11
	s_sub_co_i32 s14, s14, s17
	s_add_co_i32 s25, s25, s26
	s_add_co_i32 s27, s27, s28
	s_cmp_lt_i32 s14, s18
	s_cbranch_scc1 .LBB102_36
.LBB102_40:                             ;   Parent Loop BB102_3 Depth=1
                                        ;     Parent Loop BB102_37 Depth=2
                                        ; =>    This Loop Header: Depth=3
                                        ;         Child Loop BB102_41 Depth 4
                                        ;         Child Loop BB102_43 Depth 4
                                        ;           Child Loop BB102_44 Depth 5
                                        ;         Child Loop BB102_48 Depth 4
                                        ;           Child Loop BB102_50 Depth 5
	s_wait_xcnt 0x0
	v_mov_b32_e32 v8, v11
	s_mov_b32 s29, 0
	s_mov_b32 s30, s23
.LBB102_41:                             ;   Parent Loop BB102_3 Depth=1
                                        ;     Parent Loop BB102_37 Depth=2
                                        ;       Parent Loop BB102_40 Depth=3
                                        ; =>      This Inner Loop Header: Depth=4
	ds_load_b64 v[12:13], v8
	v_add_nc_u32_e32 v8, 0xffffff00, v8
	s_add_co_i32 s30, s30, -1
	s_wait_dscnt 0x0
	scratch_store_b64 off, v[12:13], s29
	s_wait_xcnt 0x0
	s_add_co_i32 s29, s29, 8
	s_cmp_eq_u32 s30, 0
	s_cbranch_scc0 .LBB102_41
; %bb.42:                               ;   in Loop: Header=BB102_40 Depth=3
	s_cmp_le_i32 s20, s14
	s_mov_b32 s29, s25
	s_mov_b32 s30, s20
	s_cbranch_scc1 .LBB102_46
.LBB102_43:                             ;   Parent Loop BB102_3 Depth=1
                                        ;     Parent Loop BB102_37 Depth=2
                                        ;       Parent Loop BB102_40 Depth=3
                                        ; =>      This Loop Header: Depth=4
                                        ;           Child Loop BB102_44 Depth 5
	v_lshl_add_u32 v8, s30, 8, v10
	s_mov_b32 s31, 0
	s_mov_b32 s33, s29
	;; [unrolled: 1-line block ×3, first 2 shown]
	ds_load_b64 v[8:9], v8
.LBB102_44:                             ;   Parent Loop BB102_3 Depth=1
                                        ;     Parent Loop BB102_37 Depth=2
                                        ;       Parent Loop BB102_40 Depth=3
                                        ;         Parent Loop BB102_43 Depth=4
                                        ; =>        This Inner Loop Header: Depth=5
	scratch_load_b64 v[12:13], off, s31
	v_mov_b32_e32 v14, s33
	s_add_co_i32 s34, s34, -1
	s_add_co_i32 s33, s33, -8
	ds_load_b64 v[14:15], v14
	s_wait_loadcnt_dscnt 0x0
	v_fma_f64 v[12:13], -v[8:9], v[14:15], v[12:13]
	scratch_store_b64 off, v[12:13], s31
	s_wait_xcnt 0x0
	s_add_co_i32 s31, s31, 8
	s_cmp_eq_u32 s34, 0
	s_cbranch_scc0 .LBB102_44
; %bb.45:                               ;   in Loop: Header=BB102_43 Depth=4
	s_add_co_i32 s30, s30, -1
	s_addk_co_i32 s29, 0xff00
	s_cmp_le_i32 s30, s14
	s_cbranch_scc0 .LBB102_43
.LBB102_46:                             ;   in Loop: Header=BB102_40 Depth=3
	s_mov_b32 s29, 0
	s_mov_b32 s30, s27
	s_branch .LBB102_48
.LBB102_47:                             ;   in Loop: Header=BB102_48 Depth=4
	s_mul_i32 s33, s31, 0x108
	s_add_co_i32 s30, s30, -8
	v_mov_b32_e32 v12, s33
	s_lshl_b32 s33, s29, 3
	s_add_co_i32 s29, s29, 1
	s_delay_alu instid0(SALU_CYCLE_1)
	s_cmp_eq_u32 s29, s23
	ds_load_b64 v[12:13], v12
	s_wait_loadcnt_dscnt 0x0
	v_mul_f64_e32 v[8:9], v[12:13], v[8:9]
	v_lshl_add_u32 v12, s31, 8, v10
	scratch_store_b64 off, v[8:9], s33
	ds_store_b64 v12, v[8:9]
	s_cbranch_scc1 .LBB102_39
.LBB102_48:                             ;   Parent Loop BB102_3 Depth=1
                                        ;     Parent Loop BB102_37 Depth=2
                                        ;       Parent Loop BB102_40 Depth=3
                                        ; =>      This Loop Header: Depth=4
                                        ;           Child Loop BB102_50 Depth 5
	s_cmp_lg_u32 s29, 0
	s_cbranch_scc0 .LBB102_52
; %bb.49:                               ;   in Loop: Header=BB102_48 Depth=4
	s_wait_xcnt 0x0
	s_lshl_b32 s33, s29, 3
	s_sub_co_i32 s31, s14, s29
	scratch_load_b64 v[8:9], off, s33
	s_mov_b32 s34, 0
	s_mov_b32 s35, s30
	s_mov_b32 s36, s29
.LBB102_50:                             ;   Parent Loop BB102_3 Depth=1
                                        ;     Parent Loop BB102_37 Depth=2
                                        ;       Parent Loop BB102_40 Depth=3
                                        ;         Parent Loop BB102_48 Depth=4
                                        ; =>        This Inner Loop Header: Depth=5
	scratch_load_b64 v[12:13], off, s34
	v_mov_b32_e32 v14, s35
	s_add_co_i32 s36, s36, -1
	s_addk_co_i32 s35, 0xff00
	s_wait_xcnt 0x0
	s_add_co_i32 s34, s34, 8
	s_cmp_eq_u32 s36, 0
	ds_load_b64 v[14:15], v14
	s_wait_loadcnt_dscnt 0x0
	v_fma_f64 v[8:9], -v[12:13], v[14:15], v[8:9]
	scratch_store_b64 off, v[8:9], s33
	s_cbranch_scc0 .LBB102_50
; %bb.51:                               ;   in Loop: Header=BB102_48 Depth=4
	s_wait_xcnt 0x0
	s_branch .LBB102_47
.LBB102_52:                             ;   in Loop: Header=BB102_48 Depth=4
	s_wait_xcnt 0x0
                                        ; implicit-def: $vgpr8_vgpr9
                                        ; implicit-def: $sgpr31
	s_cbranch_execz .LBB102_47
; %bb.53:                               ;   in Loop: Header=BB102_48 Depth=4
	scratch_load_b64 v[8:9], off, off
	s_mov_b32 s31, s14
	s_branch .LBB102_47
.LBB102_54:                             ;   in Loop: Header=BB102_3 Depth=1
	; wave barrier
	s_wait_storecnt_dscnt 0x0
	s_wait_xcnt 0x0
	s_and_saveexec_b32 s14, s12
	s_cbranch_execz .LBB102_2
; %bb.55:                               ;   in Loop: Header=BB102_3 Depth=1
	v_mov_b32_e32 v8, v10
	s_mov_b32 s16, s1
.LBB102_56:                             ;   Parent Loop BB102_3 Depth=1
                                        ; =>  This Inner Loop Header: Depth=2
	ds_load_b64 v[12:13], v8
	v_add_nc_u32_e32 v8, 0x100, v8
	s_add_co_i32 s16, s16, -1
	s_delay_alu instid0(SALU_CYCLE_1)
	s_cmp_lg_u32 s16, 0
	s_wait_dscnt 0x0
	global_store_b64 v[6:7], v[12:13], off
	s_wait_xcnt 0x0
	v_add_nc_u64_e32 v[6:7], 8, v[6:7]
	s_cbranch_scc1 .LBB102_56
	s_branch .LBB102_2
.LBB102_57:
	s_endpgm
	.section	.rodata,"a",@progbits
	.p2align	6, 0x0
	.amdhsa_kernel _ZL38rocblas_trsm_small_left_device_sharedBILi32ELi32ELb0EddPKdPdEv13rocblas_fill_18rocblas_operation_17rocblas_diagonal_iiT3_T4_lilT5_lili
		.amdhsa_group_segment_fixed_size 16384
		.amdhsa_private_segment_fixed_size 272
		.amdhsa_kernarg_size 360
		.amdhsa_user_sgpr_count 2
		.amdhsa_user_sgpr_dispatch_ptr 0
		.amdhsa_user_sgpr_queue_ptr 0
		.amdhsa_user_sgpr_kernarg_segment_ptr 1
		.amdhsa_user_sgpr_dispatch_id 0
		.amdhsa_user_sgpr_kernarg_preload_length 0
		.amdhsa_user_sgpr_kernarg_preload_offset 0
		.amdhsa_user_sgpr_private_segment_size 0
		.amdhsa_wavefront_size32 1
		.amdhsa_uses_dynamic_stack 0
		.amdhsa_enable_private_segment 1
		.amdhsa_system_sgpr_workgroup_id_x 1
		.amdhsa_system_sgpr_workgroup_id_y 0
		.amdhsa_system_sgpr_workgroup_id_z 1
		.amdhsa_system_sgpr_workgroup_info 0
		.amdhsa_system_vgpr_workitem_id 0
		.amdhsa_next_free_vgpr 161
		.amdhsa_next_free_sgpr 38
		.amdhsa_named_barrier_count 0
		.amdhsa_reserve_vcc 1
		.amdhsa_float_round_mode_32 0
		.amdhsa_float_round_mode_16_64 0
		.amdhsa_float_denorm_mode_32 3
		.amdhsa_float_denorm_mode_16_64 3
		.amdhsa_fp16_overflow 0
		.amdhsa_memory_ordered 1
		.amdhsa_forward_progress 1
		.amdhsa_inst_pref_size 17
		.amdhsa_round_robin_scheduling 0
		.amdhsa_exception_fp_ieee_invalid_op 0
		.amdhsa_exception_fp_denorm_src 0
		.amdhsa_exception_fp_ieee_div_zero 0
		.amdhsa_exception_fp_ieee_overflow 0
		.amdhsa_exception_fp_ieee_underflow 0
		.amdhsa_exception_fp_ieee_inexact 0
		.amdhsa_exception_int_div_zero 0
	.end_amdhsa_kernel
	.section	.text._ZL38rocblas_trsm_small_left_device_sharedBILi32ELi32ELb0EddPKdPdEv13rocblas_fill_18rocblas_operation_17rocblas_diagonal_iiT3_T4_lilT5_lili,"axG",@progbits,_ZL38rocblas_trsm_small_left_device_sharedBILi32ELi32ELb0EddPKdPdEv13rocblas_fill_18rocblas_operation_17rocblas_diagonal_iiT3_T4_lilT5_lili,comdat
.Lfunc_end102:
	.size	_ZL38rocblas_trsm_small_left_device_sharedBILi32ELi32ELb0EddPKdPdEv13rocblas_fill_18rocblas_operation_17rocblas_diagonal_iiT3_T4_lilT5_lili, .Lfunc_end102-_ZL38rocblas_trsm_small_left_device_sharedBILi32ELi32ELb0EddPKdPdEv13rocblas_fill_18rocblas_operation_17rocblas_diagonal_iiT3_T4_lilT5_lili
                                        ; -- End function
	.set _ZL38rocblas_trsm_small_left_device_sharedBILi32ELi32ELb0EddPKdPdEv13rocblas_fill_18rocblas_operation_17rocblas_diagonal_iiT3_T4_lilT5_lili.num_vgpr, 18
	.set _ZL38rocblas_trsm_small_left_device_sharedBILi32ELi32ELb0EddPKdPdEv13rocblas_fill_18rocblas_operation_17rocblas_diagonal_iiT3_T4_lilT5_lili.num_agpr, 0
	.set _ZL38rocblas_trsm_small_left_device_sharedBILi32ELi32ELb0EddPKdPdEv13rocblas_fill_18rocblas_operation_17rocblas_diagonal_iiT3_T4_lilT5_lili.numbered_sgpr, 38
	.set _ZL38rocblas_trsm_small_left_device_sharedBILi32ELi32ELb0EddPKdPdEv13rocblas_fill_18rocblas_operation_17rocblas_diagonal_iiT3_T4_lilT5_lili.num_named_barrier, 0
	.set _ZL38rocblas_trsm_small_left_device_sharedBILi32ELi32ELb0EddPKdPdEv13rocblas_fill_18rocblas_operation_17rocblas_diagonal_iiT3_T4_lilT5_lili.private_seg_size, 272
	.set _ZL38rocblas_trsm_small_left_device_sharedBILi32ELi32ELb0EddPKdPdEv13rocblas_fill_18rocblas_operation_17rocblas_diagonal_iiT3_T4_lilT5_lili.uses_vcc, 1
	.set _ZL38rocblas_trsm_small_left_device_sharedBILi32ELi32ELb0EddPKdPdEv13rocblas_fill_18rocblas_operation_17rocblas_diagonal_iiT3_T4_lilT5_lili.uses_flat_scratch, 0
	.set _ZL38rocblas_trsm_small_left_device_sharedBILi32ELi32ELb0EddPKdPdEv13rocblas_fill_18rocblas_operation_17rocblas_diagonal_iiT3_T4_lilT5_lili.has_dyn_sized_stack, 0
	.set _ZL38rocblas_trsm_small_left_device_sharedBILi32ELi32ELb0EddPKdPdEv13rocblas_fill_18rocblas_operation_17rocblas_diagonal_iiT3_T4_lilT5_lili.has_recursion, 0
	.set _ZL38rocblas_trsm_small_left_device_sharedBILi32ELi32ELb0EddPKdPdEv13rocblas_fill_18rocblas_operation_17rocblas_diagonal_iiT3_T4_lilT5_lili.has_indirect_call, 0
	.section	.AMDGPU.csdata,"",@progbits
; Kernel info:
; codeLenInByte = 2084
; TotalNumSgprs: 40
; NumVgprs: 18
; ScratchSize: 272
; MemoryBound: 0
; FloatMode: 240
; IeeeMode: 1
; LDSByteSize: 16384 bytes/workgroup (compile time only)
; SGPRBlocks: 0
; VGPRBlocks: 10
; NumSGPRsForWavesPerEU: 40
; NumVGPRsForWavesPerEU: 161
; NamedBarCnt: 0
; Occupancy: 5
; WaveLimiterHint : 0
; COMPUTE_PGM_RSRC2:SCRATCH_EN: 1
; COMPUTE_PGM_RSRC2:USER_SGPR: 2
; COMPUTE_PGM_RSRC2:TRAP_HANDLER: 0
; COMPUTE_PGM_RSRC2:TGID_X_EN: 1
; COMPUTE_PGM_RSRC2:TGID_Y_EN: 0
; COMPUTE_PGM_RSRC2:TGID_Z_EN: 1
; COMPUTE_PGM_RSRC2:TIDIG_COMP_CNT: 0
	.section	.text._ZL30rocblas_trsm_small_left_deviceILi32ELi32ELb0EddPKdPdEv13rocblas_fill_18rocblas_operation_17rocblas_diagonal_iiT3_T4_lilT5_lili,"axG",@progbits,_ZL30rocblas_trsm_small_left_deviceILi32ELi32ELb0EddPKdPdEv13rocblas_fill_18rocblas_operation_17rocblas_diagonal_iiT3_T4_lilT5_lili,comdat
	.globl	_ZL30rocblas_trsm_small_left_deviceILi32ELi32ELb0EddPKdPdEv13rocblas_fill_18rocblas_operation_17rocblas_diagonal_iiT3_T4_lilT5_lili ; -- Begin function _ZL30rocblas_trsm_small_left_deviceILi32ELi32ELb0EddPKdPdEv13rocblas_fill_18rocblas_operation_17rocblas_diagonal_iiT3_T4_lilT5_lili
	.p2align	8
	.type	_ZL30rocblas_trsm_small_left_deviceILi32ELi32ELb0EddPKdPdEv13rocblas_fill_18rocblas_operation_17rocblas_diagonal_iiT3_T4_lilT5_lili,@function
_ZL30rocblas_trsm_small_left_deviceILi32ELi32ELb0EddPKdPdEv13rocblas_fill_18rocblas_operation_17rocblas_diagonal_iiT3_T4_lilT5_lili: ; @_ZL30rocblas_trsm_small_left_deviceILi32ELi32ELb0EddPKdPdEv13rocblas_fill_18rocblas_operation_17rocblas_diagonal_iiT3_T4_lilT5_lili
; %bb.0:
	s_load_b32 s28, s[0:1], 0x60
	s_bfe_u32 s2, ttmp6, 0x40014
	s_lshr_b32 s4, ttmp7, 16
	s_add_co_i32 s2, s2, 1
	s_bfe_u32 s5, ttmp6, 0x40008
	s_mul_i32 s2, s4, s2
	s_getreg_b32 s3, hwreg(HW_REG_IB_STS2, 6, 4)
	s_add_co_i32 s5, s5, s2
	s_cmp_eq_u32 s3, 0
	s_mov_b32 s19, 0
	s_cselect_b32 s2, s4, s5
	s_wait_kmcnt 0x0
	s_cmp_ge_u32 s2, s28
	s_cbranch_scc1 .LBB103_54
; %bb.1:
	s_clause 0x4
	s_load_b96 s[16:18], s[0:1], 0x28
	s_load_b96 s[24:26], s[0:1], 0x48
	s_load_b128 s[8:11], s[0:1], 0x4
	s_load_b32 s22, s[0:1], 0x68
	s_load_b64 s[20:21], s[0:1], 0x58
	s_bfe_u32 s12, ttmp6, 0x4000c
	s_and_b32 s23, ttmp6, 15
	s_add_co_i32 s12, s12, 1
	s_load_b128 s[4:7], s[0:1], 0x18
	s_mul_i32 s27, ttmp9, s12
	s_load_b128 s[12:15], s[0:1], 0x38
	s_wait_xcnt 0x0
	s_add_co_i32 s0, s23, s27
	s_mov_b32 s35, 0
                                        ; implicit-def: $sgpr36
                                        ; implicit-def: $sgpr37
	v_lshlrev_b32_e32 v1, 8, v0
	s_wait_kmcnt 0x0
	s_ashr_i32 s23, s18, 31
	s_ashr_i32 s1, s26, 31
	s_min_i32 s29, s10, 32
	s_lshl_b64 s[24:25], s[24:25], 3
	s_add_co_i32 s10, s22, -1
	s_add_co_i32 s30, s29, -1
	s_cmp_eq_u32 s3, 0
	s_mov_b32 s22, s18
	s_cselect_b32 s3, ttmp9, s0
	s_mov_b32 s0, s26
	s_lshl_b32 s27, s3, 5
	s_add_nc_u64 s[14:15], s[14:15], s[24:25]
	v_or_b32_e32 v2, s27, v0
	s_delay_alu instid0(VALU_DEP_1) | instskip(NEXT) | instid1(VALU_DEP_1)
	v_ashrrev_i32_e32 v3, 31, v2
	v_mul_u64_e32 v[4:5], s[0:1], v[2:3]
	s_sub_co_i32 s0, s11, s27
	s_cmp_ge_u32 s3, s10
	v_lshlrev_b32_e32 v2, 3, v0
	s_cselect_b32 s1, s0, 32
	s_cmp_lg_u32 s9, 0x84
	v_mov_b32_e32 v3, 0
	s_cselect_b32 s31, -1, 0
	s_cmp_lg_u32 s8, 0x6f
	v_add_nc_u32_e32 v14, v2, v1
	s_cselect_b32 s33, -1, 0
	s_lshl_b64 s[16:17], s[16:17], 3
	v_cmp_gt_i32_e64 s0, s29, v0
	s_add_nc_u64 s[6:7], s[6:7], s[16:17]
	v_cmp_gt_i32_e64 s1, s1, v0
	v_add_nc_u64_e32 v[0:1], s[6:7], v[2:3]
	s_lshl_b32 s34, s29, 8
	s_lshl_b64 s[8:9], s[12:13], 3
	s_lshl_b64 s[10:11], s[22:23], 3
	;; [unrolled: 1-line block ×3, first 2 shown]
	s_addk_co_i32 s34, 0xff00
	s_get_pc_i64 s[6:7]
	s_add_nc_u64 s[6:7], s[6:7], __const._ZL30rocblas_trsm_small_left_deviceILi32ELi32ELb0EddPKdPdEv13rocblas_fill_18rocblas_operation_17rocblas_diagonal_iiT3_T4_lilT5_lili.step_sizes@rel64+4
	v_lshl_add_u64 v[4:5], v[4:5], 3, s[14:15]
	s_branch .LBB103_4
.LBB103_2:                              ;   in Loop: Header=BB103_4 Depth=1
	s_add_co_i32 s2, s2, 0x10000
	s_delay_alu instid0(SALU_CYCLE_1)
	s_cmp_ge_u32 s2, s28
	s_cselect_b32 s3, -1, 0
	s_and_not1_b32 s37, s37, exec_lo
	s_or_not1_b32 s14, s3, exec_lo
.LBB103_3:                              ;   in Loop: Header=BB103_4 Depth=1
	s_wait_xcnt 0x0
	s_or_b32 exec_lo, exec_lo, s38
	s_delay_alu instid0(SALU_CYCLE_1) | instskip(NEXT) | instid1(SALU_CYCLE_1)
	s_and_b32 s3, exec_lo, s14
	s_or_b32 s35, s3, s35
	s_and_not1_b32 s3, s36, exec_lo
	s_and_b32 s14, s37, exec_lo
	s_delay_alu instid0(SALU_CYCLE_1)
	s_or_b32 s36, s3, s14
	s_and_not1_b32 exec_lo, exec_lo, s35
	s_cbranch_execz .LBB103_53
.LBB103_4:                              ; =>This Loop Header: Depth=1
                                        ;     Child Loop BB103_6 Depth 2
                                        ;     Child Loop BB103_14 Depth 2
                                        ;       Child Loop BB103_17 Depth 3
                                        ;         Child Loop BB103_18 Depth 4
                                        ;         Child Loop BB103_21 Depth 4
                                        ;           Child Loop BB103_22 Depth 5
                                        ;         Child Loop BB103_26 Depth 4
                                        ;           Child Loop BB103_28 Depth 5
                                        ;     Child Loop BB103_36 Depth 2
                                        ;       Child Loop BB103_39 Depth 3
                                        ;         Child Loop BB103_40 Depth 4
                                        ;         Child Loop BB103_42 Depth 4
                                        ;           Child Loop BB103_43 Depth 5
                                        ;         Child Loop BB103_47 Depth 4
                                        ;           Child Loop BB103_49 Depth 5
	s_mov_b32 s3, s19
	s_and_saveexec_b32 s14, s0
	s_cbranch_execz .LBB103_10
; %bb.5:                                ;   in Loop: Header=BB103_4 Depth=1
	v_mad_nc_u64_u32 v[6:7], s8, s2, v[0:1]
	v_mov_b32_e32 v3, v2
	s_mov_b32 s15, s29
	s_delay_alu instid0(VALU_DEP_2)
	v_mad_u32 v7, s9, s2, v7
.LBB103_6:                              ;   Parent Loop BB103_4 Depth=1
                                        ; =>  This Inner Loop Header: Depth=2
	global_load_b64 v[8:9], v[6:7], off
	s_wait_xcnt 0x0
	v_add_nc_u64_e32 v[6:7], s[10:11], v[6:7]
	s_add_co_i32 s15, s15, -1
	s_delay_alu instid0(SALU_CYCLE_1)
	s_cmp_eq_u32 s15, 0
	s_wait_loadcnt 0x0
	ds_store_b64 v3, v[8:9]
	v_add_nc_u32_e32 v3, 0x100, v3
	s_cbranch_scc0 .LBB103_6
; %bb.7:                                ;   in Loop: Header=BB103_4 Depth=1
	v_mov_b64_e32 v[6:7], 1.0
	s_and_b32 vcc_lo, exec_lo, s31
	s_cbranch_vccz .LBB103_9
; %bb.8:                                ;   in Loop: Header=BB103_4 Depth=1
	ds_load_b64 v[6:7], v14
	s_wait_dscnt 0x0
	v_div_scale_f64 v[8:9], null, v[6:7], v[6:7], 1.0
	s_delay_alu instid0(VALU_DEP_1) | instskip(SKIP_1) | instid1(TRANS32_DEP_1)
	v_rcp_f64_e32 v[10:11], v[8:9]
	v_nop
	v_fma_f64 v[12:13], -v[8:9], v[10:11], 1.0
	s_delay_alu instid0(VALU_DEP_1) | instskip(NEXT) | instid1(VALU_DEP_1)
	v_fmac_f64_e32 v[10:11], v[10:11], v[12:13]
	v_fma_f64 v[12:13], -v[8:9], v[10:11], 1.0
	s_delay_alu instid0(VALU_DEP_1) | instskip(SKIP_1) | instid1(VALU_DEP_1)
	v_fmac_f64_e32 v[10:11], v[10:11], v[12:13]
	v_div_scale_f64 v[12:13], vcc_lo, 1.0, v[6:7], 1.0
	v_mul_f64_e32 v[16:17], v[12:13], v[10:11]
	s_delay_alu instid0(VALU_DEP_1) | instskip(NEXT) | instid1(VALU_DEP_1)
	v_fma_f64 v[8:9], -v[8:9], v[16:17], v[12:13]
	v_div_fmas_f64 v[8:9], v[8:9], v[10:11], v[16:17]
	s_delay_alu instid0(VALU_DEP_1)
	v_div_fixup_f64 v[6:7], v[8:9], v[6:7], 1.0
.LBB103_9:                              ;   in Loop: Header=BB103_4 Depth=1
	ds_store_b64 v14, v[6:7]
.LBB103_10:                             ;   in Loop: Header=BB103_4 Depth=1
	s_or_b32 exec_lo, exec_lo, s14
	s_mov_b32 s14, -1
	s_or_b32 s37, s37, exec_lo
	s_wait_dscnt 0x0
	; wave barrier
	s_and_saveexec_b32 s38, s1
	s_cbranch_execz .LBB103_3
; %bb.11:                               ;   in Loop: Header=BB103_4 Depth=1
	s_mul_u64 s[14:15], s[20:21], s[2:3]
	s_and_not1_b32 vcc_lo, exec_lo, s33
	v_lshl_add_u64 v[6:7], s[14:15], 3, v[4:5]
	s_mul_u64 s[14:15], s[12:13], s[2:3]
	s_mov_b32 s3, -1
	s_cbranch_vccnz .LBB103_33
; %bb.12:                               ;   in Loop: Header=BB103_4 Depth=1
	v_add_nc_u64_e32 v[8:9], s[14:15], v[4:5]
	s_mov_b32 s3, 0
	s_mov_b32 s16, 0
	s_branch .LBB103_14
.LBB103_13:                             ;   in Loop: Header=BB103_14 Depth=2
	s_cmp_lt_i32 s16, s29
	s_cselect_b32 s17, -1, 0
	s_add_co_i32 s18, s3, 1
	s_cmp_lt_u32 s3, 2
	s_wait_xcnt 0x0
	s_cselect_b32 s3, -1, 0
	s_delay_alu instid0(SALU_CYCLE_1) | instskip(NEXT) | instid1(SALU_CYCLE_1)
	s_and_b32 s3, s17, s3
	s_and_b32 vcc_lo, exec_lo, s3
	s_mov_b32 s3, s18
	s_cbranch_vccz .LBB103_32
.LBB103_14:                             ;   Parent Loop BB103_4 Depth=1
                                        ; =>  This Loop Header: Depth=2
                                        ;       Child Loop BB103_17 Depth 3
                                        ;         Child Loop BB103_18 Depth 4
                                        ;         Child Loop BB103_21 Depth 4
                                        ;           Child Loop BB103_22 Depth 5
                                        ;         Child Loop BB103_26 Depth 4
                                        ;           Child Loop BB103_28 Depth 5
	s_load_b32 s22, s[6:7], s3 offset:0x0 scale_offset
	s_wait_kmcnt 0x0
	s_add_co_i32 s39, s22, -1
	s_delay_alu instid0(SALU_CYCLE_1) | instskip(NEXT) | instid1(SALU_CYCLE_1)
	s_add_co_i32 s17, s39, s16
	s_cmp_ge_i32 s17, s29
	s_cbranch_scc1 .LBB103_13
; %bb.15:                               ;   in Loop: Header=BB103_14 Depth=2
	s_ashr_i32 s17, s16, 31
	s_ashr_i32 s23, s22, 31
	v_lshl_add_u64 v[10:11], s[16:17], 3, v[8:9]
	s_max_i32 s40, s22, 1
	s_lshl_b64 s[24:25], s[22:23], 3
	s_lshl_b32 s17, s16, 8
	s_lshl_b32 s23, s22, 8
	s_mul_i32 s41, s16, 0x108
	s_mul_i32 s42, s22, 0x108
	s_branch .LBB103_17
.LBB103_16:                             ;   in Loop: Header=BB103_17 Depth=3
	v_add_nc_u64_e32 v[10:11], s[24:25], v[10:11]
	s_add_co_i32 s16, s16, s22
	s_add_co_i32 s17, s17, s23
	;; [unrolled: 1-line block ×4, first 2 shown]
	s_cmp_ge_i32 s18, s29
	s_cbranch_scc1 .LBB103_13
.LBB103_17:                             ;   Parent Loop BB103_4 Depth=1
                                        ;     Parent Loop BB103_14 Depth=2
                                        ; =>    This Loop Header: Depth=3
                                        ;         Child Loop BB103_18 Depth 4
                                        ;         Child Loop BB103_21 Depth 4
                                        ;           Child Loop BB103_22 Depth 5
                                        ;         Child Loop BB103_26 Depth 4
                                        ;           Child Loop BB103_28 Depth 5
	s_wait_xcnt 0x0
	v_mov_b64_e32 v[12:13], v[10:11]
	s_mov_b32 s18, 0
	s_mov_b32 s26, s40
.LBB103_18:                             ;   Parent Loop BB103_4 Depth=1
                                        ;     Parent Loop BB103_14 Depth=2
                                        ;       Parent Loop BB103_17 Depth=3
                                        ; =>      This Inner Loop Header: Depth=4
	global_load_b64 v[16:17], v[12:13], off
	s_wait_xcnt 0x0
	v_add_nc_u64_e32 v[12:13], 8, v[12:13]
	s_add_co_i32 s26, s26, -1
	s_wait_loadcnt 0x0
	v_mul_f64_e32 v[16:17], s[4:5], v[16:17]
	scratch_store_b64 off, v[16:17], s18
	s_wait_xcnt 0x0
	s_add_co_i32 s18, s18, 8
	s_cmp_eq_u32 s26, 0
	s_cbranch_scc0 .LBB103_18
; %bb.19:                               ;   in Loop: Header=BB103_17 Depth=3
	s_cmp_lt_i32 s16, 1
	s_cbranch_scc1 .LBB103_24
; %bb.20:                               ;   in Loop: Header=BB103_17 Depth=3
	s_mov_b32 s18, 0
	s_mov_b32 s26, s17
.LBB103_21:                             ;   Parent Loop BB103_4 Depth=1
                                        ;     Parent Loop BB103_14 Depth=2
                                        ;       Parent Loop BB103_17 Depth=3
                                        ; =>      This Loop Header: Depth=4
                                        ;           Child Loop BB103_22 Depth 5
	v_lshl_add_u64 v[12:13], s[18:19], 3, v[6:7]
	s_mov_b32 s27, 0
	s_mov_b32 s43, s26
	;; [unrolled: 1-line block ×3, first 2 shown]
	global_load_b64 v[12:13], v[12:13], off
.LBB103_22:                             ;   Parent Loop BB103_4 Depth=1
                                        ;     Parent Loop BB103_14 Depth=2
                                        ;       Parent Loop BB103_17 Depth=3
                                        ;         Parent Loop BB103_21 Depth=4
                                        ; =>        This Inner Loop Header: Depth=5
	scratch_load_b64 v[16:17], off, s27
	v_mov_b32_e32 v3, s43
	s_add_co_i32 s44, s44, -1
	s_addk_co_i32 s43, 0x100
	ds_load_b64 v[18:19], v3
	s_wait_loadcnt_dscnt 0x0
	v_fma_f64 v[16:17], -v[12:13], v[18:19], v[16:17]
	scratch_store_b64 off, v[16:17], s27
	s_wait_xcnt 0x0
	s_add_co_i32 s27, s27, 8
	s_cmp_eq_u32 s44, 0
	s_cbranch_scc0 .LBB103_22
; %bb.23:                               ;   in Loop: Header=BB103_21 Depth=4
	s_add_co_i32 s18, s18, 1
	s_add_co_i32 s26, s26, 8
	s_cmp_eq_u32 s18, s16
	s_cbranch_scc0 .LBB103_21
.LBB103_24:                             ;   in Loop: Header=BB103_17 Depth=3
	s_mov_b32 s18, 0
	s_mov_b32 s43, s41
	s_branch .LBB103_26
.LBB103_25:                             ;   in Loop: Header=BB103_26 Depth=4
	s_mul_i32 s27, s26, 0x108
	s_wait_xcnt 0x1
	s_lshl_b32 s44, s18, 3
	v_mov_b32_e32 v3, s27
	s_ashr_i32 s27, s26, 31
	s_add_co_i32 s18, s18, 1
	s_addk_co_i32 s43, 0x100
	s_cmp_eq_u32 s18, s40
	s_wait_xcnt 0x0
	ds_load_b64 v[16:17], v3
	s_wait_loadcnt_dscnt 0x0
	v_mul_f64_e32 v[12:13], v[16:17], v[12:13]
	v_lshl_add_u64 v[16:17], s[26:27], 3, v[6:7]
	scratch_store_b64 off, v[12:13], s44
	global_store_b64 v[16:17], v[12:13], off
	s_cbranch_scc1 .LBB103_16
.LBB103_26:                             ;   Parent Loop BB103_4 Depth=1
                                        ;     Parent Loop BB103_14 Depth=2
                                        ;       Parent Loop BB103_17 Depth=3
                                        ; =>      This Loop Header: Depth=4
                                        ;           Child Loop BB103_28 Depth 5
	s_cmp_lg_u32 s18, 0
	s_cbranch_scc0 .LBB103_30
; %bb.27:                               ;   in Loop: Header=BB103_26 Depth=4
	s_lshl_b32 s27, s18, 3
	s_add_co_i32 s26, s18, s16
	scratch_load_b64 v[12:13], off, s27
	s_mov_b32 s44, 0
	s_mov_b32 s45, s43
	;; [unrolled: 1-line block ×3, first 2 shown]
.LBB103_28:                             ;   Parent Loop BB103_4 Depth=1
                                        ;     Parent Loop BB103_14 Depth=2
                                        ;       Parent Loop BB103_17 Depth=3
                                        ;         Parent Loop BB103_26 Depth=4
                                        ; =>        This Inner Loop Header: Depth=5
	scratch_load_b64 v[16:17], off, s44
	v_mov_b32_e32 v3, s45
	s_add_co_i32 s46, s46, -1
	s_wait_xcnt 0x0
	s_add_co_i32 s44, s44, 8
	s_add_co_i32 s45, s45, 8
	s_cmp_eq_u32 s46, 0
	ds_load_b64 v[18:19], v3
	s_wait_loadcnt_dscnt 0x0
	v_fma_f64 v[12:13], -v[16:17], v[18:19], v[12:13]
	scratch_store_b64 off, v[12:13], s27
	s_cbranch_scc0 .LBB103_28
; %bb.29:                               ;   in Loop: Header=BB103_26 Depth=4
	s_wait_xcnt 0x0
	s_branch .LBB103_25
.LBB103_30:                             ;   in Loop: Header=BB103_26 Depth=4
                                        ; implicit-def: $vgpr12_vgpr13
                                        ; implicit-def: $sgpr26
	s_cbranch_execz .LBB103_25
; %bb.31:                               ;   in Loop: Header=BB103_26 Depth=4
	scratch_load_b64 v[12:13], off, off
	s_mov_b32 s26, s16
	s_branch .LBB103_25
.LBB103_32:                             ;   in Loop: Header=BB103_4 Depth=1
	s_mov_b32 s3, 0
.LBB103_33:                             ;   in Loop: Header=BB103_4 Depth=1
	s_delay_alu instid0(SALU_CYCLE_1)
	s_and_b32 vcc_lo, exec_lo, s3
	s_cbranch_vccz .LBB103_2
; %bb.34:                               ;   in Loop: Header=BB103_4 Depth=1
	v_add_nc_u64_e32 v[8:9], s[14:15], v[4:5]
	s_mov_b32 s3, 0
	s_mov_b32 s14, s30
	s_branch .LBB103_36
.LBB103_35:                             ;   in Loop: Header=BB103_36 Depth=2
	s_cmp_gt_i32 s14, -1
	s_cselect_b32 s15, -1, 0
	s_add_co_i32 s16, s3, 1
	s_cmp_lt_u32 s3, 2
	s_wait_xcnt 0x0
	s_cselect_b32 s3, -1, 0
	s_delay_alu instid0(SALU_CYCLE_1) | instskip(NEXT) | instid1(SALU_CYCLE_1)
	s_and_b32 s3, s15, s3
	s_and_not1_b32 vcc_lo, exec_lo, s3
	s_mov_b32 s3, s16
	s_cbranch_vccnz .LBB103_2
.LBB103_36:                             ;   Parent Loop BB103_4 Depth=1
                                        ; =>  This Loop Header: Depth=2
                                        ;       Child Loop BB103_39 Depth 3
                                        ;         Child Loop BB103_40 Depth 4
                                        ;         Child Loop BB103_42 Depth 4
                                        ;           Child Loop BB103_43 Depth 5
                                        ;         Child Loop BB103_47 Depth 4
                                        ;           Child Loop BB103_49 Depth 5
	s_load_b32 s18, s[6:7], s3 offset:0x0 scale_offset
	s_wait_kmcnt 0x0
	s_add_co_i32 s24, s18, -1
	s_delay_alu instid0(SALU_CYCLE_1)
	s_cmp_lt_i32 s14, s24
	s_cbranch_scc1 .LBB103_35
; %bb.37:                               ;   in Loop: Header=BB103_36 Depth=2
	s_lshl_b32 s15, s14, 3
	s_lshl_b32 s16, s18, 3
	s_max_i32 s25, s18, 1
	s_add_co_i32 s26, s34, s15
	s_sub_co_i32 s27, 0, s16
	s_mul_i32 s39, s14, 0x108
	s_mul_i32 s40, s18, 0xfffffef8
	s_branch .LBB103_39
.LBB103_38:                             ;   in Loop: Header=BB103_39 Depth=3
	s_sub_co_i32 s14, s14, s18
	s_add_co_i32 s26, s26, s27
	s_add_co_i32 s39, s39, s40
	s_cmp_lt_i32 s14, s24
	s_cbranch_scc1 .LBB103_35
.LBB103_39:                             ;   Parent Loop BB103_4 Depth=1
                                        ;     Parent Loop BB103_36 Depth=2
                                        ; =>    This Loop Header: Depth=3
                                        ;         Child Loop BB103_40 Depth 4
                                        ;         Child Loop BB103_42 Depth 4
                                        ;           Child Loop BB103_43 Depth 5
                                        ;         Child Loop BB103_47 Depth 4
                                        ;           Child Loop BB103_49 Depth 5
	s_ashr_i32 s15, s14, 31
	s_mov_b32 s16, 0
	s_wait_xcnt 0x0
	v_lshl_add_u64 v[10:11], s[14:15], 3, v[8:9]
	s_mov_b32 s17, s25
.LBB103_40:                             ;   Parent Loop BB103_4 Depth=1
                                        ;     Parent Loop BB103_36 Depth=2
                                        ;       Parent Loop BB103_39 Depth=3
                                        ; =>      This Inner Loop Header: Depth=4
	global_load_b64 v[12:13], v[10:11], off
	s_wait_xcnt 0x0
	v_add_nc_u64_e32 v[10:11], -8, v[10:11]
	s_add_co_i32 s17, s17, -1
	s_wait_loadcnt 0x0
	v_mul_f64_e32 v[12:13], s[4:5], v[12:13]
	scratch_store_b64 off, v[12:13], s16
	s_wait_xcnt 0x0
	s_add_co_i32 s16, s16, 8
	s_cmp_eq_u32 s17, 0
	s_cbranch_scc0 .LBB103_40
; %bb.41:                               ;   in Loop: Header=BB103_39 Depth=3
	s_cmp_le_i32 s30, s14
	s_mov_b32 s22, s26
	s_mov_b32 s16, s30
	s_cbranch_scc1 .LBB103_45
.LBB103_42:                             ;   Parent Loop BB103_4 Depth=1
                                        ;     Parent Loop BB103_36 Depth=2
                                        ;       Parent Loop BB103_39 Depth=3
                                        ; =>      This Loop Header: Depth=4
                                        ;           Child Loop BB103_43 Depth 5
	s_ashr_i32 s17, s16, 31
	s_mov_b32 s23, s22
	v_lshl_add_u64 v[10:11], s[16:17], 3, v[6:7]
	s_mov_b32 s17, 0
	s_mov_b32 s41, s25
	global_load_b64 v[10:11], v[10:11], off
.LBB103_43:                             ;   Parent Loop BB103_4 Depth=1
                                        ;     Parent Loop BB103_36 Depth=2
                                        ;       Parent Loop BB103_39 Depth=3
                                        ;         Parent Loop BB103_42 Depth=4
                                        ; =>        This Inner Loop Header: Depth=5
	scratch_load_b64 v[12:13], off, s17
	v_mov_b32_e32 v3, s23
	s_add_co_i32 s41, s41, -1
	s_add_co_i32 s23, s23, -8
	ds_load_b64 v[16:17], v3
	s_wait_loadcnt_dscnt 0x0
	v_fma_f64 v[12:13], -v[10:11], v[16:17], v[12:13]
	scratch_store_b64 off, v[12:13], s17
	s_wait_xcnt 0x0
	s_add_co_i32 s17, s17, 8
	s_cmp_eq_u32 s41, 0
	s_cbranch_scc0 .LBB103_43
; %bb.44:                               ;   in Loop: Header=BB103_42 Depth=4
	s_add_co_i32 s16, s16, -1
	s_addk_co_i32 s22, 0xff00
	s_cmp_le_i32 s16, s14
	s_cbranch_scc0 .LBB103_42
.LBB103_45:                             ;   in Loop: Header=BB103_39 Depth=3
	s_mov_b32 s41, 0
	s_mov_b32 s42, s39
	s_branch .LBB103_47
.LBB103_46:                             ;   in Loop: Header=BB103_47 Depth=4
	s_wait_xcnt 0x1
	s_mulk_i32 s22, 0x108
	s_add_co_i32 s42, s42, -8
	v_mov_b32_e32 v3, s22
	s_lshl_b32 s22, s41, 3
	s_add_co_i32 s41, s41, 1
	s_delay_alu instid0(SALU_CYCLE_1)
	s_cmp_eq_u32 s41, s25
	s_wait_xcnt 0x0
	ds_load_b64 v[12:13], v3
	s_wait_loadcnt_dscnt 0x0
	v_mul_f64_e32 v[10:11], v[12:13], v[10:11]
	v_lshl_add_u64 v[12:13], s[16:17], 3, v[6:7]
	scratch_store_b64 off, v[10:11], s22
	global_store_b64 v[12:13], v[10:11], off
	s_cbranch_scc1 .LBB103_38
.LBB103_47:                             ;   Parent Loop BB103_4 Depth=1
                                        ;     Parent Loop BB103_36 Depth=2
                                        ;       Parent Loop BB103_39 Depth=3
                                        ; =>      This Loop Header: Depth=4
                                        ;           Child Loop BB103_49 Depth 5
	s_cmp_lg_u32 s41, 0
	s_cbranch_scc0 .LBB103_51
; %bb.48:                               ;   in Loop: Header=BB103_47 Depth=4
	s_lshl_b32 s16, s41, 3
	s_mov_b32 s17, 0
	scratch_load_b64 v[10:11], off, s16
	s_mov_b32 s22, s42
	s_mov_b32 s23, s41
.LBB103_49:                             ;   Parent Loop BB103_4 Depth=1
                                        ;     Parent Loop BB103_36 Depth=2
                                        ;       Parent Loop BB103_39 Depth=3
                                        ;         Parent Loop BB103_47 Depth=4
                                        ; =>        This Inner Loop Header: Depth=5
	scratch_load_b64 v[12:13], off, s17
	v_mov_b32_e32 v3, s22
	s_add_co_i32 s23, s23, -1
	s_addk_co_i32 s22, 0xff00
	s_wait_xcnt 0x0
	s_add_co_i32 s17, s17, 8
	s_cmp_eq_u32 s23, 0
	ds_load_b64 v[16:17], v3
	s_wait_loadcnt_dscnt 0x0
	v_fma_f64 v[10:11], -v[12:13], v[16:17], v[10:11]
	scratch_store_b64 off, v[10:11], s16
	s_cbranch_scc0 .LBB103_49
; %bb.50:                               ;   in Loop: Header=BB103_47 Depth=4
	s_sub_co_i32 s22, s14, s41
	s_delay_alu instid0(SALU_CYCLE_1)
	s_ashr_i32 s23, s22, 31
	s_wait_xcnt 0x0
	s_mov_b64 s[16:17], s[22:23]
	s_branch .LBB103_46
.LBB103_51:                             ;   in Loop: Header=BB103_47 Depth=4
                                        ; implicit-def: $vgpr10_vgpr11
                                        ; implicit-def: $sgpr22
                                        ; implicit-def: $sgpr16_sgpr17
	s_cbranch_execz .LBB103_46
; %bb.52:                               ;   in Loop: Header=BB103_47 Depth=4
	scratch_load_b64 v[10:11], off, off
	s_mov_b64 s[16:17], s[14:15]
	s_mov_b32 s22, s14
	s_branch .LBB103_46
.LBB103_53:
	s_or_b32 exec_lo, exec_lo, s35
	s_and_saveexec_b32 s0, s36
	s_delay_alu instid0(SALU_CYCLE_1)
	s_xor_b32 s0, exec_lo, s0
.LBB103_54:
	s_endpgm
	.section	.rodata,"a",@progbits
	.p2align	6, 0x0
	.amdhsa_kernel _ZL30rocblas_trsm_small_left_deviceILi32ELi32ELb0EddPKdPdEv13rocblas_fill_18rocblas_operation_17rocblas_diagonal_iiT3_T4_lilT5_lili
		.amdhsa_group_segment_fixed_size 8192
		.amdhsa_private_segment_fixed_size 272
		.amdhsa_kernarg_size 360
		.amdhsa_user_sgpr_count 2
		.amdhsa_user_sgpr_dispatch_ptr 0
		.amdhsa_user_sgpr_queue_ptr 0
		.amdhsa_user_sgpr_kernarg_segment_ptr 1
		.amdhsa_user_sgpr_dispatch_id 0
		.amdhsa_user_sgpr_kernarg_preload_length 0
		.amdhsa_user_sgpr_kernarg_preload_offset 0
		.amdhsa_user_sgpr_private_segment_size 0
		.amdhsa_wavefront_size32 1
		.amdhsa_uses_dynamic_stack 0
		.amdhsa_enable_private_segment 1
		.amdhsa_system_sgpr_workgroup_id_x 1
		.amdhsa_system_sgpr_workgroup_id_y 0
		.amdhsa_system_sgpr_workgroup_id_z 1
		.amdhsa_system_sgpr_workgroup_info 0
		.amdhsa_system_vgpr_workitem_id 0
		.amdhsa_next_free_vgpr 81
		.amdhsa_next_free_sgpr 47
		.amdhsa_named_barrier_count 0
		.amdhsa_reserve_vcc 1
		.amdhsa_float_round_mode_32 0
		.amdhsa_float_round_mode_16_64 0
		.amdhsa_float_denorm_mode_32 3
		.amdhsa_float_denorm_mode_16_64 3
		.amdhsa_fp16_overflow 0
		.amdhsa_memory_ordered 1
		.amdhsa_forward_progress 1
		.amdhsa_inst_pref_size 16
		.amdhsa_round_robin_scheduling 0
		.amdhsa_exception_fp_ieee_invalid_op 0
		.amdhsa_exception_fp_denorm_src 0
		.amdhsa_exception_fp_ieee_div_zero 0
		.amdhsa_exception_fp_ieee_overflow 0
		.amdhsa_exception_fp_ieee_underflow 0
		.amdhsa_exception_fp_ieee_inexact 0
		.amdhsa_exception_int_div_zero 0
	.end_amdhsa_kernel
	.section	.text._ZL30rocblas_trsm_small_left_deviceILi32ELi32ELb0EddPKdPdEv13rocblas_fill_18rocblas_operation_17rocblas_diagonal_iiT3_T4_lilT5_lili,"axG",@progbits,_ZL30rocblas_trsm_small_left_deviceILi32ELi32ELb0EddPKdPdEv13rocblas_fill_18rocblas_operation_17rocblas_diagonal_iiT3_T4_lilT5_lili,comdat
.Lfunc_end103:
	.size	_ZL30rocblas_trsm_small_left_deviceILi32ELi32ELb0EddPKdPdEv13rocblas_fill_18rocblas_operation_17rocblas_diagonal_iiT3_T4_lilT5_lili, .Lfunc_end103-_ZL30rocblas_trsm_small_left_deviceILi32ELi32ELb0EddPKdPdEv13rocblas_fill_18rocblas_operation_17rocblas_diagonal_iiT3_T4_lilT5_lili
                                        ; -- End function
	.set _ZL30rocblas_trsm_small_left_deviceILi32ELi32ELb0EddPKdPdEv13rocblas_fill_18rocblas_operation_17rocblas_diagonal_iiT3_T4_lilT5_lili.num_vgpr, 20
	.set _ZL30rocblas_trsm_small_left_deviceILi32ELi32ELb0EddPKdPdEv13rocblas_fill_18rocblas_operation_17rocblas_diagonal_iiT3_T4_lilT5_lili.num_agpr, 0
	.set _ZL30rocblas_trsm_small_left_deviceILi32ELi32ELb0EddPKdPdEv13rocblas_fill_18rocblas_operation_17rocblas_diagonal_iiT3_T4_lilT5_lili.numbered_sgpr, 47
	.set _ZL30rocblas_trsm_small_left_deviceILi32ELi32ELb0EddPKdPdEv13rocblas_fill_18rocblas_operation_17rocblas_diagonal_iiT3_T4_lilT5_lili.num_named_barrier, 0
	.set _ZL30rocblas_trsm_small_left_deviceILi32ELi32ELb0EddPKdPdEv13rocblas_fill_18rocblas_operation_17rocblas_diagonal_iiT3_T4_lilT5_lili.private_seg_size, 272
	.set _ZL30rocblas_trsm_small_left_deviceILi32ELi32ELb0EddPKdPdEv13rocblas_fill_18rocblas_operation_17rocblas_diagonal_iiT3_T4_lilT5_lili.uses_vcc, 1
	.set _ZL30rocblas_trsm_small_left_deviceILi32ELi32ELb0EddPKdPdEv13rocblas_fill_18rocblas_operation_17rocblas_diagonal_iiT3_T4_lilT5_lili.uses_flat_scratch, 0
	.set _ZL30rocblas_trsm_small_left_deviceILi32ELi32ELb0EddPKdPdEv13rocblas_fill_18rocblas_operation_17rocblas_diagonal_iiT3_T4_lilT5_lili.has_dyn_sized_stack, 0
	.set _ZL30rocblas_trsm_small_left_deviceILi32ELi32ELb0EddPKdPdEv13rocblas_fill_18rocblas_operation_17rocblas_diagonal_iiT3_T4_lilT5_lili.has_recursion, 0
	.set _ZL30rocblas_trsm_small_left_deviceILi32ELi32ELb0EddPKdPdEv13rocblas_fill_18rocblas_operation_17rocblas_diagonal_iiT3_T4_lilT5_lili.has_indirect_call, 0
	.section	.AMDGPU.csdata,"",@progbits
; Kernel info:
; codeLenInByte = 2004
; TotalNumSgprs: 49
; NumVgprs: 20
; ScratchSize: 272
; MemoryBound: 0
; FloatMode: 240
; IeeeMode: 1
; LDSByteSize: 8192 bytes/workgroup (compile time only)
; SGPRBlocks: 0
; VGPRBlocks: 5
; NumSGPRsForWavesPerEU: 49
; NumVGPRsForWavesPerEU: 81
; NamedBarCnt: 0
; Occupancy: 10
; WaveLimiterHint : 0
; COMPUTE_PGM_RSRC2:SCRATCH_EN: 1
; COMPUTE_PGM_RSRC2:USER_SGPR: 2
; COMPUTE_PGM_RSRC2:TRAP_HANDLER: 0
; COMPUTE_PGM_RSRC2:TGID_X_EN: 1
; COMPUTE_PGM_RSRC2:TGID_Y_EN: 0
; COMPUTE_PGM_RSRC2:TGID_Z_EN: 1
; COMPUTE_PGM_RSRC2:TIDIG_COMP_CNT: 0
	.section	.text._ZL38rocblas_trsm_small_left_device_sharedBILi32ELi32ELb1EddPKdPdEv13rocblas_fill_18rocblas_operation_17rocblas_diagonal_iiT3_T4_lilT5_lili,"axG",@progbits,_ZL38rocblas_trsm_small_left_device_sharedBILi32ELi32ELb1EddPKdPdEv13rocblas_fill_18rocblas_operation_17rocblas_diagonal_iiT3_T4_lilT5_lili,comdat
	.globl	_ZL38rocblas_trsm_small_left_device_sharedBILi32ELi32ELb1EddPKdPdEv13rocblas_fill_18rocblas_operation_17rocblas_diagonal_iiT3_T4_lilT5_lili ; -- Begin function _ZL38rocblas_trsm_small_left_device_sharedBILi32ELi32ELb1EddPKdPdEv13rocblas_fill_18rocblas_operation_17rocblas_diagonal_iiT3_T4_lilT5_lili
	.p2align	8
	.type	_ZL38rocblas_trsm_small_left_device_sharedBILi32ELi32ELb1EddPKdPdEv13rocblas_fill_18rocblas_operation_17rocblas_diagonal_iiT3_T4_lilT5_lili,@function
_ZL38rocblas_trsm_small_left_device_sharedBILi32ELi32ELb1EddPKdPdEv13rocblas_fill_18rocblas_operation_17rocblas_diagonal_iiT3_T4_lilT5_lili: ; @_ZL38rocblas_trsm_small_left_device_sharedBILi32ELi32ELb1EddPKdPdEv13rocblas_fill_18rocblas_operation_17rocblas_diagonal_iiT3_T4_lilT5_lili
; %bb.0:
	s_load_b32 s15, s[0:1], 0x60
	s_bfe_u32 s2, ttmp6, 0x40014
	s_lshr_b32 s3, ttmp7, 16
	s_add_co_i32 s2, s2, 1
	s_bfe_u32 s5, ttmp6, 0x40008
	s_mul_i32 s4, s3, s2
	s_getreg_b32 s2, hwreg(HW_REG_IB_STS2, 6, 4)
	s_add_co_i32 s5, s5, s4
	s_cmp_eq_u32 s2, 0
	s_cselect_b32 s19, s3, s5
	s_wait_kmcnt 0x0
	s_cmp_ge_u32 s19, s15
	s_cbranch_scc1 .LBB104_57
; %bb.1:
	s_clause 0x4
	s_load_b96 s[12:14], s[0:1], 0x28
	s_load_b96 s[16:18], s[0:1], 0x48
	s_load_b128 s[24:27], s[0:1], 0x4
	s_load_b32 s3, s[0:1], 0x68
	s_load_b64 s[28:29], s[0:1], 0x58
	s_bfe_u32 s8, ttmp6, 0x4000c
	s_load_b128 s[4:7], s[0:1], 0x18
	s_add_co_i32 s8, s8, 1
	s_and_b32 s20, ttmp6, 15
	s_mul_i32 s21, ttmp9, s8
	s_load_b128 s[8:11], s[0:1], 0x38
	s_wait_xcnt 0x0
	s_add_co_i32 s0, s20, s21
	v_dual_lshlrev_b32 v2, 3, v0 :: v_dual_lshlrev_b32 v6, 8, v0
	v_mov_b32_e32 v3, 0
	s_delay_alu instid0(VALU_DEP_2)
	v_or_b32_e32 v10, 0x2000, v2
	s_wait_kmcnt 0x0
	s_ashr_i32 s31, s14, 31
	s_ashr_i32 s23, s18, 31
	s_min_i32 s1, s26, 32
	s_add_co_i32 s3, s3, -1
	s_add_co_i32 s20, s1, -1
	s_cmp_eq_u32 s2, 0
	s_mov_b32 s30, s14
	s_cselect_b32 s0, ttmp9, s0
	s_delay_alu instid0(SALU_CYCLE_1) | instskip(NEXT) | instid1(SALU_CYCLE_1)
	s_lshl_b32 s2, s0, 5
	s_sub_co_i32 s21, s27, s2
	s_cmp_ge_u32 s0, s3
	v_cmp_gt_i32_e64 s0, s1, v0
	s_cselect_b32 s27, s21, 32
	s_ashr_i32 s3, s2, 31
	s_cmp_lg_u32 s25, 0x84
	v_cmp_gt_i32_e32 vcc_lo, s27, v0
	s_cselect_b32 s21, -1, 0
	s_cmp_gt_i32 s26, 0
	s_cselect_b32 s25, -1, 0
	s_cmp_lg_u32 s24, 0x6f
	s_cselect_b32 s22, -1, 0
	s_lshl_b64 s[2:3], s[2:3], 3
	s_lshl_b64 s[16:17], s[16:17], 3
	v_or_b32_e32 v1, s2, v2
	s_add_nc_u64 s[10:11], s[10:11], s[16:17]
	s_delay_alu instid0(VALU_DEP_1) | instid1(SALU_CYCLE_1)
	v_mad_nc_u64_u32 v[4:5], v1, s18, s[10:11]
	s_lshl_b64 s[10:11], s[28:29], 3
	s_delay_alu instid0(VALU_DEP_1)
	v_mad_u32 v5, s3, s18, v5
	s_lshl_b64 s[2:3], s[12:13], 3
	s_lshl_b32 s13, s1, 3
	s_add_nc_u64 s[2:3], s[6:7], s[2:3]
	s_and_b32 s12, vcc_lo, s25
	s_lshl_b64 s[6:7], s[30:31], 3
	s_add_co_i32 s13, s13, -8
	s_delay_alu instid0(VALU_DEP_1)
	v_mad_u32 v5, v1, s23, v5
	v_add_nc_u64_e32 v[0:1], s[2:3], v[2:3]
	v_add_nc_u32_e32 v3, v2, v6
	s_lshl_b64 s[2:3], s[8:9], 3
	s_get_pc_i64 s[8:9]
	s_add_nc_u64 s[8:9], s[8:9], __const._ZL38rocblas_trsm_small_left_device_sharedBILi32ELi32ELb1EddPKdPdEv13rocblas_fill_18rocblas_operation_17rocblas_diagonal_iiT3_T4_lilT5_lili.step_sizes@rel64+4
	s_branch .LBB104_3
.LBB104_2:                              ;   in Loop: Header=BB104_3 Depth=1
	s_or_b32 exec_lo, exec_lo, s14
	s_add_co_i32 s19, s19, 0x10000
	s_delay_alu instid0(SALU_CYCLE_1)
	s_cmp_lt_u32 s19, s15
	s_cbranch_scc0 .LBB104_57
.LBB104_3:                              ; =>This Loop Header: Depth=1
                                        ;     Child Loop BB104_5 Depth 2
                                        ;     Child Loop BB104_11 Depth 2
	;; [unrolled: 1-line block ×3, first 2 shown]
                                        ;       Child Loop BB104_18 Depth 3
                                        ;         Child Loop BB104_19 Depth 4
                                        ;         Child Loop BB104_21 Depth 4
                                        ;           Child Loop BB104_22 Depth 5
                                        ;         Child Loop BB104_26 Depth 4
                                        ;           Child Loop BB104_28 Depth 5
                                        ;     Child Loop BB104_36 Depth 2
                                        ;       Child Loop BB104_39 Depth 3
                                        ;         Child Loop BB104_40 Depth 4
                                        ;         Child Loop BB104_43 Depth 4
                                        ;           Child Loop BB104_44 Depth 5
                                        ;         Child Loop BB104_48 Depth 4
                                        ;           Child Loop BB104_50 Depth 5
                                        ;     Child Loop BB104_56 Depth 2
	s_and_saveexec_b32 s14, s0
	s_cbranch_execz .LBB104_9
; %bb.4:                                ;   in Loop: Header=BB104_3 Depth=1
	v_mad_nc_u64_u32 v[6:7], s2, s19, v[0:1]
	v_mov_b32_e32 v8, v2
	s_mov_b32 s16, s1
	s_delay_alu instid0(VALU_DEP_2)
	v_mad_u32 v7, s3, s19, v7
.LBB104_5:                              ;   Parent Loop BB104_3 Depth=1
                                        ; =>  This Inner Loop Header: Depth=2
	global_load_b64 v[12:13], v[6:7], off
	s_wait_xcnt 0x0
	v_add_nc_u64_e32 v[6:7], s[6:7], v[6:7]
	s_add_co_i32 s16, s16, -1
	s_delay_alu instid0(SALU_CYCLE_1)
	s_cmp_eq_u32 s16, 0
	s_wait_loadcnt 0x0
	ds_store_b64 v8, v[12:13]
	v_add_nc_u32_e32 v8, 0x100, v8
	s_cbranch_scc0 .LBB104_5
; %bb.6:                                ;   in Loop: Header=BB104_3 Depth=1
	v_mov_b64_e32 v[6:7], 1.0
	s_and_b32 vcc_lo, exec_lo, s21
	s_cbranch_vccz .LBB104_8
; %bb.7:                                ;   in Loop: Header=BB104_3 Depth=1
	ds_load_b64 v[6:7], v3
	s_wait_dscnt 0x0
	v_div_scale_f64 v[8:9], null, v[6:7], v[6:7], 1.0
	s_delay_alu instid0(VALU_DEP_1) | instskip(SKIP_1) | instid1(TRANS32_DEP_1)
	v_rcp_f64_e32 v[12:13], v[8:9]
	v_nop
	v_fma_f64 v[14:15], -v[8:9], v[12:13], 1.0
	s_delay_alu instid0(VALU_DEP_1) | instskip(NEXT) | instid1(VALU_DEP_1)
	v_fmac_f64_e32 v[12:13], v[12:13], v[14:15]
	v_fma_f64 v[14:15], -v[8:9], v[12:13], 1.0
	s_delay_alu instid0(VALU_DEP_1) | instskip(SKIP_1) | instid1(VALU_DEP_1)
	v_fmac_f64_e32 v[12:13], v[12:13], v[14:15]
	v_div_scale_f64 v[14:15], vcc_lo, 1.0, v[6:7], 1.0
	v_mul_f64_e32 v[16:17], v[14:15], v[12:13]
	s_delay_alu instid0(VALU_DEP_1) | instskip(NEXT) | instid1(VALU_DEP_1)
	v_fma_f64 v[8:9], -v[8:9], v[16:17], v[14:15]
	v_div_fmas_f64 v[8:9], v[8:9], v[12:13], v[16:17]
	s_delay_alu instid0(VALU_DEP_1)
	v_div_fixup_f64 v[6:7], v[8:9], v[6:7], 1.0
.LBB104_8:                              ;   in Loop: Header=BB104_3 Depth=1
	ds_store_b64 v3, v[6:7]
.LBB104_9:                              ;   in Loop: Header=BB104_3 Depth=1
	s_or_b32 exec_lo, exec_lo, s14
	s_delay_alu instid0(VALU_DEP_3) | instskip(NEXT) | instid1(VALU_DEP_1)
	v_mad_nc_u64_u32 v[6:7], s10, s19, v[4:5]
	v_mad_u32 v7, s11, s19, v7
	s_and_saveexec_b32 s14, s12
	s_cbranch_execz .LBB104_12
; %bb.10:                               ;   in Loop: Header=BB104_3 Depth=1
	s_delay_alu instid0(VALU_DEP_1)
	v_mov_b64_e32 v[8:9], v[6:7]
	v_mov_b32_e32 v11, v10
	s_mov_b32 s16, s1
.LBB104_11:                             ;   Parent Loop BB104_3 Depth=1
                                        ; =>  This Inner Loop Header: Depth=2
	global_load_b64 v[12:13], v[8:9], off
	s_wait_xcnt 0x0
	v_add_nc_u64_e32 v[8:9], 8, v[8:9]
	s_add_co_i32 s16, s16, -1
	s_delay_alu instid0(SALU_CYCLE_1)
	s_cmp_lg_u32 s16, 0
	s_wait_loadcnt 0x0
	v_mul_f64_e32 v[12:13], s[4:5], v[12:13]
	ds_store_b64 v11, v[12:13]
	v_add_nc_u32_e32 v11, 0x100, v11
	s_cbranch_scc1 .LBB104_11
.LBB104_12:                             ;   in Loop: Header=BB104_3 Depth=1
	s_or_b32 exec_lo, exec_lo, s14
	s_delay_alu instid0(SALU_CYCLE_1)
	s_and_not1_b32 vcc_lo, exec_lo, s22
	s_mov_b32 s14, -1
	s_wait_dscnt 0x0
	; wave barrier
	s_cbranch_vccnz .LBB104_33
; %bb.13:                               ;   in Loop: Header=BB104_3 Depth=1
	s_mov_b32 s16, 0
	s_mov_b32 s14, s20
	s_branch .LBB104_15
.LBB104_14:                             ;   in Loop: Header=BB104_15 Depth=2
	s_cmp_gt_i32 s14, -1
	s_cselect_b32 s17, -1, 0
	s_add_co_i32 s18, s16, 1
	s_cmp_lt_u32 s16, 2
	s_wait_xcnt 0x0
	s_cselect_b32 s16, -1, 0
	s_delay_alu instid0(SALU_CYCLE_1) | instskip(NEXT) | instid1(SALU_CYCLE_1)
	s_and_b32 s16, s17, s16
	s_and_b32 vcc_lo, exec_lo, s16
	s_mov_b32 s16, s18
	s_cbranch_vccz .LBB104_32
.LBB104_15:                             ;   Parent Loop BB104_3 Depth=1
                                        ; =>  This Loop Header: Depth=2
                                        ;       Child Loop BB104_18 Depth 3
                                        ;         Child Loop BB104_19 Depth 4
                                        ;         Child Loop BB104_21 Depth 4
                                        ;           Child Loop BB104_22 Depth 5
                                        ;         Child Loop BB104_26 Depth 4
                                        ;           Child Loop BB104_28 Depth 5
	s_load_b32 s17, s[8:9], s16 offset:0x0 scale_offset
	s_wait_kmcnt 0x0
	s_add_co_i32 s18, s17, -1
	s_delay_alu instid0(SALU_CYCLE_1)
	s_cmp_lt_i32 s14, s18
	s_cbranch_scc1 .LBB104_14
; %bb.16:                               ;   in Loop: Header=BB104_15 Depth=2
	s_lshl_b32 s25, s14, 8
	s_lshl_b32 s24, s17, 8
	v_add_nc_u32_e32 v11, s25, v10
	s_max_i32 s23, s17, 1
	s_sub_co_i32 s24, 0, s24
	s_add_co_i32 s25, s13, s25
	s_mul_i32 s26, s14, 0x108
	s_mul_i32 s27, s17, 0xfffffef8
	s_branch .LBB104_18
.LBB104_17:                             ;   in Loop: Header=BB104_18 Depth=3
	v_add_nc_u32_e32 v11, s24, v11
	s_sub_co_i32 s14, s14, s17
	s_add_co_i32 s25, s25, s24
	s_add_co_i32 s26, s26, s27
	s_cmp_lt_i32 s14, s18
	s_cbranch_scc1 .LBB104_14
.LBB104_18:                             ;   Parent Loop BB104_3 Depth=1
                                        ;     Parent Loop BB104_15 Depth=2
                                        ; =>    This Loop Header: Depth=3
                                        ;         Child Loop BB104_19 Depth 4
                                        ;         Child Loop BB104_21 Depth 4
                                        ;           Child Loop BB104_22 Depth 5
                                        ;         Child Loop BB104_26 Depth 4
                                        ;           Child Loop BB104_28 Depth 5
	s_wait_xcnt 0x0
	v_mov_b32_e32 v8, v11
	s_mov_b32 s28, 0
	s_mov_b32 s29, s23
.LBB104_19:                             ;   Parent Loop BB104_3 Depth=1
                                        ;     Parent Loop BB104_15 Depth=2
                                        ;       Parent Loop BB104_18 Depth=3
                                        ; =>      This Inner Loop Header: Depth=4
	ds_load_b64 v[12:13], v8
	v_add_nc_u32_e32 v8, 0xffffff00, v8
	s_add_co_i32 s29, s29, -1
	s_wait_dscnt 0x0
	scratch_store_b64 off, v[12:13], s28
	s_wait_xcnt 0x0
	s_add_co_i32 s28, s28, 8
	s_cmp_eq_u32 s29, 0
	s_cbranch_scc0 .LBB104_19
; %bb.20:                               ;   in Loop: Header=BB104_18 Depth=3
	s_cmp_le_i32 s20, s14
	s_mov_b32 s28, s25
	s_mov_b32 s29, s20
	s_cbranch_scc1 .LBB104_24
.LBB104_21:                             ;   Parent Loop BB104_3 Depth=1
                                        ;     Parent Loop BB104_15 Depth=2
                                        ;       Parent Loop BB104_18 Depth=3
                                        ; =>      This Loop Header: Depth=4
                                        ;           Child Loop BB104_22 Depth 5
	v_lshl_add_u32 v8, s29, 8, v10
	s_mov_b32 s30, 0
	s_mov_b32 s31, s28
	;; [unrolled: 1-line block ×3, first 2 shown]
	ds_load_b64 v[8:9], v8
.LBB104_22:                             ;   Parent Loop BB104_3 Depth=1
                                        ;     Parent Loop BB104_15 Depth=2
                                        ;       Parent Loop BB104_18 Depth=3
                                        ;         Parent Loop BB104_21 Depth=4
                                        ; =>        This Inner Loop Header: Depth=5
	scratch_load_b64 v[12:13], off, s30
	v_mov_b32_e32 v14, s31
	s_add_co_i32 s33, s33, -1
	s_addk_co_i32 s31, 0xff00
	ds_load_b64 v[14:15], v14
	s_wait_loadcnt_dscnt 0x0
	v_fma_f64 v[12:13], -v[8:9], v[14:15], v[12:13]
	scratch_store_b64 off, v[12:13], s30
	s_wait_xcnt 0x0
	s_add_co_i32 s30, s30, 8
	s_cmp_eq_u32 s33, 0
	s_cbranch_scc0 .LBB104_22
; %bb.23:                               ;   in Loop: Header=BB104_21 Depth=4
	s_add_co_i32 s29, s29, -1
	s_add_co_i32 s28, s28, -8
	s_cmp_le_i32 s29, s14
	s_cbranch_scc0 .LBB104_21
.LBB104_24:                             ;   in Loop: Header=BB104_18 Depth=3
	s_lshl_b32 s28, s14, 8
	s_mov_b32 s29, 0
	s_mov_b32 s30, s26
	s_branch .LBB104_26
.LBB104_25:                             ;   in Loop: Header=BB104_26 Depth=4
	s_wait_xcnt 0x0
	s_mulk_i32 s33, 0x108
	s_addk_co_i32 s30, 0xff00
	v_mov_b32_e32 v12, s33
	s_lshl_b32 s33, s29, 3
	s_add_co_i32 s29, s29, 1
	s_delay_alu instid0(SALU_CYCLE_1)
	s_cmp_eq_u32 s29, s23
	ds_load_b64 v[12:13], v12
	s_wait_loadcnt_dscnt 0x0
	v_dual_mul_f64 v[8:9], v[12:13], v[8:9] :: v_dual_add_nc_u32 v12, s31, v10
	scratch_store_b64 off, v[8:9], s33
	ds_store_b64 v12, v[8:9]
	s_cbranch_scc1 .LBB104_17
.LBB104_26:                             ;   Parent Loop BB104_3 Depth=1
                                        ;     Parent Loop BB104_15 Depth=2
                                        ;       Parent Loop BB104_18 Depth=3
                                        ; =>      This Loop Header: Depth=4
                                        ;           Child Loop BB104_28 Depth 5
	s_cmp_lg_u32 s29, 0
	s_cbranch_scc0 .LBB104_30
; %bb.27:                               ;   in Loop: Header=BB104_26 Depth=4
	s_lshl_b32 s34, s29, 3
	s_wait_xcnt 0x0
	s_sub_co_i32 s33, s14, s29
	scratch_load_b64 v[8:9], off, s34
	s_lshl_b32 s31, s33, 8
	s_mov_b32 s35, 0
	s_mov_b32 s36, s30
	s_mov_b32 s37, s29
.LBB104_28:                             ;   Parent Loop BB104_3 Depth=1
                                        ;     Parent Loop BB104_15 Depth=2
                                        ;       Parent Loop BB104_18 Depth=3
                                        ;         Parent Loop BB104_26 Depth=4
                                        ; =>        This Inner Loop Header: Depth=5
	scratch_load_b64 v[12:13], off, s35
	v_mov_b32_e32 v14, s36
	s_add_co_i32 s37, s37, -1
	s_add_co_i32 s36, s36, -8
	s_wait_xcnt 0x0
	s_add_co_i32 s35, s35, 8
	s_cmp_eq_u32 s37, 0
	ds_load_b64 v[14:15], v14
	s_wait_loadcnt_dscnt 0x0
	v_fma_f64 v[8:9], -v[12:13], v[14:15], v[8:9]
	scratch_store_b64 off, v[8:9], s34
	s_cbranch_scc0 .LBB104_28
; %bb.29:                               ;   in Loop: Header=BB104_26 Depth=4
	s_wait_xcnt 0x0
	s_branch .LBB104_25
.LBB104_30:                             ;   in Loop: Header=BB104_26 Depth=4
                                        ; implicit-def: $vgpr8_vgpr9
                                        ; implicit-def: $sgpr33
                                        ; implicit-def: $sgpr31
	s_cbranch_execz .LBB104_25
; %bb.31:                               ;   in Loop: Header=BB104_26 Depth=4
	scratch_load_b64 v[8:9], off, off
	s_mov_b32 s31, s28
	s_mov_b32 s33, s14
	s_branch .LBB104_25
.LBB104_32:                             ;   in Loop: Header=BB104_3 Depth=1
	s_mov_b32 s14, 0
.LBB104_33:                             ;   in Loop: Header=BB104_3 Depth=1
	s_delay_alu instid0(SALU_CYCLE_1)
	s_and_b32 vcc_lo, exec_lo, s14
	s_cbranch_vccz .LBB104_54
; %bb.34:                               ;   in Loop: Header=BB104_3 Depth=1
	s_mov_b32 s14, 0
	s_mov_b32 s16, 0
	s_branch .LBB104_36
.LBB104_35:                             ;   in Loop: Header=BB104_36 Depth=2
	s_cmp_lt_i32 s14, s1
	s_cselect_b32 s17, -1, 0
	s_add_co_i32 s18, s16, 1
	s_cmp_lt_u32 s16, 2
	s_cselect_b32 s16, -1, 0
	s_delay_alu instid0(SALU_CYCLE_1) | instskip(NEXT) | instid1(SALU_CYCLE_1)
	s_and_b32 s16, s17, s16
	s_and_not1_b32 vcc_lo, exec_lo, s16
	s_mov_b32 s16, s18
	s_cbranch_vccnz .LBB104_54
.LBB104_36:                             ;   Parent Loop BB104_3 Depth=1
                                        ; =>  This Loop Header: Depth=2
                                        ;       Child Loop BB104_39 Depth 3
                                        ;         Child Loop BB104_40 Depth 4
                                        ;         Child Loop BB104_43 Depth 4
                                        ;           Child Loop BB104_44 Depth 5
                                        ;         Child Loop BB104_48 Depth 4
                                        ;           Child Loop BB104_50 Depth 5
	s_load_b32 s17, s[8:9], s16 offset:0x0 scale_offset
	s_wait_kmcnt 0x0
	s_add_co_i32 s18, s17, -1
	s_delay_alu instid0(SALU_CYCLE_1) | instskip(NEXT) | instid1(SALU_CYCLE_1)
	s_add_co_i32 s23, s18, s14
	s_cmp_ge_i32 s23, s1
	s_cbranch_scc1 .LBB104_35
; %bb.37:                               ;   in Loop: Header=BB104_36 Depth=2
	v_lshl_add_u32 v11, s14, 8, v10
	s_max_i32 s23, s17, 1
	s_lshl_b32 s24, s17, 8
	s_lshl_b32 s25, s14, 3
	;; [unrolled: 1-line block ×3, first 2 shown]
	s_mul_i32 s27, s14, 0x108
	s_mul_i32 s28, s17, 0x108
	s_branch .LBB104_39
.LBB104_38:                             ;   in Loop: Header=BB104_39 Depth=3
	s_add_co_i32 s14, s14, s17
	v_add_nc_u32_e32 v11, s24, v11
	s_add_co_i32 s29, s18, s14
	s_add_co_i32 s25, s25, s26
	;; [unrolled: 1-line block ×3, first 2 shown]
	s_cmp_ge_i32 s29, s1
	s_cbranch_scc1 .LBB104_35
.LBB104_39:                             ;   Parent Loop BB104_3 Depth=1
                                        ;     Parent Loop BB104_36 Depth=2
                                        ; =>    This Loop Header: Depth=3
                                        ;         Child Loop BB104_40 Depth 4
                                        ;         Child Loop BB104_43 Depth 4
                                        ;           Child Loop BB104_44 Depth 5
                                        ;         Child Loop BB104_48 Depth 4
                                        ;           Child Loop BB104_50 Depth 5
	s_wait_xcnt 0x0
	v_mov_b32_e32 v8, v11
	s_mov_b32 s29, 0
	s_mov_b32 s30, s23
.LBB104_40:                             ;   Parent Loop BB104_3 Depth=1
                                        ;     Parent Loop BB104_36 Depth=2
                                        ;       Parent Loop BB104_39 Depth=3
                                        ; =>      This Inner Loop Header: Depth=4
	ds_load_b64 v[12:13], v8
	v_add_nc_u32_e32 v8, 0x100, v8
	s_add_co_i32 s30, s30, -1
	s_wait_dscnt 0x0
	scratch_store_b64 off, v[12:13], s29
	s_wait_xcnt 0x0
	s_add_co_i32 s29, s29, 8
	s_cmp_eq_u32 s30, 0
	s_cbranch_scc0 .LBB104_40
; %bb.41:                               ;   in Loop: Header=BB104_39 Depth=3
	s_cmp_lt_i32 s14, 1
	s_cbranch_scc1 .LBB104_46
; %bb.42:                               ;   in Loop: Header=BB104_39 Depth=3
	s_mov_b32 s29, 0
	s_mov_b32 s30, s25
.LBB104_43:                             ;   Parent Loop BB104_3 Depth=1
                                        ;     Parent Loop BB104_36 Depth=2
                                        ;       Parent Loop BB104_39 Depth=3
                                        ; =>      This Loop Header: Depth=4
                                        ;           Child Loop BB104_44 Depth 5
	v_lshl_add_u32 v8, s29, 8, v10
	s_mov_b32 s31, 0
	s_mov_b32 s33, s30
	;; [unrolled: 1-line block ×3, first 2 shown]
	ds_load_b64 v[8:9], v8
.LBB104_44:                             ;   Parent Loop BB104_3 Depth=1
                                        ;     Parent Loop BB104_36 Depth=2
                                        ;       Parent Loop BB104_39 Depth=3
                                        ;         Parent Loop BB104_43 Depth=4
                                        ; =>        This Inner Loop Header: Depth=5
	scratch_load_b64 v[12:13], off, s31
	v_mov_b32_e32 v14, s33
	s_add_co_i32 s34, s34, -1
	s_add_co_i32 s33, s33, 8
	ds_load_b64 v[14:15], v14
	s_wait_loadcnt_dscnt 0x0
	v_fma_f64 v[12:13], -v[8:9], v[14:15], v[12:13]
	scratch_store_b64 off, v[12:13], s31
	s_wait_xcnt 0x0
	s_add_co_i32 s31, s31, 8
	s_cmp_eq_u32 s34, 0
	s_cbranch_scc0 .LBB104_44
; %bb.45:                               ;   in Loop: Header=BB104_43 Depth=4
	s_add_co_i32 s29, s29, 1
	s_addk_co_i32 s30, 0x100
	s_cmp_eq_u32 s29, s14
	s_cbranch_scc0 .LBB104_43
.LBB104_46:                             ;   in Loop: Header=BB104_39 Depth=3
	s_mov_b32 s29, 0
	s_mov_b32 s30, s27
	s_branch .LBB104_48
.LBB104_47:                             ;   in Loop: Header=BB104_48 Depth=4
	s_add_co_i32 s31, s29, s14
	s_add_co_i32 s30, s30, 8
	s_wait_xcnt 0x0
	s_mul_i32 s33, s31, 0x108
	s_delay_alu instid0(SALU_CYCLE_1) | instskip(SKIP_2) | instid1(SALU_CYCLE_1)
	v_mov_b32_e32 v12, s33
	s_lshl_b32 s33, s29, 3
	s_add_co_i32 s29, s29, 1
	s_cmp_eq_u32 s29, s23
	ds_load_b64 v[12:13], v12
	s_wait_loadcnt_dscnt 0x0
	v_mul_f64_e32 v[8:9], v[12:13], v[8:9]
	v_lshl_add_u32 v12, s31, 8, v10
	scratch_store_b64 off, v[8:9], s33
	ds_store_b64 v12, v[8:9]
	s_cbranch_scc1 .LBB104_38
.LBB104_48:                             ;   Parent Loop BB104_3 Depth=1
                                        ;     Parent Loop BB104_36 Depth=2
                                        ;       Parent Loop BB104_39 Depth=3
                                        ; =>      This Loop Header: Depth=4
                                        ;           Child Loop BB104_50 Depth 5
	s_cmp_lg_u32 s29, 0
	s_cbranch_scc0 .LBB104_52
; %bb.49:                               ;   in Loop: Header=BB104_48 Depth=4
	s_lshl_b32 s31, s29, 3
	s_wait_xcnt 0x0
	s_mov_b32 s33, 0
	scratch_load_b64 v[8:9], off, s31
	s_mov_b32 s34, s30
	s_mov_b32 s35, s29
.LBB104_50:                             ;   Parent Loop BB104_3 Depth=1
                                        ;     Parent Loop BB104_36 Depth=2
                                        ;       Parent Loop BB104_39 Depth=3
                                        ;         Parent Loop BB104_48 Depth=4
                                        ; =>        This Inner Loop Header: Depth=5
	scratch_load_b64 v[12:13], off, s33
	v_mov_b32_e32 v14, s34
	s_add_co_i32 s35, s35, -1
	s_addk_co_i32 s34, 0x100
	s_wait_xcnt 0x0
	s_add_co_i32 s33, s33, 8
	s_cmp_eq_u32 s35, 0
	ds_load_b64 v[14:15], v14
	s_wait_loadcnt_dscnt 0x0
	v_fma_f64 v[8:9], -v[12:13], v[14:15], v[8:9]
	scratch_store_b64 off, v[8:9], s31
	s_cbranch_scc0 .LBB104_50
; %bb.51:                               ;   in Loop: Header=BB104_48 Depth=4
	s_wait_xcnt 0x0
	s_branch .LBB104_47
.LBB104_52:                             ;   in Loop: Header=BB104_48 Depth=4
                                        ; implicit-def: $vgpr8_vgpr9
	s_cbranch_execz .LBB104_47
; %bb.53:                               ;   in Loop: Header=BB104_48 Depth=4
	scratch_load_b64 v[8:9], off, off
	s_branch .LBB104_47
.LBB104_54:                             ;   in Loop: Header=BB104_3 Depth=1
	; wave barrier
	s_wait_storecnt_dscnt 0x0
	s_wait_xcnt 0x0
	s_and_saveexec_b32 s14, s12
	s_cbranch_execz .LBB104_2
; %bb.55:                               ;   in Loop: Header=BB104_3 Depth=1
	v_mov_b32_e32 v8, v10
	s_mov_b32 s16, s1
.LBB104_56:                             ;   Parent Loop BB104_3 Depth=1
                                        ; =>  This Inner Loop Header: Depth=2
	ds_load_b64 v[12:13], v8
	v_add_nc_u32_e32 v8, 0x100, v8
	s_add_co_i32 s16, s16, -1
	s_delay_alu instid0(SALU_CYCLE_1)
	s_cmp_lg_u32 s16, 0
	s_wait_dscnt 0x0
	global_store_b64 v[6:7], v[12:13], off
	s_wait_xcnt 0x0
	v_add_nc_u64_e32 v[6:7], 8, v[6:7]
	s_cbranch_scc1 .LBB104_56
	s_branch .LBB104_2
.LBB104_57:
	s_endpgm
	.section	.rodata,"a",@progbits
	.p2align	6, 0x0
	.amdhsa_kernel _ZL38rocblas_trsm_small_left_device_sharedBILi32ELi32ELb1EddPKdPdEv13rocblas_fill_18rocblas_operation_17rocblas_diagonal_iiT3_T4_lilT5_lili
		.amdhsa_group_segment_fixed_size 16384
		.amdhsa_private_segment_fixed_size 272
		.amdhsa_kernarg_size 360
		.amdhsa_user_sgpr_count 2
		.amdhsa_user_sgpr_dispatch_ptr 0
		.amdhsa_user_sgpr_queue_ptr 0
		.amdhsa_user_sgpr_kernarg_segment_ptr 1
		.amdhsa_user_sgpr_dispatch_id 0
		.amdhsa_user_sgpr_kernarg_preload_length 0
		.amdhsa_user_sgpr_kernarg_preload_offset 0
		.amdhsa_user_sgpr_private_segment_size 0
		.amdhsa_wavefront_size32 1
		.amdhsa_uses_dynamic_stack 0
		.amdhsa_enable_private_segment 1
		.amdhsa_system_sgpr_workgroup_id_x 1
		.amdhsa_system_sgpr_workgroup_id_y 0
		.amdhsa_system_sgpr_workgroup_id_z 1
		.amdhsa_system_sgpr_workgroup_info 0
		.amdhsa_system_vgpr_workitem_id 0
		.amdhsa_next_free_vgpr 161
		.amdhsa_next_free_sgpr 38
		.amdhsa_named_barrier_count 0
		.amdhsa_reserve_vcc 1
		.amdhsa_float_round_mode_32 0
		.amdhsa_float_round_mode_16_64 0
		.amdhsa_float_denorm_mode_32 3
		.amdhsa_float_denorm_mode_16_64 3
		.amdhsa_fp16_overflow 0
		.amdhsa_memory_ordered 1
		.amdhsa_forward_progress 1
		.amdhsa_inst_pref_size 17
		.amdhsa_round_robin_scheduling 0
		.amdhsa_exception_fp_ieee_invalid_op 0
		.amdhsa_exception_fp_denorm_src 0
		.amdhsa_exception_fp_ieee_div_zero 0
		.amdhsa_exception_fp_ieee_overflow 0
		.amdhsa_exception_fp_ieee_underflow 0
		.amdhsa_exception_fp_ieee_inexact 0
		.amdhsa_exception_int_div_zero 0
	.end_amdhsa_kernel
	.section	.text._ZL38rocblas_trsm_small_left_device_sharedBILi32ELi32ELb1EddPKdPdEv13rocblas_fill_18rocblas_operation_17rocblas_diagonal_iiT3_T4_lilT5_lili,"axG",@progbits,_ZL38rocblas_trsm_small_left_device_sharedBILi32ELi32ELb1EddPKdPdEv13rocblas_fill_18rocblas_operation_17rocblas_diagonal_iiT3_T4_lilT5_lili,comdat
.Lfunc_end104:
	.size	_ZL38rocblas_trsm_small_left_device_sharedBILi32ELi32ELb1EddPKdPdEv13rocblas_fill_18rocblas_operation_17rocblas_diagonal_iiT3_T4_lilT5_lili, .Lfunc_end104-_ZL38rocblas_trsm_small_left_device_sharedBILi32ELi32ELb1EddPKdPdEv13rocblas_fill_18rocblas_operation_17rocblas_diagonal_iiT3_T4_lilT5_lili
                                        ; -- End function
	.set _ZL38rocblas_trsm_small_left_device_sharedBILi32ELi32ELb1EddPKdPdEv13rocblas_fill_18rocblas_operation_17rocblas_diagonal_iiT3_T4_lilT5_lili.num_vgpr, 18
	.set _ZL38rocblas_trsm_small_left_device_sharedBILi32ELi32ELb1EddPKdPdEv13rocblas_fill_18rocblas_operation_17rocblas_diagonal_iiT3_T4_lilT5_lili.num_agpr, 0
	.set _ZL38rocblas_trsm_small_left_device_sharedBILi32ELi32ELb1EddPKdPdEv13rocblas_fill_18rocblas_operation_17rocblas_diagonal_iiT3_T4_lilT5_lili.numbered_sgpr, 38
	.set _ZL38rocblas_trsm_small_left_device_sharedBILi32ELi32ELb1EddPKdPdEv13rocblas_fill_18rocblas_operation_17rocblas_diagonal_iiT3_T4_lilT5_lili.num_named_barrier, 0
	.set _ZL38rocblas_trsm_small_left_device_sharedBILi32ELi32ELb1EddPKdPdEv13rocblas_fill_18rocblas_operation_17rocblas_diagonal_iiT3_T4_lilT5_lili.private_seg_size, 272
	.set _ZL38rocblas_trsm_small_left_device_sharedBILi32ELi32ELb1EddPKdPdEv13rocblas_fill_18rocblas_operation_17rocblas_diagonal_iiT3_T4_lilT5_lili.uses_vcc, 1
	.set _ZL38rocblas_trsm_small_left_device_sharedBILi32ELi32ELb1EddPKdPdEv13rocblas_fill_18rocblas_operation_17rocblas_diagonal_iiT3_T4_lilT5_lili.uses_flat_scratch, 0
	.set _ZL38rocblas_trsm_small_left_device_sharedBILi32ELi32ELb1EddPKdPdEv13rocblas_fill_18rocblas_operation_17rocblas_diagonal_iiT3_T4_lilT5_lili.has_dyn_sized_stack, 0
	.set _ZL38rocblas_trsm_small_left_device_sharedBILi32ELi32ELb1EddPKdPdEv13rocblas_fill_18rocblas_operation_17rocblas_diagonal_iiT3_T4_lilT5_lili.has_recursion, 0
	.set _ZL38rocblas_trsm_small_left_device_sharedBILi32ELi32ELb1EddPKdPdEv13rocblas_fill_18rocblas_operation_17rocblas_diagonal_iiT3_T4_lilT5_lili.has_indirect_call, 0
	.section	.AMDGPU.csdata,"",@progbits
; Kernel info:
; codeLenInByte = 2076
; TotalNumSgprs: 40
; NumVgprs: 18
; ScratchSize: 272
; MemoryBound: 0
; FloatMode: 240
; IeeeMode: 1
; LDSByteSize: 16384 bytes/workgroup (compile time only)
; SGPRBlocks: 0
; VGPRBlocks: 10
; NumSGPRsForWavesPerEU: 40
; NumVGPRsForWavesPerEU: 161
; NamedBarCnt: 0
; Occupancy: 5
; WaveLimiterHint : 0
; COMPUTE_PGM_RSRC2:SCRATCH_EN: 1
; COMPUTE_PGM_RSRC2:USER_SGPR: 2
; COMPUTE_PGM_RSRC2:TRAP_HANDLER: 0
; COMPUTE_PGM_RSRC2:TGID_X_EN: 1
; COMPUTE_PGM_RSRC2:TGID_Y_EN: 0
; COMPUTE_PGM_RSRC2:TGID_Z_EN: 1
; COMPUTE_PGM_RSRC2:TIDIG_COMP_CNT: 0
	.section	.text._ZL30rocblas_trsm_small_left_deviceILi32ELi32ELb1EddPKdPdEv13rocblas_fill_18rocblas_operation_17rocblas_diagonal_iiT3_T4_lilT5_lili,"axG",@progbits,_ZL30rocblas_trsm_small_left_deviceILi32ELi32ELb1EddPKdPdEv13rocblas_fill_18rocblas_operation_17rocblas_diagonal_iiT3_T4_lilT5_lili,comdat
	.globl	_ZL30rocblas_trsm_small_left_deviceILi32ELi32ELb1EddPKdPdEv13rocblas_fill_18rocblas_operation_17rocblas_diagonal_iiT3_T4_lilT5_lili ; -- Begin function _ZL30rocblas_trsm_small_left_deviceILi32ELi32ELb1EddPKdPdEv13rocblas_fill_18rocblas_operation_17rocblas_diagonal_iiT3_T4_lilT5_lili
	.p2align	8
	.type	_ZL30rocblas_trsm_small_left_deviceILi32ELi32ELb1EddPKdPdEv13rocblas_fill_18rocblas_operation_17rocblas_diagonal_iiT3_T4_lilT5_lili,@function
_ZL30rocblas_trsm_small_left_deviceILi32ELi32ELb1EddPKdPdEv13rocblas_fill_18rocblas_operation_17rocblas_diagonal_iiT3_T4_lilT5_lili: ; @_ZL30rocblas_trsm_small_left_deviceILi32ELi32ELb1EddPKdPdEv13rocblas_fill_18rocblas_operation_17rocblas_diagonal_iiT3_T4_lilT5_lili
; %bb.0:
	s_load_b32 s26, s[0:1], 0x60
	s_bfe_u32 s2, ttmp6, 0x40014
	s_lshr_b32 s4, ttmp7, 16
	s_add_co_i32 s2, s2, 1
	s_bfe_u32 s5, ttmp6, 0x40008
	s_mul_i32 s2, s4, s2
	s_getreg_b32 s3, hwreg(HW_REG_IB_STS2, 6, 4)
	s_add_co_i32 s5, s5, s2
	s_cmp_eq_u32 s3, 0
	s_mov_b32 s19, 0
	s_cselect_b32 s2, s4, s5
	s_wait_kmcnt 0x0
	s_cmp_ge_u32 s2, s26
	s_cbranch_scc1 .LBB105_54
; %bb.1:
	s_clause 0x4
	s_load_b96 s[16:18], s[0:1], 0x28
	s_load_b96 s[28:30], s[0:1], 0x48
	s_load_b128 s[8:11], s[0:1], 0x4
	s_load_b32 s22, s[0:1], 0x68
	s_load_b64 s[20:21], s[0:1], 0x58
	s_bfe_u32 s12, ttmp6, 0x4000c
	s_and_b32 s23, ttmp6, 15
	s_add_co_i32 s12, s12, 1
	s_load_b128 s[4:7], s[0:1], 0x18
	s_mul_i32 s24, ttmp9, s12
	s_load_b128 s[12:15], s[0:1], 0x38
	s_wait_xcnt 0x0
	s_add_co_i32 s0, s23, s24
	s_mov_b32 s33, 0
                                        ; implicit-def: $sgpr34
                                        ; implicit-def: $sgpr35
	v_lshlrev_b32_e32 v1, 8, v0
	s_wait_kmcnt 0x0
	s_ashr_i32 s23, s18, 31
	s_ashr_i32 s1, s30, 31
	s_min_i32 s27, s10, 32
	s_lshl_b64 s[24:25], s[28:29], 3
	s_add_co_i32 s10, s22, -1
	s_add_co_i32 s28, s27, -1
	s_cmp_eq_u32 s3, 0
	s_mov_b32 s22, s18
	s_cselect_b32 s3, ttmp9, s0
	s_mov_b32 s0, s30
	s_lshl_b32 s29, s3, 5
	s_add_nc_u64 s[14:15], s[14:15], s[24:25]
	v_or_b32_e32 v2, s29, v0
	s_delay_alu instid0(VALU_DEP_1) | instskip(NEXT) | instid1(VALU_DEP_1)
	v_ashrrev_i32_e32 v3, 31, v2
	v_mul_u64_e32 v[4:5], s[0:1], v[2:3]
	s_sub_co_i32 s0, s11, s29
	s_cmp_ge_u32 s3, s10
	v_lshlrev_b32_e32 v2, 3, v0
	s_cselect_b32 s1, s0, 32
	s_cmp_lg_u32 s9, 0x84
	v_mov_b32_e32 v3, 0
	s_cselect_b32 s29, -1, 0
	s_cmp_lg_u32 s8, 0x6f
	v_add_nc_u32_e32 v14, v2, v1
	s_cselect_b32 s30, -1, 0
	s_lshl_b64 s[16:17], s[16:17], 3
	v_cmp_gt_i32_e64 s0, s27, v0
	s_add_nc_u64 s[6:7], s[6:7], s[16:17]
	v_cmp_gt_i32_e64 s1, s1, v0
	v_add_nc_u64_e32 v[0:1], s[6:7], v[2:3]
	s_lshl_b32 s31, s27, 3
	s_lshl_b64 s[8:9], s[12:13], 3
	s_lshl_b64 s[10:11], s[22:23], 3
	;; [unrolled: 1-line block ×3, first 2 shown]
	s_add_co_i32 s31, s31, -8
	s_get_pc_i64 s[6:7]
	s_add_nc_u64 s[6:7], s[6:7], __const._ZL30rocblas_trsm_small_left_deviceILi32ELi32ELb1EddPKdPdEv13rocblas_fill_18rocblas_operation_17rocblas_diagonal_iiT3_T4_lilT5_lili.step_sizes@rel64+4
	v_lshl_add_u64 v[4:5], v[4:5], 3, s[14:15]
	s_branch .LBB105_4
.LBB105_2:                              ;   in Loop: Header=BB105_4 Depth=1
	s_add_co_i32 s2, s2, 0x10000
	s_delay_alu instid0(SALU_CYCLE_1)
	s_cmp_ge_u32 s2, s26
	s_cselect_b32 s3, -1, 0
	s_and_not1_b32 s35, s35, exec_lo
	s_or_not1_b32 s14, s3, exec_lo
.LBB105_3:                              ;   in Loop: Header=BB105_4 Depth=1
	s_wait_xcnt 0x0
	s_or_b32 exec_lo, exec_lo, s36
	s_delay_alu instid0(SALU_CYCLE_1) | instskip(NEXT) | instid1(SALU_CYCLE_1)
	s_and_b32 s3, exec_lo, s14
	s_or_b32 s33, s3, s33
	s_and_not1_b32 s3, s34, exec_lo
	s_and_b32 s14, s35, exec_lo
	s_delay_alu instid0(SALU_CYCLE_1)
	s_or_b32 s34, s3, s14
	s_and_not1_b32 exec_lo, exec_lo, s33
	s_cbranch_execz .LBB105_53
.LBB105_4:                              ; =>This Loop Header: Depth=1
                                        ;     Child Loop BB105_6 Depth 2
                                        ;     Child Loop BB105_14 Depth 2
                                        ;       Child Loop BB105_17 Depth 3
                                        ;         Child Loop BB105_18 Depth 4
                                        ;         Child Loop BB105_20 Depth 4
                                        ;           Child Loop BB105_21 Depth 5
                                        ;         Child Loop BB105_25 Depth 4
                                        ;           Child Loop BB105_27 Depth 5
                                        ;     Child Loop BB105_35 Depth 2
                                        ;       Child Loop BB105_38 Depth 3
                                        ;         Child Loop BB105_39 Depth 4
                                        ;         Child Loop BB105_42 Depth 4
                                        ;           Child Loop BB105_43 Depth 5
                                        ;         Child Loop BB105_47 Depth 4
                                        ;           Child Loop BB105_49 Depth 5
	s_mov_b32 s3, s19
	s_and_saveexec_b32 s14, s0
	s_cbranch_execz .LBB105_10
; %bb.5:                                ;   in Loop: Header=BB105_4 Depth=1
	v_mad_nc_u64_u32 v[6:7], s8, s2, v[0:1]
	v_mov_b32_e32 v3, v2
	s_mov_b32 s15, s27
	s_delay_alu instid0(VALU_DEP_2)
	v_mad_u32 v7, s9, s2, v7
.LBB105_6:                              ;   Parent Loop BB105_4 Depth=1
                                        ; =>  This Inner Loop Header: Depth=2
	global_load_b64 v[8:9], v[6:7], off
	s_wait_xcnt 0x0
	v_add_nc_u64_e32 v[6:7], s[10:11], v[6:7]
	s_add_co_i32 s15, s15, -1
	s_delay_alu instid0(SALU_CYCLE_1)
	s_cmp_eq_u32 s15, 0
	s_wait_loadcnt 0x0
	ds_store_b64 v3, v[8:9]
	v_add_nc_u32_e32 v3, 0x100, v3
	s_cbranch_scc0 .LBB105_6
; %bb.7:                                ;   in Loop: Header=BB105_4 Depth=1
	v_mov_b64_e32 v[6:7], 1.0
	s_and_b32 vcc_lo, exec_lo, s29
	s_cbranch_vccz .LBB105_9
; %bb.8:                                ;   in Loop: Header=BB105_4 Depth=1
	ds_load_b64 v[6:7], v14
	s_wait_dscnt 0x0
	v_div_scale_f64 v[8:9], null, v[6:7], v[6:7], 1.0
	s_delay_alu instid0(VALU_DEP_1) | instskip(SKIP_1) | instid1(TRANS32_DEP_1)
	v_rcp_f64_e32 v[10:11], v[8:9]
	v_nop
	v_fma_f64 v[12:13], -v[8:9], v[10:11], 1.0
	s_delay_alu instid0(VALU_DEP_1) | instskip(NEXT) | instid1(VALU_DEP_1)
	v_fmac_f64_e32 v[10:11], v[10:11], v[12:13]
	v_fma_f64 v[12:13], -v[8:9], v[10:11], 1.0
	s_delay_alu instid0(VALU_DEP_1) | instskip(SKIP_1) | instid1(VALU_DEP_1)
	v_fmac_f64_e32 v[10:11], v[10:11], v[12:13]
	v_div_scale_f64 v[12:13], vcc_lo, 1.0, v[6:7], 1.0
	v_mul_f64_e32 v[16:17], v[12:13], v[10:11]
	s_delay_alu instid0(VALU_DEP_1) | instskip(NEXT) | instid1(VALU_DEP_1)
	v_fma_f64 v[8:9], -v[8:9], v[16:17], v[12:13]
	v_div_fmas_f64 v[8:9], v[8:9], v[10:11], v[16:17]
	s_delay_alu instid0(VALU_DEP_1)
	v_div_fixup_f64 v[6:7], v[8:9], v[6:7], 1.0
.LBB105_9:                              ;   in Loop: Header=BB105_4 Depth=1
	ds_store_b64 v14, v[6:7]
.LBB105_10:                             ;   in Loop: Header=BB105_4 Depth=1
	s_or_b32 exec_lo, exec_lo, s14
	s_mov_b32 s14, -1
	s_or_b32 s35, s35, exec_lo
	s_wait_dscnt 0x0
	; wave barrier
	s_and_saveexec_b32 s36, s1
	s_cbranch_execz .LBB105_3
; %bb.11:                               ;   in Loop: Header=BB105_4 Depth=1
	s_mul_u64 s[14:15], s[20:21], s[2:3]
	s_and_not1_b32 vcc_lo, exec_lo, s30
	v_lshl_add_u64 v[6:7], s[14:15], 3, v[4:5]
	s_mul_u64 s[14:15], s[12:13], s[2:3]
	s_mov_b32 s3, -1
	s_cbranch_vccnz .LBB105_32
; %bb.12:                               ;   in Loop: Header=BB105_4 Depth=1
	v_add_nc_u64_e32 v[8:9], s[14:15], v[4:5]
	s_mov_b32 s3, 0
	s_mov_b32 s16, s28
	s_branch .LBB105_14
.LBB105_13:                             ;   in Loop: Header=BB105_14 Depth=2
	s_cmp_gt_i32 s16, -1
	s_cselect_b32 s17, -1, 0
	s_add_co_i32 s18, s3, 1
	s_cmp_lt_u32 s3, 2
	s_wait_xcnt 0x0
	s_cselect_b32 s3, -1, 0
	s_delay_alu instid0(SALU_CYCLE_1) | instskip(NEXT) | instid1(SALU_CYCLE_1)
	s_and_b32 s3, s17, s3
	s_and_b32 vcc_lo, exec_lo, s3
	s_mov_b32 s3, s18
	s_cbranch_vccz .LBB105_31
.LBB105_14:                             ;   Parent Loop BB105_4 Depth=1
                                        ; =>  This Loop Header: Depth=2
                                        ;       Child Loop BB105_17 Depth 3
                                        ;         Child Loop BB105_18 Depth 4
                                        ;         Child Loop BB105_20 Depth 4
                                        ;           Child Loop BB105_21 Depth 5
                                        ;         Child Loop BB105_25 Depth 4
                                        ;           Child Loop BB105_27 Depth 5
	s_load_b32 s18, s[6:7], s3 offset:0x0 scale_offset
	s_wait_kmcnt 0x0
	s_add_co_i32 s37, s18, -1
	s_delay_alu instid0(SALU_CYCLE_1)
	s_cmp_lt_i32 s16, s37
	s_cbranch_scc1 .LBB105_13
; %bb.15:                               ;   in Loop: Header=BB105_14 Depth=2
	s_lshl_b32 s17, s16, 8
	s_lshl_b32 s22, s18, 8
	s_max_i32 s38, s18, 1
	s_add_co_i32 s39, s31, s17
	s_sub_co_i32 s40, 0, s22
	s_mul_i32 s41, s16, 0x108
	s_mul_i32 s42, s18, 0xfffffef8
	s_branch .LBB105_17
.LBB105_16:                             ;   in Loop: Header=BB105_17 Depth=3
	s_sub_co_i32 s16, s16, s18
	s_add_co_i32 s39, s39, s40
	s_add_co_i32 s41, s41, s42
	s_cmp_lt_i32 s16, s37
	s_cbranch_scc1 .LBB105_13
.LBB105_17:                             ;   Parent Loop BB105_4 Depth=1
                                        ;     Parent Loop BB105_14 Depth=2
                                        ; =>    This Loop Header: Depth=3
                                        ;         Child Loop BB105_18 Depth 4
                                        ;         Child Loop BB105_20 Depth 4
                                        ;           Child Loop BB105_21 Depth 5
                                        ;         Child Loop BB105_25 Depth 4
                                        ;           Child Loop BB105_27 Depth 5
	s_ashr_i32 s17, s16, 31
	s_mov_b32 s22, 0
	s_wait_xcnt 0x0
	v_lshl_add_u64 v[10:11], s[16:17], 3, v[8:9]
	s_mov_b32 s23, s38
.LBB105_18:                             ;   Parent Loop BB105_4 Depth=1
                                        ;     Parent Loop BB105_14 Depth=2
                                        ;       Parent Loop BB105_17 Depth=3
                                        ; =>      This Inner Loop Header: Depth=4
	global_load_b64 v[12:13], v[10:11], off
	s_wait_xcnt 0x0
	v_add_nc_u64_e32 v[10:11], -8, v[10:11]
	s_add_co_i32 s23, s23, -1
	s_wait_loadcnt 0x0
	v_mul_f64_e32 v[12:13], s[4:5], v[12:13]
	scratch_store_b64 off, v[12:13], s22
	s_wait_xcnt 0x0
	s_add_co_i32 s22, s22, 8
	s_cmp_eq_u32 s23, 0
	s_cbranch_scc0 .LBB105_18
; %bb.19:                               ;   in Loop: Header=BB105_17 Depth=3
	s_cmp_le_i32 s28, s16
	s_mov_b32 s24, s39
	s_mov_b32 s22, s28
	s_cbranch_scc1 .LBB105_23
.LBB105_20:                             ;   Parent Loop BB105_4 Depth=1
                                        ;     Parent Loop BB105_14 Depth=2
                                        ;       Parent Loop BB105_17 Depth=3
                                        ; =>      This Loop Header: Depth=4
                                        ;           Child Loop BB105_21 Depth 5
	s_ashr_i32 s23, s22, 31
	s_mov_b32 s25, s24
	v_lshl_add_u64 v[10:11], s[22:23], 3, v[6:7]
	s_mov_b32 s23, 0
	s_mov_b32 s43, s38
	global_load_b64 v[10:11], v[10:11], off
.LBB105_21:                             ;   Parent Loop BB105_4 Depth=1
                                        ;     Parent Loop BB105_14 Depth=2
                                        ;       Parent Loop BB105_17 Depth=3
                                        ;         Parent Loop BB105_20 Depth=4
                                        ; =>        This Inner Loop Header: Depth=5
	scratch_load_b64 v[12:13], off, s23
	v_mov_b32_e32 v3, s25
	s_add_co_i32 s43, s43, -1
	s_addk_co_i32 s25, 0xff00
	ds_load_b64 v[16:17], v3
	s_wait_loadcnt_dscnt 0x0
	v_fma_f64 v[12:13], -v[10:11], v[16:17], v[12:13]
	scratch_store_b64 off, v[12:13], s23
	s_wait_xcnt 0x0
	s_add_co_i32 s23, s23, 8
	s_cmp_eq_u32 s43, 0
	s_cbranch_scc0 .LBB105_21
; %bb.22:                               ;   in Loop: Header=BB105_20 Depth=4
	s_add_co_i32 s22, s22, -1
	s_add_co_i32 s24, s24, -8
	s_cmp_le_i32 s22, s16
	s_cbranch_scc0 .LBB105_20
.LBB105_23:                             ;   in Loop: Header=BB105_17 Depth=3
	s_mov_b32 s43, 0
	s_mov_b32 s44, s41
	s_branch .LBB105_25
.LBB105_24:                             ;   in Loop: Header=BB105_25 Depth=4
	s_wait_xcnt 0x1
	s_mulk_i32 s24, 0x108
	s_addk_co_i32 s44, 0xff00
	v_mov_b32_e32 v3, s24
	s_lshl_b32 s24, s43, 3
	s_add_co_i32 s43, s43, 1
	s_delay_alu instid0(SALU_CYCLE_1)
	s_cmp_eq_u32 s43, s38
	s_wait_xcnt 0x0
	ds_load_b64 v[12:13], v3
	s_wait_loadcnt_dscnt 0x0
	v_mul_f64_e32 v[10:11], v[12:13], v[10:11]
	v_lshl_add_u64 v[12:13], s[22:23], 3, v[6:7]
	scratch_store_b64 off, v[10:11], s24
	global_store_b64 v[12:13], v[10:11], off
	s_cbranch_scc1 .LBB105_16
.LBB105_25:                             ;   Parent Loop BB105_4 Depth=1
                                        ;     Parent Loop BB105_14 Depth=2
                                        ;       Parent Loop BB105_17 Depth=3
                                        ; =>      This Loop Header: Depth=4
                                        ;           Child Loop BB105_27 Depth 5
	s_cmp_lg_u32 s43, 0
	s_cbranch_scc0 .LBB105_29
; %bb.26:                               ;   in Loop: Header=BB105_25 Depth=4
	s_lshl_b32 s22, s43, 3
	s_mov_b32 s23, 0
	scratch_load_b64 v[10:11], off, s22
	s_mov_b32 s24, s44
	s_mov_b32 s25, s43
.LBB105_27:                             ;   Parent Loop BB105_4 Depth=1
                                        ;     Parent Loop BB105_14 Depth=2
                                        ;       Parent Loop BB105_17 Depth=3
                                        ;         Parent Loop BB105_25 Depth=4
                                        ; =>        This Inner Loop Header: Depth=5
	scratch_load_b64 v[12:13], off, s23
	v_mov_b32_e32 v3, s24
	s_add_co_i32 s25, s25, -1
	s_add_co_i32 s24, s24, -8
	s_wait_xcnt 0x0
	s_add_co_i32 s23, s23, 8
	s_cmp_eq_u32 s25, 0
	ds_load_b64 v[16:17], v3
	s_wait_loadcnt_dscnt 0x0
	v_fma_f64 v[10:11], -v[12:13], v[16:17], v[10:11]
	scratch_store_b64 off, v[10:11], s22
	s_cbranch_scc0 .LBB105_27
; %bb.28:                               ;   in Loop: Header=BB105_25 Depth=4
	s_sub_co_i32 s24, s16, s43
	s_delay_alu instid0(SALU_CYCLE_1)
	s_ashr_i32 s25, s24, 31
	s_wait_xcnt 0x0
	s_mov_b64 s[22:23], s[24:25]
	s_branch .LBB105_24
.LBB105_29:                             ;   in Loop: Header=BB105_25 Depth=4
                                        ; implicit-def: $vgpr10_vgpr11
                                        ; implicit-def: $sgpr24
                                        ; implicit-def: $sgpr22_sgpr23
	s_cbranch_execz .LBB105_24
; %bb.30:                               ;   in Loop: Header=BB105_25 Depth=4
	scratch_load_b64 v[10:11], off, off
	s_mov_b64 s[22:23], s[16:17]
	s_mov_b32 s24, s16
	s_branch .LBB105_24
.LBB105_31:                             ;   in Loop: Header=BB105_4 Depth=1
	s_mov_b32 s3, 0
.LBB105_32:                             ;   in Loop: Header=BB105_4 Depth=1
	s_delay_alu instid0(SALU_CYCLE_1)
	s_and_b32 vcc_lo, exec_lo, s3
	s_cbranch_vccz .LBB105_2
; %bb.33:                               ;   in Loop: Header=BB105_4 Depth=1
	v_add_nc_u64_e32 v[8:9], s[14:15], v[4:5]
	s_mov_b32 s14, 0
	s_mov_b32 s3, 0
	s_branch .LBB105_35
.LBB105_34:                             ;   in Loop: Header=BB105_35 Depth=2
	s_cmp_lt_i32 s14, s27
	s_cselect_b32 s15, -1, 0
	s_add_co_i32 s16, s3, 1
	s_cmp_lt_u32 s3, 2
	s_wait_xcnt 0x0
	s_cselect_b32 s3, -1, 0
	s_delay_alu instid0(SALU_CYCLE_1) | instskip(NEXT) | instid1(SALU_CYCLE_1)
	s_and_b32 s3, s15, s3
	s_and_not1_b32 vcc_lo, exec_lo, s3
	s_mov_b32 s3, s16
	s_cbranch_vccnz .LBB105_2
.LBB105_35:                             ;   Parent Loop BB105_4 Depth=1
                                        ; =>  This Loop Header: Depth=2
                                        ;       Child Loop BB105_38 Depth 3
                                        ;         Child Loop BB105_39 Depth 4
                                        ;         Child Loop BB105_42 Depth 4
                                        ;           Child Loop BB105_43 Depth 5
                                        ;         Child Loop BB105_47 Depth 4
                                        ;           Child Loop BB105_49 Depth 5
	s_load_b32 s16, s[6:7], s3 offset:0x0 scale_offset
	s_wait_kmcnt 0x0
	s_add_co_i32 s24, s16, -1
	s_delay_alu instid0(SALU_CYCLE_1) | instskip(NEXT) | instid1(SALU_CYCLE_1)
	s_add_co_i32 s15, s24, s14
	s_cmp_ge_i32 s15, s27
	s_cbranch_scc1 .LBB105_34
; %bb.36:                               ;   in Loop: Header=BB105_35 Depth=2
	s_ashr_i32 s15, s14, 31
	s_ashr_i32 s17, s16, 31
	v_lshl_add_u64 v[10:11], s[14:15], 3, v[8:9]
	s_max_i32 s25, s16, 1
	s_lshl_b64 s[22:23], s[16:17], 3
	s_lshl_b32 s15, s14, 3
	s_lshl_b32 s17, s16, 3
	s_mul_i32 s37, s14, 0x108
	s_mul_i32 s38, s16, 0x108
	s_branch .LBB105_38
.LBB105_37:                             ;   in Loop: Header=BB105_38 Depth=3
	v_add_nc_u64_e32 v[10:11], s[22:23], v[10:11]
	s_add_co_i32 s14, s14, s16
	s_add_co_i32 s15, s15, s17
	;; [unrolled: 1-line block ×4, first 2 shown]
	s_cmp_ge_i32 s18, s27
	s_cbranch_scc1 .LBB105_34
.LBB105_38:                             ;   Parent Loop BB105_4 Depth=1
                                        ;     Parent Loop BB105_35 Depth=2
                                        ; =>    This Loop Header: Depth=3
                                        ;         Child Loop BB105_39 Depth 4
                                        ;         Child Loop BB105_42 Depth 4
                                        ;           Child Loop BB105_43 Depth 5
                                        ;         Child Loop BB105_47 Depth 4
                                        ;           Child Loop BB105_49 Depth 5
	s_wait_xcnt 0x0
	v_mov_b64_e32 v[12:13], v[10:11]
	s_mov_b32 s18, 0
	s_mov_b32 s39, s25
.LBB105_39:                             ;   Parent Loop BB105_4 Depth=1
                                        ;     Parent Loop BB105_35 Depth=2
                                        ;       Parent Loop BB105_38 Depth=3
                                        ; =>      This Inner Loop Header: Depth=4
	global_load_b64 v[16:17], v[12:13], off
	s_wait_xcnt 0x0
	v_add_nc_u64_e32 v[12:13], 8, v[12:13]
	s_add_co_i32 s39, s39, -1
	s_wait_loadcnt 0x0
	v_mul_f64_e32 v[16:17], s[4:5], v[16:17]
	scratch_store_b64 off, v[16:17], s18
	s_wait_xcnt 0x0
	s_add_co_i32 s18, s18, 8
	s_cmp_eq_u32 s39, 0
	s_cbranch_scc0 .LBB105_39
; %bb.40:                               ;   in Loop: Header=BB105_38 Depth=3
	s_cmp_lt_i32 s14, 1
	s_cbranch_scc1 .LBB105_45
; %bb.41:                               ;   in Loop: Header=BB105_38 Depth=3
	s_mov_b32 s18, 0
	s_mov_b32 s39, s15
.LBB105_42:                             ;   Parent Loop BB105_4 Depth=1
                                        ;     Parent Loop BB105_35 Depth=2
                                        ;       Parent Loop BB105_38 Depth=3
                                        ; =>      This Loop Header: Depth=4
                                        ;           Child Loop BB105_43 Depth 5
	v_lshl_add_u64 v[12:13], s[18:19], 3, v[6:7]
	s_mov_b32 s40, 0
	s_mov_b32 s41, s39
	;; [unrolled: 1-line block ×3, first 2 shown]
	global_load_b64 v[12:13], v[12:13], off
.LBB105_43:                             ;   Parent Loop BB105_4 Depth=1
                                        ;     Parent Loop BB105_35 Depth=2
                                        ;       Parent Loop BB105_38 Depth=3
                                        ;         Parent Loop BB105_42 Depth=4
                                        ; =>        This Inner Loop Header: Depth=5
	scratch_load_b64 v[16:17], off, s40
	v_mov_b32_e32 v3, s41
	s_add_co_i32 s42, s42, -1
	s_add_co_i32 s41, s41, 8
	ds_load_b64 v[18:19], v3
	s_wait_loadcnt_dscnt 0x0
	v_fma_f64 v[16:17], -v[12:13], v[18:19], v[16:17]
	scratch_store_b64 off, v[16:17], s40
	s_wait_xcnt 0x0
	s_add_co_i32 s40, s40, 8
	s_cmp_eq_u32 s42, 0
	s_cbranch_scc0 .LBB105_43
; %bb.44:                               ;   in Loop: Header=BB105_42 Depth=4
	s_add_co_i32 s18, s18, 1
	s_addk_co_i32 s39, 0x100
	s_cmp_eq_u32 s18, s14
	s_cbranch_scc0 .LBB105_42
.LBB105_45:                             ;   in Loop: Header=BB105_38 Depth=3
	s_mov_b32 s18, 0
	s_mov_b32 s39, s37
	s_branch .LBB105_47
.LBB105_46:                             ;   in Loop: Header=BB105_47 Depth=4
	s_add_co_i32 s40, s18, s14
	s_wait_xcnt 0x1
	s_lshl_b32 s42, s18, 3
	s_mul_i32 s41, s40, 0x108
	s_add_co_i32 s18, s18, 1
	v_mov_b32_e32 v3, s41
	s_ashr_i32 s41, s40, 31
	s_add_co_i32 s39, s39, 8
	s_cmp_eq_u32 s18, s25
	s_wait_xcnt 0x0
	ds_load_b64 v[16:17], v3
	s_wait_loadcnt_dscnt 0x0
	v_mul_f64_e32 v[12:13], v[16:17], v[12:13]
	v_lshl_add_u64 v[16:17], s[40:41], 3, v[6:7]
	scratch_store_b64 off, v[12:13], s42
	global_store_b64 v[16:17], v[12:13], off
	s_cbranch_scc1 .LBB105_37
.LBB105_47:                             ;   Parent Loop BB105_4 Depth=1
                                        ;     Parent Loop BB105_35 Depth=2
                                        ;       Parent Loop BB105_38 Depth=3
                                        ; =>      This Loop Header: Depth=4
                                        ;           Child Loop BB105_49 Depth 5
	s_cmp_lg_u32 s18, 0
	s_cbranch_scc0 .LBB105_51
; %bb.48:                               ;   in Loop: Header=BB105_47 Depth=4
	s_lshl_b32 s40, s18, 3
	s_mov_b32 s41, 0
	scratch_load_b64 v[12:13], off, s40
	s_mov_b32 s42, s39
	s_mov_b32 s43, s18
.LBB105_49:                             ;   Parent Loop BB105_4 Depth=1
                                        ;     Parent Loop BB105_35 Depth=2
                                        ;       Parent Loop BB105_38 Depth=3
                                        ;         Parent Loop BB105_47 Depth=4
                                        ; =>        This Inner Loop Header: Depth=5
	scratch_load_b64 v[16:17], off, s41
	v_mov_b32_e32 v3, s42
	s_add_co_i32 s43, s43, -1
	s_addk_co_i32 s42, 0x100
	s_wait_xcnt 0x0
	s_add_co_i32 s41, s41, 8
	s_cmp_eq_u32 s43, 0
	ds_load_b64 v[18:19], v3
	s_wait_loadcnt_dscnt 0x0
	v_fma_f64 v[12:13], -v[16:17], v[18:19], v[12:13]
	scratch_store_b64 off, v[12:13], s40
	s_cbranch_scc0 .LBB105_49
; %bb.50:                               ;   in Loop: Header=BB105_47 Depth=4
	s_wait_xcnt 0x0
	s_branch .LBB105_46
.LBB105_51:                             ;   in Loop: Header=BB105_47 Depth=4
                                        ; implicit-def: $vgpr12_vgpr13
	s_cbranch_execz .LBB105_46
; %bb.52:                               ;   in Loop: Header=BB105_47 Depth=4
	scratch_load_b64 v[12:13], off, off
	s_branch .LBB105_46
.LBB105_53:
	s_or_b32 exec_lo, exec_lo, s33
	s_and_saveexec_b32 s0, s34
	s_delay_alu instid0(SALU_CYCLE_1)
	s_xor_b32 s0, exec_lo, s0
.LBB105_54:
	s_endpgm
	.section	.rodata,"a",@progbits
	.p2align	6, 0x0
	.amdhsa_kernel _ZL30rocblas_trsm_small_left_deviceILi32ELi32ELb1EddPKdPdEv13rocblas_fill_18rocblas_operation_17rocblas_diagonal_iiT3_T4_lilT5_lili
		.amdhsa_group_segment_fixed_size 8192
		.amdhsa_private_segment_fixed_size 272
		.amdhsa_kernarg_size 360
		.amdhsa_user_sgpr_count 2
		.amdhsa_user_sgpr_dispatch_ptr 0
		.amdhsa_user_sgpr_queue_ptr 0
		.amdhsa_user_sgpr_kernarg_segment_ptr 1
		.amdhsa_user_sgpr_dispatch_id 0
		.amdhsa_user_sgpr_kernarg_preload_length 0
		.amdhsa_user_sgpr_kernarg_preload_offset 0
		.amdhsa_user_sgpr_private_segment_size 0
		.amdhsa_wavefront_size32 1
		.amdhsa_uses_dynamic_stack 0
		.amdhsa_enable_private_segment 1
		.amdhsa_system_sgpr_workgroup_id_x 1
		.amdhsa_system_sgpr_workgroup_id_y 0
		.amdhsa_system_sgpr_workgroup_id_z 1
		.amdhsa_system_sgpr_workgroup_info 0
		.amdhsa_system_vgpr_workitem_id 0
		.amdhsa_next_free_vgpr 81
		.amdhsa_next_free_sgpr 45
		.amdhsa_named_barrier_count 0
		.amdhsa_reserve_vcc 1
		.amdhsa_float_round_mode_32 0
		.amdhsa_float_round_mode_16_64 0
		.amdhsa_float_denorm_mode_32 3
		.amdhsa_float_denorm_mode_16_64 3
		.amdhsa_fp16_overflow 0
		.amdhsa_memory_ordered 1
		.amdhsa_forward_progress 1
		.amdhsa_inst_pref_size 16
		.amdhsa_round_robin_scheduling 0
		.amdhsa_exception_fp_ieee_invalid_op 0
		.amdhsa_exception_fp_denorm_src 0
		.amdhsa_exception_fp_ieee_div_zero 0
		.amdhsa_exception_fp_ieee_overflow 0
		.amdhsa_exception_fp_ieee_underflow 0
		.amdhsa_exception_fp_ieee_inexact 0
		.amdhsa_exception_int_div_zero 0
	.end_amdhsa_kernel
	.section	.text._ZL30rocblas_trsm_small_left_deviceILi32ELi32ELb1EddPKdPdEv13rocblas_fill_18rocblas_operation_17rocblas_diagonal_iiT3_T4_lilT5_lili,"axG",@progbits,_ZL30rocblas_trsm_small_left_deviceILi32ELi32ELb1EddPKdPdEv13rocblas_fill_18rocblas_operation_17rocblas_diagonal_iiT3_T4_lilT5_lili,comdat
.Lfunc_end105:
	.size	_ZL30rocblas_trsm_small_left_deviceILi32ELi32ELb1EddPKdPdEv13rocblas_fill_18rocblas_operation_17rocblas_diagonal_iiT3_T4_lilT5_lili, .Lfunc_end105-_ZL30rocblas_trsm_small_left_deviceILi32ELi32ELb1EddPKdPdEv13rocblas_fill_18rocblas_operation_17rocblas_diagonal_iiT3_T4_lilT5_lili
                                        ; -- End function
	.set _ZL30rocblas_trsm_small_left_deviceILi32ELi32ELb1EddPKdPdEv13rocblas_fill_18rocblas_operation_17rocblas_diagonal_iiT3_T4_lilT5_lili.num_vgpr, 20
	.set _ZL30rocblas_trsm_small_left_deviceILi32ELi32ELb1EddPKdPdEv13rocblas_fill_18rocblas_operation_17rocblas_diagonal_iiT3_T4_lilT5_lili.num_agpr, 0
	.set _ZL30rocblas_trsm_small_left_deviceILi32ELi32ELb1EddPKdPdEv13rocblas_fill_18rocblas_operation_17rocblas_diagonal_iiT3_T4_lilT5_lili.numbered_sgpr, 45
	.set _ZL30rocblas_trsm_small_left_deviceILi32ELi32ELb1EddPKdPdEv13rocblas_fill_18rocblas_operation_17rocblas_diagonal_iiT3_T4_lilT5_lili.num_named_barrier, 0
	.set _ZL30rocblas_trsm_small_left_deviceILi32ELi32ELb1EddPKdPdEv13rocblas_fill_18rocblas_operation_17rocblas_diagonal_iiT3_T4_lilT5_lili.private_seg_size, 272
	.set _ZL30rocblas_trsm_small_left_deviceILi32ELi32ELb1EddPKdPdEv13rocblas_fill_18rocblas_operation_17rocblas_diagonal_iiT3_T4_lilT5_lili.uses_vcc, 1
	.set _ZL30rocblas_trsm_small_left_deviceILi32ELi32ELb1EddPKdPdEv13rocblas_fill_18rocblas_operation_17rocblas_diagonal_iiT3_T4_lilT5_lili.uses_flat_scratch, 0
	.set _ZL30rocblas_trsm_small_left_deviceILi32ELi32ELb1EddPKdPdEv13rocblas_fill_18rocblas_operation_17rocblas_diagonal_iiT3_T4_lilT5_lili.has_dyn_sized_stack, 0
	.set _ZL30rocblas_trsm_small_left_deviceILi32ELi32ELb1EddPKdPdEv13rocblas_fill_18rocblas_operation_17rocblas_diagonal_iiT3_T4_lilT5_lili.has_recursion, 0
	.set _ZL30rocblas_trsm_small_left_deviceILi32ELi32ELb1EddPKdPdEv13rocblas_fill_18rocblas_operation_17rocblas_diagonal_iiT3_T4_lilT5_lili.has_indirect_call, 0
	.section	.AMDGPU.csdata,"",@progbits
; Kernel info:
; codeLenInByte = 2000
; TotalNumSgprs: 47
; NumVgprs: 20
; ScratchSize: 272
; MemoryBound: 0
; FloatMode: 240
; IeeeMode: 1
; LDSByteSize: 8192 bytes/workgroup (compile time only)
; SGPRBlocks: 0
; VGPRBlocks: 5
; NumSGPRsForWavesPerEU: 47
; NumVGPRsForWavesPerEU: 81
; NamedBarCnt: 0
; Occupancy: 10
; WaveLimiterHint : 0
; COMPUTE_PGM_RSRC2:SCRATCH_EN: 1
; COMPUTE_PGM_RSRC2:USER_SGPR: 2
; COMPUTE_PGM_RSRC2:TRAP_HANDLER: 0
; COMPUTE_PGM_RSRC2:TGID_X_EN: 1
; COMPUTE_PGM_RSRC2:TGID_Y_EN: 0
; COMPUTE_PGM_RSRC2:TGID_Z_EN: 1
; COMPUTE_PGM_RSRC2:TIDIG_COMP_CNT: 0
	.section	.text._ZL31rocblas_trsm_small_right_deviceIddPKdPdLi32EEv13rocblas_fill_18rocblas_operation_17rocblas_diagonal_iiT0_T1_lilT2_lili,"axG",@progbits,_ZL31rocblas_trsm_small_right_deviceIddPKdPdLi32EEv13rocblas_fill_18rocblas_operation_17rocblas_diagonal_iiT0_T1_lilT2_lili,comdat
	.globl	_ZL31rocblas_trsm_small_right_deviceIddPKdPdLi32EEv13rocblas_fill_18rocblas_operation_17rocblas_diagonal_iiT0_T1_lilT2_lili ; -- Begin function _ZL31rocblas_trsm_small_right_deviceIddPKdPdLi32EEv13rocblas_fill_18rocblas_operation_17rocblas_diagonal_iiT0_T1_lilT2_lili
	.p2align	8
	.type	_ZL31rocblas_trsm_small_right_deviceIddPKdPdLi32EEv13rocblas_fill_18rocblas_operation_17rocblas_diagonal_iiT0_T1_lilT2_lili,@function
_ZL31rocblas_trsm_small_right_deviceIddPKdPdLi32EEv13rocblas_fill_18rocblas_operation_17rocblas_diagonal_iiT0_T1_lilT2_lili: ; @_ZL31rocblas_trsm_small_right_deviceIddPKdPdLi32EEv13rocblas_fill_18rocblas_operation_17rocblas_diagonal_iiT0_T1_lilT2_lili
; %bb.0:
	s_load_b32 s23, s[0:1], 0x60
	s_bfe_u32 s2, ttmp6, 0x40014
	s_lshr_b32 s3, ttmp7, 16
	s_add_co_i32 s2, s2, 1
	s_bfe_u32 s5, ttmp6, 0x40008
	s_mul_i32 s4, s3, s2
	s_getreg_b32 s2, hwreg(HW_REG_IB_STS2, 6, 4)
	s_add_co_i32 s5, s5, s4
	s_cmp_eq_u32 s2, 0
	s_cselect_b32 s24, s3, s5
	s_wait_kmcnt 0x0
	s_cmp_ge_u32 s24, s23
	s_cbranch_scc1 .LBB106_82
; %bb.1:
	s_clause 0x6
	s_load_b96 s[16:18], s[0:1], 0x28
	s_load_b96 s[20:22], s[0:1], 0x48
	s_load_b128 s[12:15], s[0:1], 0x0
	s_load_b32 s25, s[0:1], 0x10
	s_load_b32 s3, s[0:1], 0x68
	s_load_b128 s[4:7], s[0:1], 0x18
	s_load_b64 s[34:35], s[0:1], 0x58
	v_dual_lshlrev_b32 v4, 3, v0 :: v_dual_lshlrev_b32 v1, 8, v0
	v_mov_b64_e32 v[10:11], 1.0
	s_delay_alu instid0(VALU_DEP_2) | instskip(NEXT) | instid1(VALU_DEP_3)
	v_or_b32_e32 v18, 0x2000, v4
	v_add_nc_u32_e32 v20, v4, v1
	s_wait_kmcnt 0x0
	s_ashr_i32 s31, s18, 31
	s_ashr_i32 s19, s22, 31
	s_cmp_lg_u32 s12, 0x7a
	s_mov_b32 s30, s18
	s_cselect_b32 s28, -1, 0
	s_bfe_u32 s8, ttmp6, 0x4000c
	s_min_i32 s26, s25, 32
	s_add_co_i32 s8, s8, 1
	s_and_b32 s9, ttmp6, 15
	s_mul_i32 s8, ttmp9, s8
	s_add_co_i32 s3, s3, -1
	s_add_co_i32 s27, s26, -1
	s_add_co_i32 s29, s9, s8
	s_cmp_eq_u32 s2, 0
	s_load_b128 s[8:11], s[0:1], 0x38
	s_cselect_b32 s2, ttmp9, s29
	s_mov_b32 s18, s22
	s_wait_xcnt 0x0
	s_lshl_b32 s0, s2, 5
	s_delay_alu instid0(SALU_CYCLE_1)
	s_sub_co_i32 s0, s15, s0
	s_cmp_ge_u32 s2, s3
	s_cselect_b32 s0, s0, 32
	s_ashr_i32 s3, s2, 31
	v_cmp_gt_i32_e32 vcc_lo, s0, v0
	s_lshl_b64 s[36:37], s[2:3], 8
	s_cmp_eq_u32 s14, 0x84
	s_cselect_b32 s1, -1, 0
	s_cmp_gt_i32 s25, 0
	s_cselect_b32 s2, -1, 0
	s_cmp_lg_u32 s13, 0x6f
	s_cselect_b32 s3, -1, 0
	s_cmp_lg_u32 s12, 0x79
	s_cselect_b32 s0, -1, 0
	s_or_b32 s14, s28, s3
	s_or_b32 s15, s0, s3
	s_cmp_gt_i32 s25, 3
	v_cndmask_b32_e64 v19, 0, 1, s0
	s_cselect_b32 s22, -1, 0
	s_lshl_b64 s[16:17], s[16:17], 3
	s_lshl_b64 s[20:21], s[20:21], 3
	s_lshl_b32 s29, s26, 8
	v_mov_b32_e32 v5, 0
	s_add_nc_u64 s[6:7], s[6:7], s[16:17]
	s_add_nc_u64 s[16:17], s[36:37], s[20:21]
	v_cmp_gt_i32_e64 s0, s26, v0
	v_or_b32_e32 v0, s29, v4
	s_wait_kmcnt 0x0
	s_add_nc_u64 s[10:11], s[10:11], s[16:17]
	v_add_nc_u64_e32 v[6:7], s[6:7], v[4:5]
	v_add_nc_u64_e32 v[8:9], s[10:11], v[4:5]
	s_mul_i32 s17, s26, 0x108
	v_add_nc_u32_e32 v5, 0x1f00, v0
	s_lshl_b64 s[6:7], s[18:19], 3
	s_lshl_b32 s19, s26, 3
	s_and_b32 s28, vcc_lo, s2
	s_lshl_b64 s[2:3], s[8:9], 3
	s_lshl_b64 s[8:9], s[30:31], 3
	;; [unrolled: 1-line block ×3, first 2 shown]
	s_add_co_i32 s10, s17, 0xfffffee0
	s_add_co_i32 s11, s29, 0xffffff00
	;; [unrolled: 1-line block ×3, first 2 shown]
	s_addk_co_i32 s17, 0xfbf8
	s_add_co_i32 s18, s19, -8
	s_addk_co_i32 s19, 0xfef8
	s_branch .LBB106_3
.LBB106_2:                              ;   in Loop: Header=BB106_3 Depth=1
	s_or_b32 exec_lo, exec_lo, s20
	s_add_co_i32 s24, s24, 0x10000
	s_delay_alu instid0(SALU_CYCLE_1)
	s_cmp_lt_u32 s24, s23
	s_cbranch_scc0 .LBB106_82
.LBB106_3:                              ; =>This Loop Header: Depth=1
                                        ;     Child Loop BB106_5 Depth 2
                                        ;     Child Loop BB106_10 Depth 2
	;; [unrolled: 1-line block ×3, first 2 shown]
                                        ;       Child Loop BB106_17 Depth 3
                                        ;     Child Loop BB106_23 Depth 2
                                        ;       Child Loop BB106_24 Depth 3
                                        ;     Child Loop BB106_28 Depth 2
                                        ;       Child Loop BB106_29 Depth 3
                                        ;     Child Loop BB106_36 Depth 2
                                        ;     Child Loop BB106_41 Depth 2
                                        ;       Child Loop BB106_42 Depth 3
                                        ;       Child Loop BB106_44 Depth 3
                                        ;     Child Loop BB106_48 Depth 2
                                        ;       Child Loop BB106_49 Depth 3
                                        ;     Child Loop BB106_57 Depth 2
                                        ;     Child Loop BB106_62 Depth 2
                                        ;       Child Loop BB106_63 Depth 3
                                        ;       Child Loop BB106_65 Depth 3
                                        ;     Child Loop BB106_70 Depth 2
                                        ;       Child Loop BB106_71 Depth 3
                                        ;     Child Loop BB106_77 Depth 2
	;; [unrolled: 2-line block ×3, first 2 shown]
	s_and_saveexec_b32 s20, s0
	s_cbranch_execz .LBB106_8
; %bb.4:                                ;   in Loop: Header=BB106_3 Depth=1
	v_mad_nc_u64_u32 v[0:1], s2, s24, v[6:7]
	v_mov_b32_e32 v2, v4
	s_mov_b32 s21, s26
	s_delay_alu instid0(VALU_DEP_2)
	v_mad_u32 v1, s3, s24, v1
.LBB106_5:                              ;   Parent Loop BB106_3 Depth=1
                                        ; =>  This Inner Loop Header: Depth=2
	global_load_b64 v[12:13], v[0:1], off
	s_wait_xcnt 0x0
	v_add_nc_u64_e32 v[0:1], s[8:9], v[0:1]
	s_add_co_i32 s21, s21, -1
	s_delay_alu instid0(SALU_CYCLE_1)
	s_cmp_eq_u32 s21, 0
	s_wait_loadcnt 0x0
	ds_store_b64 v2, v[12:13]
	v_add_nc_u32_e32 v2, 0x100, v2
	s_cbranch_scc0 .LBB106_5
; %bb.6:                                ;   in Loop: Header=BB106_3 Depth=1
	s_and_b32 vcc_lo, exec_lo, s1
	s_cbranch_vccz .LBB106_8
; %bb.7:                                ;   in Loop: Header=BB106_3 Depth=1
	ds_store_b64 v20, v[10:11]
.LBB106_8:                              ;   in Loop: Header=BB106_3 Depth=1
	s_or_b32 exec_lo, exec_lo, s20
	v_mad_nc_u64_u32 v[12:13], s12, s24, v[8:9]
	s_delay_alu instid0(VALU_DEP_1)
	v_mad_u32 v13, s13, s24, v13
	s_and_saveexec_b32 s20, s28
	s_cbranch_execz .LBB106_11
; %bb.9:                                ;   in Loop: Header=BB106_3 Depth=1
	s_delay_alu instid0(VALU_DEP_1)
	v_mov_b64_e32 v[0:1], v[12:13]
	v_mov_b32_e32 v2, v18
	s_mov_b32 s21, s25
.LBB106_10:                             ;   Parent Loop BB106_3 Depth=1
                                        ; =>  This Inner Loop Header: Depth=2
	global_load_b64 v[14:15], v[0:1], off
	s_wait_xcnt 0x0
	v_add_nc_u64_e32 v[0:1], s[6:7], v[0:1]
	s_add_co_i32 s21, s21, -1
	s_delay_alu instid0(SALU_CYCLE_1)
	s_cmp_lg_u32 s21, 0
	s_wait_loadcnt 0x0
	v_mul_f64_e32 v[14:15], s[4:5], v[14:15]
	ds_store_b64 v2, v[14:15]
	v_add_nc_u32_e32 v2, 0x100, v2
	s_cbranch_scc1 .LBB106_10
.LBB106_11:                             ;   in Loop: Header=BB106_3 Depth=1
	s_or_b32 exec_lo, exec_lo, s20
	s_delay_alu instid0(SALU_CYCLE_1)
	s_and_b32 vcc_lo, exec_lo, s15
	s_mov_b32 s20, -1
	s_wait_dscnt 0x0
	; wave barrier
	s_cbranch_vccz .LBB106_67
; %bb.12:                               ;   in Loop: Header=BB106_3 Depth=1
	s_and_b32 vcc_lo, exec_lo, s14
	s_cbranch_vccz .LBB106_46
; %bb.13:                               ;   in Loop: Header=BB106_3 Depth=1
	v_cmp_ne_u32_e32 vcc_lo, 1, v19
	s_cbranch_vccnz .LBB106_26
; %bb.14:                               ;   in Loop: Header=BB106_3 Depth=1
	s_and_not1_b32 vcc_lo, exec_lo, s22
	s_mov_b32 s29, 0
	s_cbranch_vccnz .LBB106_20
; %bb.15:                               ;   in Loop: Header=BB106_3 Depth=1
	s_mov_b32 s20, 0
	s_mov_b32 s21, 0
.LBB106_16:                             ;   Parent Loop BB106_3 Depth=1
                                        ; =>  This Loop Header: Depth=2
                                        ;       Child Loop BB106_17 Depth 3
	s_delay_alu instid0(SALU_CYCLE_1) | instskip(SKIP_2) | instid1(SALU_CYCLE_1)
	s_lshl_b32 s30, s21, 8
	s_or_b32 s29, s21, 1
	s_or_b32 s31, s30, 0x300
	v_dual_add_nc_u32 v21, s30, v18 :: v_dual_add_nc_u32 v22, s31, v18
	v_lshl_add_u32 v23, s29, 8, v18
	v_mov_b32_e32 v24, v18
	ds_load_2addr_stride64_b64 v[0:3], v21 offset1:1
	ds_load_b64 v[16:17], v23
	ds_load_b64 v[14:15], v22
	s_cmp_eq_u32 s21, 0
	s_mov_b32 s31, s20
	s_mov_b32 s33, s21
	s_cbranch_scc1 .LBB106_18
.LBB106_17:                             ;   Parent Loop BB106_3 Depth=1
                                        ;     Parent Loop BB106_16 Depth=2
                                        ; =>    This Inner Loop Header: Depth=3
	v_mov_b32_e32 v25, s31
	s_add_co_i32 s33, s33, -1
	s_addk_co_i32 s31, 0x100
	s_cmp_eq_u32 s33, 0
	ds_load_b64 v[34:35], v24
	ds_load_b128 v[26:29], v25
	ds_load_b128 v[30:33], v25 offset:16
	v_add_nc_u32_e32 v24, 0x100, v24
	s_wait_dscnt 0x1
	v_fma_f64 v[0:1], -v[34:35], v[26:27], v[0:1]
	v_fma_f64 v[16:17], -v[34:35], v[28:29], v[16:17]
	s_wait_dscnt 0x0
	v_fma_f64 v[2:3], -v[34:35], v[30:31], v[2:3]
	v_fma_f64 v[14:15], -v[34:35], v[32:33], v[14:15]
	s_cbranch_scc0 .LBB106_17
.LBB106_18:                             ;   in Loop: Header=BB106_16 Depth=2
	s_lshl_b32 s31, s21, 3
	s_lshl_b32 s29, s29, 3
	s_add_co_i32 s30, s31, s30
	s_delay_alu instid0(SALU_CYCLE_1)
	v_dual_mov_b32 v25, s30 :: v_dual_add_nc_u32 v24, 0x200, v21
	s_addk_co_i32 s30, 0x108
	s_add_co_i32 s20, s20, 32
	s_sub_co_i32 s29, s30, s29
	ds_load_b128 v[26:29], v25
	ds_load_b128 v[30:33], v25 offset:16
	s_add_co_i32 s29, s29, s31
	s_wait_dscnt 0x1
	v_div_scale_f64 v[34:35], null, v[26:27], v[26:27], v[0:1]
	v_div_scale_f64 v[40:41], vcc_lo, v[0:1], v[26:27], v[0:1]
	s_delay_alu instid0(VALU_DEP_2) | instskip(SKIP_1) | instid1(TRANS32_DEP_1)
	v_rcp_f64_e32 v[36:37], v[34:35]
	v_nop
	v_fma_f64 v[38:39], -v[34:35], v[36:37], 1.0
	s_delay_alu instid0(VALU_DEP_1) | instskip(NEXT) | instid1(VALU_DEP_1)
	v_fmac_f64_e32 v[36:37], v[36:37], v[38:39]
	v_fma_f64 v[38:39], -v[34:35], v[36:37], 1.0
	s_delay_alu instid0(VALU_DEP_1) | instskip(NEXT) | instid1(VALU_DEP_1)
	v_fmac_f64_e32 v[36:37], v[36:37], v[38:39]
	v_mul_f64_e32 v[38:39], v[40:41], v[36:37]
	s_delay_alu instid0(VALU_DEP_1) | instskip(NEXT) | instid1(VALU_DEP_1)
	v_fma_f64 v[34:35], -v[34:35], v[38:39], v[40:41]
	v_div_fmas_f64 v[34:35], v[34:35], v[36:37], v[38:39]
	s_delay_alu instid0(VALU_DEP_1) | instskip(NEXT) | instid1(VALU_DEP_1)
	v_div_fixup_f64 v[0:1], v[34:35], v[26:27], v[0:1]
	v_fma_f64 v[16:17], -v[0:1], v[28:29], v[16:17]
	ds_load_2addr_b64 v[26:29], v25 offset0:33 offset1:34
	ds_load_b128 v[34:37], v25 offset:528
	s_wait_dscnt 0x2
	v_fma_f64 v[2:3], -v[0:1], v[30:31], v[2:3]
	v_fma_f64 v[14:15], -v[0:1], v[32:33], v[14:15]
	s_wait_dscnt 0x1
	v_div_scale_f64 v[38:39], null, v[26:27], v[26:27], v[16:17]
	v_div_scale_f64 v[44:45], vcc_lo, v[16:17], v[26:27], v[16:17]
	s_delay_alu instid0(VALU_DEP_2) | instskip(SKIP_1) | instid1(TRANS32_DEP_1)
	v_rcp_f64_e32 v[40:41], v[38:39]
	v_nop
	v_fma_f64 v[42:43], -v[38:39], v[40:41], 1.0
	s_delay_alu instid0(VALU_DEP_1) | instskip(NEXT) | instid1(VALU_DEP_1)
	v_fmac_f64_e32 v[40:41], v[40:41], v[42:43]
	v_fma_f64 v[42:43], -v[38:39], v[40:41], 1.0
	s_delay_alu instid0(VALU_DEP_1) | instskip(NEXT) | instid1(VALU_DEP_1)
	v_fmac_f64_e32 v[40:41], v[40:41], v[42:43]
	v_mul_f64_e32 v[42:43], v[44:45], v[40:41]
	s_delay_alu instid0(VALU_DEP_1) | instskip(NEXT) | instid1(VALU_DEP_1)
	v_fma_f64 v[38:39], -v[38:39], v[42:43], v[44:45]
	v_div_fmas_f64 v[38:39], v[38:39], v[40:41], v[42:43]
	s_delay_alu instid0(VALU_DEP_1) | instskip(NEXT) | instid1(VALU_DEP_1)
	v_div_fixup_f64 v[16:17], v[38:39], v[26:27], v[16:17]
	v_fma_f64 v[2:3], -v[16:17], v[28:29], v[2:3]
	s_wait_dscnt 0x0
	s_delay_alu instid0(VALU_DEP_1) | instskip(SKIP_1) | instid1(VALU_DEP_2)
	v_div_scale_f64 v[26:27], null, v[34:35], v[34:35], v[2:3]
	v_div_scale_f64 v[38:39], vcc_lo, v[2:3], v[34:35], v[2:3]
	v_rcp_f64_e32 v[28:29], v[26:27]
	v_nop
	s_delay_alu instid0(TRANS32_DEP_1) | instskip(NEXT) | instid1(VALU_DEP_1)
	v_fma_f64 v[30:31], -v[26:27], v[28:29], 1.0
	v_fmac_f64_e32 v[28:29], v[28:29], v[30:31]
	s_delay_alu instid0(VALU_DEP_1) | instskip(NEXT) | instid1(VALU_DEP_1)
	v_fma_f64 v[30:31], -v[26:27], v[28:29], 1.0
	v_fmac_f64_e32 v[28:29], v[28:29], v[30:31]
	s_delay_alu instid0(VALU_DEP_1) | instskip(NEXT) | instid1(VALU_DEP_1)
	v_mul_f64_e32 v[30:31], v[38:39], v[28:29]
	v_fma_f64 v[26:27], -v[26:27], v[30:31], v[38:39]
	s_delay_alu instid0(VALU_DEP_1)
	v_div_fmas_f64 v[26:27], v[26:27], v[28:29], v[30:31]
	v_mov_b32_e32 v28, s29
	s_add_co_i32 s29, s21, 4
	s_add_co_i32 s21, s21, 7
	ds_load_b64 v[28:29], v28 offset:24
	ds_load_b64 v[30:31], v25 offset:792
	s_cmp_ge_i32 s21, s26
	s_wait_dscnt 0x1
	v_fma_f64 v[14:15], -v[16:17], v[28:29], v[14:15]
	v_div_fixup_f64 v[2:3], v[26:27], v[34:35], v[2:3]
	s_delay_alu instid0(VALU_DEP_1) | instskip(SKIP_1) | instid1(VALU_DEP_1)
	v_fma_f64 v[14:15], -v[2:3], v[36:37], v[14:15]
	s_wait_dscnt 0x0
	v_div_scale_f64 v[26:27], null, v[30:31], v[30:31], v[14:15]
	s_delay_alu instid0(VALU_DEP_1) | instskip(SKIP_1) | instid1(TRANS32_DEP_1)
	v_rcp_f64_e32 v[28:29], v[26:27]
	v_nop
	v_fma_f64 v[32:33], -v[26:27], v[28:29], 1.0
	s_delay_alu instid0(VALU_DEP_1) | instskip(NEXT) | instid1(VALU_DEP_1)
	v_fmac_f64_e32 v[28:29], v[28:29], v[32:33]
	v_fma_f64 v[32:33], -v[26:27], v[28:29], 1.0
	s_delay_alu instid0(VALU_DEP_1) | instskip(SKIP_1) | instid1(VALU_DEP_1)
	v_fmac_f64_e32 v[28:29], v[28:29], v[32:33]
	v_div_scale_f64 v[32:33], vcc_lo, v[14:15], v[30:31], v[14:15]
	v_mul_f64_e32 v[34:35], v[32:33], v[28:29]
	s_delay_alu instid0(VALU_DEP_1) | instskip(NEXT) | instid1(VALU_DEP_1)
	v_fma_f64 v[26:27], -v[26:27], v[34:35], v[32:33]
	v_div_fmas_f64 v[26:27], v[26:27], v[28:29], v[34:35]
	s_delay_alu instid0(VALU_DEP_1)
	v_div_fixup_f64 v[14:15], v[26:27], v[30:31], v[14:15]
	ds_store_b64 v21, v[0:1]
	ds_store_b64 v23, v[16:17]
	;; [unrolled: 1-line block ×4, first 2 shown]
	s_cbranch_scc1 .LBB106_20
; %bb.19:                               ;   in Loop: Header=BB106_16 Depth=2
	s_mov_b32 s21, s29
	s_branch .LBB106_16
.LBB106_20:                             ;   in Loop: Header=BB106_3 Depth=1
	s_cmp_ge_i32 s29, s26
	s_cbranch_scc1 .LBB106_25
; %bb.21:                               ;   in Loop: Header=BB106_3 Depth=1
	s_lshl_b32 s20, s29, 3
	s_branch .LBB106_23
.LBB106_22:                             ;   in Loop: Header=BB106_23 Depth=2
	s_lshl_b32 s30, s29, 3
	s_add_co_i32 s29, s29, 1
	s_add_co_i32 s21, s30, s21
	s_add_co_i32 s20, s20, 8
	v_mov_b32_e32 v3, s21
	s_cmp_ge_i32 s29, s26
	ds_load_b64 v[14:15], v3
	s_wait_dscnt 0x0
	v_div_scale_f64 v[16:17], null, v[14:15], v[14:15], v[0:1]
	s_delay_alu instid0(VALU_DEP_1) | instskip(SKIP_1) | instid1(TRANS32_DEP_1)
	v_rcp_f64_e32 v[22:23], v[16:17]
	v_nop
	v_fma_f64 v[24:25], -v[16:17], v[22:23], 1.0
	s_delay_alu instid0(VALU_DEP_1) | instskip(NEXT) | instid1(VALU_DEP_1)
	v_fmac_f64_e32 v[22:23], v[22:23], v[24:25]
	v_fma_f64 v[24:25], -v[16:17], v[22:23], 1.0
	s_delay_alu instid0(VALU_DEP_1) | instskip(SKIP_1) | instid1(VALU_DEP_1)
	v_fmac_f64_e32 v[22:23], v[22:23], v[24:25]
	v_div_scale_f64 v[24:25], vcc_lo, v[0:1], v[14:15], v[0:1]
	v_mul_f64_e32 v[26:27], v[24:25], v[22:23]
	s_delay_alu instid0(VALU_DEP_1) | instskip(NEXT) | instid1(VALU_DEP_1)
	v_fma_f64 v[16:17], -v[16:17], v[26:27], v[24:25]
	v_div_fmas_f64 v[16:17], v[16:17], v[22:23], v[26:27]
	s_delay_alu instid0(VALU_DEP_1)
	v_div_fixup_f64 v[0:1], v[16:17], v[14:15], v[0:1]
	ds_store_b64 v2, v[0:1]
	s_cbranch_scc1 .LBB106_25
.LBB106_23:                             ;   Parent Loop BB106_3 Depth=1
                                        ; =>  This Loop Header: Depth=2
                                        ;       Child Loop BB106_24 Depth 3
	s_lshl_b32 s21, s29, 8
	s_cmp_eq_u32 s29, 0
	v_dual_mov_b32 v3, v18 :: v_dual_add_nc_u32 v2, s21, v18
	s_mov_b32 s30, s20
	s_mov_b32 s31, s29
	ds_load_b64 v[0:1], v2
	s_cbranch_scc1 .LBB106_22
.LBB106_24:                             ;   Parent Loop BB106_3 Depth=1
                                        ;     Parent Loop BB106_23 Depth=2
                                        ; =>    This Inner Loop Header: Depth=3
	v_mov_b32_e32 v16, s30
	s_add_co_i32 s31, s31, -1
	s_addk_co_i32 s30, 0x100
	s_cmp_eq_u32 s31, 0
	ds_load_b64 v[14:15], v3
	ds_load_b64 v[16:17], v16
	v_add_nc_u32_e32 v3, 0x100, v3
	s_wait_dscnt 0x0
	v_fma_f64 v[0:1], -v[14:15], v[16:17], v[0:1]
	s_cbranch_scc0 .LBB106_24
	s_branch .LBB106_22
.LBB106_25:                             ;   in Loop: Header=BB106_3 Depth=1
	s_mov_b32 s20, 0
.LBB106_26:                             ;   in Loop: Header=BB106_3 Depth=1
	s_delay_alu instid0(SALU_CYCLE_1)
	s_and_b32 vcc_lo, exec_lo, s20
	s_cbranch_vccz .LBB106_45
; %bb.27:                               ;   in Loop: Header=BB106_3 Depth=1
	s_mov_b32 s29, s27
	s_and_not1_b32 vcc_lo, exec_lo, s22
	s_mov_b32 s20, s10
	s_mov_b32 s21, s27
	s_cbranch_vccnz .LBB106_32
.LBB106_28:                             ;   Parent Loop BB106_3 Depth=1
                                        ; =>  This Loop Header: Depth=2
                                        ;       Child Loop BB106_29 Depth 3
	s_add_co_i32 s31, s21, -1
	s_add_co_i32 s33, s21, -3
	v_lshl_add_u32 v21, s21, 8, v18
	s_add_co_i32 s30, s21, -2
	v_lshl_add_u32 v22, s31, 8, v18
	s_lshl_b32 s29, s33, 8
	v_lshl_add_u32 v23, s30, 8, v18
	v_dual_mov_b32 v25, v5 :: v_dual_add_nc_u32 v24, s29, v18
	ds_load_b64 v[16:17], v21
	ds_load_b64 v[14:15], v22
	;; [unrolled: 1-line block ×4, first 2 shown]
	s_cmp_le_i32 s27, s21
	s_mov_b32 s34, s20
	s_mov_b32 s35, s27
	s_cbranch_scc1 .LBB106_30
.LBB106_29:                             ;   Parent Loop BB106_3 Depth=1
                                        ;     Parent Loop BB106_28 Depth=2
                                        ; =>    This Inner Loop Header: Depth=3
	v_mov_b32_e32 v30, s34
	s_add_co_i32 s35, s35, -1
	s_addk_co_i32 s34, 0xff00
	s_cmp_le_i32 s35, s21
	ds_load_b64 v[34:35], v25
	ds_load_2addr_b64 v[26:29], v30 offset0:2 offset1:3
	ds_load_2addr_b64 v[30:33], v30 offset1:1
	v_add_nc_u32_e32 v25, 0xffffff00, v25
	s_wait_dscnt 0x1
	v_fma_f64 v[16:17], -v[34:35], v[28:29], v[16:17]
	v_fma_f64 v[14:15], -v[34:35], v[26:27], v[14:15]
	s_wait_dscnt 0x0
	v_fma_f64 v[2:3], -v[34:35], v[32:33], v[2:3]
	v_fma_f64 v[0:1], -v[34:35], v[30:31], v[0:1]
	s_cbranch_scc0 .LBB106_29
.LBB106_30:                             ;   in Loop: Header=BB106_28 Depth=2
	s_lshl_b32 s34, s21, 3
	s_lshl_b32 s35, s21, 8
	;; [unrolled: 1-line block ×3, first 2 shown]
	s_add_co_i32 s35, s34, s35
	s_sub_co_i32 s20, s20, 32
	s_add_co_i32 s36, s35, -8
	s_sub_co_i32 s35, s35, 24
	v_mov_b32_e32 v25, s36
	s_lshl_b32 s36, s31, 8
	s_lshl_b32 s31, s31, 3
	s_add_co_i32 s36, s34, s36
	ds_load_2addr_b64 v[26:29], v25 offset1:1
	s_add_co_i32 s36, s36, -8
	s_delay_alu instid0(SALU_CYCLE_1) | instskip(NEXT) | instid1(SALU_CYCLE_1)
	s_sub_co_i32 s31, s36, s31
	s_add_co_i32 s31, s31, s33
	s_wait_dscnt 0x0
	v_div_scale_f64 v[32:33], null, v[28:29], v[28:29], v[16:17]
	v_div_scale_f64 v[38:39], vcc_lo, v[16:17], v[28:29], v[16:17]
	s_delay_alu instid0(VALU_DEP_2) | instskip(SKIP_1) | instid1(TRANS32_DEP_1)
	v_rcp_f64_e32 v[34:35], v[32:33]
	v_nop
	v_fma_f64 v[36:37], -v[32:33], v[34:35], 1.0
	s_delay_alu instid0(VALU_DEP_1) | instskip(NEXT) | instid1(VALU_DEP_1)
	v_fmac_f64_e32 v[34:35], v[34:35], v[36:37]
	v_fma_f64 v[36:37], -v[32:33], v[34:35], 1.0
	s_delay_alu instid0(VALU_DEP_1) | instskip(NEXT) | instid1(VALU_DEP_1)
	v_fmac_f64_e32 v[34:35], v[34:35], v[36:37]
	v_dual_mul_f64 v[36:37], v[38:39], v[34:35] :: v_dual_mov_b32 v25, s36
	s_delay_alu instid0(VALU_DEP_1)
	v_fma_f64 v[32:33], -v[32:33], v[36:37], v[38:39]
	ds_load_b64 v[30:31], v25
	v_mov_b32_e32 v25, s31
	s_lshl_b32 s31, s30, 8
	s_lshl_b32 s30, s30, 3
	s_add_co_i32 s31, s34, s31
	s_add_co_i32 s34, s34, s29
	s_sub_co_i32 s30, s31, s30
	s_sub_co_i32 s29, s34, 24
	s_add_co_i32 s30, s30, s33
	s_delay_alu instid0(SALU_CYCLE_1) | instskip(SKIP_1) | instid1(VALU_DEP_1)
	s_add_co_i32 s30, s30, -16
	v_div_fmas_f64 v[32:33], v[32:33], v[34:35], v[36:37]
	v_div_fixup_f64 v[32:33], v[32:33], v[28:29], v[16:17]
	s_delay_alu instid0(VALU_DEP_1) | instskip(SKIP_1) | instid1(VALU_DEP_1)
	v_fma_f64 v[34:35], -v[32:33], v[26:27], v[14:15]
	s_wait_dscnt 0x0
	v_div_scale_f64 v[14:15], null, v[30:31], v[30:31], v[34:35]
	v_div_scale_f64 v[28:29], vcc_lo, v[34:35], v[30:31], v[34:35]
	s_delay_alu instid0(VALU_DEP_2) | instskip(SKIP_1) | instid1(TRANS32_DEP_1)
	v_rcp_f64_e32 v[16:17], v[14:15]
	v_nop
	v_fma_f64 v[26:27], -v[14:15], v[16:17], 1.0
	s_delay_alu instid0(VALU_DEP_1) | instskip(NEXT) | instid1(VALU_DEP_1)
	v_fmac_f64_e32 v[16:17], v[16:17], v[26:27]
	v_fma_f64 v[26:27], -v[14:15], v[16:17], 1.0
	s_delay_alu instid0(VALU_DEP_1) | instskip(NEXT) | instid1(VALU_DEP_1)
	v_fmac_f64_e32 v[16:17], v[16:17], v[26:27]
	v_mul_f64_e32 v[26:27], v[28:29], v[16:17]
	s_delay_alu instid0(VALU_DEP_1) | instskip(NEXT) | instid1(VALU_DEP_1)
	v_fma_f64 v[14:15], -v[14:15], v[26:27], v[28:29]
	v_div_fmas_f64 v[36:37], v[14:15], v[16:17], v[26:27]
	v_mov_b32_e32 v14, s35
	ds_load_2addr_b64 v[26:29], v25 offset1:1
	v_mov_b32_e32 v25, s30
	ds_load_2addr_b64 v[14:17], v14 offset1:1
	s_wait_dscnt 0x0
	v_fma_f64 v[2:3], -v[32:33], v[16:17], v[2:3]
	v_fma_f64 v[0:1], -v[32:33], v[14:15], v[0:1]
	v_div_fixup_f64 v[16:17], v[36:37], v[30:31], v[34:35]
	s_delay_alu instid0(VALU_DEP_1)
	v_fma_f64 v[2:3], -v[16:17], v[28:29], v[2:3]
	ds_load_2addr_b64 v[28:31], v25 offset1:1
	v_dual_fma_f64 v[0:1], -v[16:17], v[26:27], v[0:1] :: v_dual_mov_b32 v25, s29
	s_add_co_i32 s29, s21, -4
	s_cmp_lt_i32 s21, 7
	ds_load_b64 v[34:35], v25
	s_wait_dscnt 0x1
	v_div_scale_f64 v[36:37], null, v[30:31], v[30:31], v[2:3]
	v_div_scale_f64 v[42:43], vcc_lo, v[2:3], v[30:31], v[2:3]
	s_delay_alu instid0(VALU_DEP_2) | instskip(SKIP_1) | instid1(TRANS32_DEP_1)
	v_rcp_f64_e32 v[38:39], v[36:37]
	v_nop
	v_fma_f64 v[40:41], -v[36:37], v[38:39], 1.0
	s_delay_alu instid0(VALU_DEP_1) | instskip(NEXT) | instid1(VALU_DEP_1)
	v_fmac_f64_e32 v[38:39], v[38:39], v[40:41]
	v_fma_f64 v[40:41], -v[36:37], v[38:39], 1.0
	s_delay_alu instid0(VALU_DEP_1) | instskip(NEXT) | instid1(VALU_DEP_1)
	v_fmac_f64_e32 v[38:39], v[38:39], v[40:41]
	v_mul_f64_e32 v[40:41], v[42:43], v[38:39]
	s_delay_alu instid0(VALU_DEP_1) | instskip(NEXT) | instid1(VALU_DEP_1)
	v_fma_f64 v[36:37], -v[36:37], v[40:41], v[42:43]
	v_div_fmas_f64 v[14:15], v[36:37], v[38:39], v[40:41]
	s_delay_alu instid0(VALU_DEP_1) | instskip(NEXT) | instid1(VALU_DEP_1)
	v_div_fixup_f64 v[2:3], v[14:15], v[30:31], v[2:3]
	v_fma_f64 v[0:1], -v[2:3], v[28:29], v[0:1]
	s_wait_dscnt 0x0
	s_delay_alu instid0(VALU_DEP_1) | instskip(NEXT) | instid1(VALU_DEP_1)
	v_div_scale_f64 v[14:15], null, v[34:35], v[34:35], v[0:1]
	v_rcp_f64_e32 v[26:27], v[14:15]
	v_nop
	s_delay_alu instid0(TRANS32_DEP_1) | instskip(NEXT) | instid1(VALU_DEP_1)
	v_fma_f64 v[28:29], -v[14:15], v[26:27], 1.0
	v_fmac_f64_e32 v[26:27], v[26:27], v[28:29]
	s_delay_alu instid0(VALU_DEP_1) | instskip(NEXT) | instid1(VALU_DEP_1)
	v_fma_f64 v[28:29], -v[14:15], v[26:27], 1.0
	v_fmac_f64_e32 v[26:27], v[26:27], v[28:29]
	v_div_scale_f64 v[28:29], vcc_lo, v[0:1], v[34:35], v[0:1]
	s_delay_alu instid0(VALU_DEP_1) | instskip(NEXT) | instid1(VALU_DEP_1)
	v_mul_f64_e32 v[30:31], v[28:29], v[26:27]
	v_fma_f64 v[14:15], -v[14:15], v[30:31], v[28:29]
	s_delay_alu instid0(VALU_DEP_1) | instskip(NEXT) | instid1(VALU_DEP_1)
	v_div_fmas_f64 v[14:15], v[14:15], v[26:27], v[30:31]
	v_div_fixup_f64 v[0:1], v[14:15], v[34:35], v[0:1]
	ds_store_b64 v21, v[32:33]
	ds_store_b64 v22, v[16:17]
	;; [unrolled: 1-line block ×4, first 2 shown]
	s_cbranch_scc1 .LBB106_32
; %bb.31:                               ;   in Loop: Header=BB106_28 Depth=2
	s_mov_b32 s21, s29
	s_branch .LBB106_28
.LBB106_32:                             ;   in Loop: Header=BB106_3 Depth=1
	s_cmp_lt_i32 s29, 0
	s_cbranch_scc1 .LBB106_45
; %bb.33:                               ;   in Loop: Header=BB106_3 Depth=1
	s_bitcmp1_b32 s29, 0
	s_cselect_b32 s20, -1, 0
	s_delay_alu instid0(SALU_CYCLE_1)
	s_and_b32 vcc_lo, exec_lo, s20
	s_mov_b32 s20, s29
	s_cbranch_vccnz .LBB106_38
; %bb.34:                               ;   in Loop: Header=BB106_3 Depth=1
	s_lshl_b32 s20, s29, 8
	s_cmp_le_i32 s27, s29
	v_add_nc_u32_e32 v2, s20, v18
	ds_load_b64 v[0:1], v2
	s_cbranch_scc1 .LBB106_37
; %bb.35:                               ;   in Loop: Header=BB106_3 Depth=1
	v_mov_b32_e32 v3, v5
	s_lshl_b32 s21, s29, 3
	s_mov_b32 s30, s27
	s_add_co_i32 s21, s11, s21
.LBB106_36:                             ;   Parent Loop BB106_3 Depth=1
                                        ; =>  This Inner Loop Header: Depth=2
	s_delay_alu instid0(SALU_CYCLE_1)
	v_mov_b32_e32 v16, s21
	s_add_co_i32 s30, s30, -1
	s_addk_co_i32 s21, 0xff00
	s_cmp_gt_i32 s30, s29
	ds_load_b64 v[14:15], v3
	ds_load_b64 v[16:17], v16
	v_add_nc_u32_e32 v3, 0xffffff00, v3
	s_wait_dscnt 0x0
	v_fma_f64 v[0:1], -v[14:15], v[16:17], v[0:1]
	s_cbranch_scc1 .LBB106_36
.LBB106_37:                             ;   in Loop: Header=BB106_3 Depth=1
	s_lshl_b32 s21, s29, 3
	s_delay_alu instid0(SALU_CYCLE_1) | instskip(NEXT) | instid1(SALU_CYCLE_1)
	s_add_co_i32 s20, s21, s20
	v_mov_b32_e32 v3, s20
	s_add_co_i32 s20, s29, -1
	ds_load_b64 v[14:15], v3
	s_wait_dscnt 0x0
	v_div_scale_f64 v[16:17], null, v[14:15], v[14:15], v[0:1]
	s_delay_alu instid0(VALU_DEP_1) | instskip(SKIP_1) | instid1(TRANS32_DEP_1)
	v_rcp_f64_e32 v[22:23], v[16:17]
	v_nop
	v_fma_f64 v[24:25], -v[16:17], v[22:23], 1.0
	s_delay_alu instid0(VALU_DEP_1) | instskip(NEXT) | instid1(VALU_DEP_1)
	v_fmac_f64_e32 v[22:23], v[22:23], v[24:25]
	v_fma_f64 v[24:25], -v[16:17], v[22:23], 1.0
	s_delay_alu instid0(VALU_DEP_1) | instskip(SKIP_1) | instid1(VALU_DEP_1)
	v_fmac_f64_e32 v[22:23], v[22:23], v[24:25]
	v_div_scale_f64 v[24:25], vcc_lo, v[0:1], v[14:15], v[0:1]
	v_mul_f64_e32 v[26:27], v[24:25], v[22:23]
	s_delay_alu instid0(VALU_DEP_1) | instskip(NEXT) | instid1(VALU_DEP_1)
	v_fma_f64 v[16:17], -v[16:17], v[26:27], v[24:25]
	v_div_fmas_f64 v[16:17], v[16:17], v[22:23], v[26:27]
	s_delay_alu instid0(VALU_DEP_1)
	v_div_fixup_f64 v[0:1], v[16:17], v[14:15], v[0:1]
	ds_store_b64 v2, v[0:1]
.LBB106_38:                             ;   in Loop: Header=BB106_3 Depth=1
	s_cmp_eq_u32 s29, 0
	s_cbranch_scc1 .LBB106_45
; %bb.39:                               ;   in Loop: Header=BB106_3 Depth=1
	s_lshl_b32 s29, s20, 3
	s_delay_alu instid0(SALU_CYCLE_1)
	s_add_co_i32 s21, s11, s29
	s_add_co_i32 s29, s16, s29
	s_branch .LBB106_41
.LBB106_40:                             ;   in Loop: Header=BB106_41 Depth=2
	s_add_co_i32 s30, s30, s31
	s_add_co_i32 s21, s21, -16
	s_add_co_i32 s30, s30, -8
	;; [unrolled: 1-line block ×3, first 2 shown]
	v_mov_b32_e32 v0, s30
	s_add_co_i32 s30, s20, -2
	s_cmp_lt_i32 s20, 2
	s_mov_b32 s20, s30
	ds_load_b64 v[0:1], v0
	s_wait_dscnt 0x0
	v_div_scale_f64 v[16:17], null, v[0:1], v[0:1], v[2:3]
	s_delay_alu instid0(VALU_DEP_1) | instskip(SKIP_1) | instid1(TRANS32_DEP_1)
	v_rcp_f64_e32 v[22:23], v[16:17]
	v_nop
	v_fma_f64 v[24:25], -v[16:17], v[22:23], 1.0
	s_delay_alu instid0(VALU_DEP_1) | instskip(NEXT) | instid1(VALU_DEP_1)
	v_fmac_f64_e32 v[22:23], v[22:23], v[24:25]
	v_fma_f64 v[24:25], -v[16:17], v[22:23], 1.0
	s_delay_alu instid0(VALU_DEP_1) | instskip(SKIP_1) | instid1(VALU_DEP_1)
	v_fmac_f64_e32 v[22:23], v[22:23], v[24:25]
	v_div_scale_f64 v[24:25], vcc_lo, v[2:3], v[0:1], v[2:3]
	v_mul_f64_e32 v[26:27], v[24:25], v[22:23]
	s_delay_alu instid0(VALU_DEP_1) | instskip(NEXT) | instid1(VALU_DEP_1)
	v_fma_f64 v[16:17], -v[16:17], v[26:27], v[24:25]
	v_div_fmas_f64 v[16:17], v[16:17], v[22:23], v[26:27]
	s_delay_alu instid0(VALU_DEP_1)
	v_div_fixup_f64 v[0:1], v[16:17], v[0:1], v[2:3]
	ds_store_b64 v15, v[0:1]
	s_cbranch_scc1 .LBB106_45
.LBB106_41:                             ;   Parent Loop BB106_3 Depth=1
                                        ; =>  This Loop Header: Depth=2
                                        ;       Child Loop BB106_42 Depth 3
                                        ;       Child Loop BB106_44 Depth 3
	s_lshl_b32 s31, s20, 8
	s_cmp_le_i32 s27, s20
	v_dual_add_nc_u32 v14, s31, v18 :: v_dual_mov_b32 v2, v5
	s_mov_b32 s30, s21
	s_mov_b32 s33, s27
	ds_load_b64 v[0:1], v14
	s_cbranch_scc1 .LBB106_43
.LBB106_42:                             ;   Parent Loop BB106_3 Depth=1
                                        ;     Parent Loop BB106_41 Depth=2
                                        ; =>    This Inner Loop Header: Depth=3
	v_mov_b32_e32 v3, s30
	s_add_co_i32 s33, s33, -1
	s_addk_co_i32 s30, 0xff00
	s_cmp_le_i32 s33, s20
	ds_load_b64 v[16:17], v2
	ds_load_b64 v[22:23], v3
	v_add_nc_u32_e32 v2, 0xffffff00, v2
	s_wait_dscnt 0x0
	v_fma_f64 v[0:1], -v[16:17], v[22:23], v[0:1]
	s_cbranch_scc0 .LBB106_42
.LBB106_43:                             ;   in Loop: Header=BB106_41 Depth=2
	s_lshl_b32 s30, s20, 3
	s_mov_b32 s34, s26
	s_add_co_i32 s33, s30, s31
	s_addk_co_i32 s31, 0xff00
	s_delay_alu instid0(SALU_CYCLE_1)
	v_dual_mov_b32 v2, s33 :: v_dual_add_nc_u32 v15, s31, v18
	s_cmp_le_i32 s26, s20
	s_mov_b32 s33, s29
	ds_load_b64 v[16:17], v2
	ds_load_b64 v[2:3], v15
	s_wait_dscnt 0x1
	v_div_scale_f64 v[22:23], null, v[16:17], v[16:17], v[0:1]
	s_delay_alu instid0(VALU_DEP_1) | instskip(SKIP_1) | instid1(TRANS32_DEP_1)
	v_rcp_f64_e32 v[24:25], v[22:23]
	v_nop
	v_fma_f64 v[26:27], -v[22:23], v[24:25], 1.0
	s_delay_alu instid0(VALU_DEP_1) | instskip(NEXT) | instid1(VALU_DEP_1)
	v_fmac_f64_e32 v[24:25], v[24:25], v[26:27]
	v_fma_f64 v[26:27], -v[22:23], v[24:25], 1.0
	s_delay_alu instid0(VALU_DEP_1) | instskip(SKIP_1) | instid1(VALU_DEP_1)
	v_fmac_f64_e32 v[24:25], v[24:25], v[26:27]
	v_div_scale_f64 v[26:27], vcc_lo, v[0:1], v[16:17], v[0:1]
	v_mul_f64_e32 v[28:29], v[26:27], v[24:25]
	s_delay_alu instid0(VALU_DEP_1) | instskip(NEXT) | instid1(VALU_DEP_1)
	v_fma_f64 v[22:23], -v[22:23], v[28:29], v[26:27]
	v_div_fmas_f64 v[22:23], v[22:23], v[24:25], v[28:29]
	s_delay_alu instid0(VALU_DEP_1)
	v_div_fixup_f64 v[16:17], v[22:23], v[16:17], v[0:1]
	v_mov_b32_e32 v0, v5
	ds_store_b64 v14, v[16:17]
	s_cbranch_scc1 .LBB106_40
.LBB106_44:                             ;   Parent Loop BB106_3 Depth=1
                                        ;     Parent Loop BB106_41 Depth=2
                                        ; =>    This Inner Loop Header: Depth=3
	v_mov_b32_e32 v1, s33
	s_add_co_i32 s34, s34, -1
	s_addk_co_i32 s33, 0xff00
	s_cmp_gt_i32 s34, s20
	ds_load_b64 v[16:17], v0
	ds_load_b64 v[22:23], v1
	v_add_nc_u32_e32 v0, 0xffffff00, v0
	s_wait_dscnt 0x0
	v_fma_f64 v[2:3], -v[16:17], v[22:23], v[2:3]
	s_cbranch_scc1 .LBB106_44
	s_branch .LBB106_40
.LBB106_45:                             ;   in Loop: Header=BB106_3 Depth=1
	s_mov_b32 s20, 0
.LBB106_46:                             ;   in Loop: Header=BB106_3 Depth=1
	s_delay_alu instid0(SALU_CYCLE_1)
	s_and_not1_b32 vcc_lo, exec_lo, s20
	s_cbranch_vccnz .LBB106_66
; %bb.47:                               ;   in Loop: Header=BB106_3 Depth=1
	s_mov_b32 s29, s27
	s_and_not1_b32 vcc_lo, exec_lo, s22
	s_mov_b32 s20, s17
	s_mov_b32 s21, s27
	s_cbranch_vccnz .LBB106_53
.LBB106_48:                             ;   Parent Loop BB106_3 Depth=1
                                        ; =>  This Loop Header: Depth=2
                                        ;       Child Loop BB106_49 Depth 3
	s_add_co_i32 s31, s21, -1
	v_lshl_add_u32 v21, s21, 8, v18
	s_add_co_i32 s30, s21, -2
	v_lshl_add_u32 v22, s31, 8, v18
	;; [unrolled: 2-line block ×3, first 2 shown]
	v_lshl_add_u32 v24, s29, 8, v18
	ds_load_b64 v[16:17], v21
	ds_load_b64 v[14:15], v22
	;; [unrolled: 1-line block ×4, first 2 shown]
	v_mov_b32_e32 v25, v5
	s_cmp_le_i32 s27, s21
	s_mov_b32 s33, s20
	s_mov_b32 s34, s27
	s_cbranch_scc1 .LBB106_50
.LBB106_49:                             ;   Parent Loop BB106_3 Depth=1
                                        ;     Parent Loop BB106_48 Depth=2
                                        ; =>    This Inner Loop Header: Depth=3
	v_mov_b32_e32 v30, s33
	s_add_co_i32 s34, s34, -1
	s_add_co_i32 s33, s33, -8
	s_cmp_le_i32 s34, s21
	ds_load_b64 v[34:35], v25
	ds_load_2addr_b64 v[26:29], v30 offset0:64 offset1:96
	ds_load_2addr_b64 v[30:33], v30 offset1:32
	v_add_nc_u32_e32 v25, 0xffffff00, v25
	s_wait_dscnt 0x1
	v_fma_f64 v[16:17], -v[34:35], v[28:29], v[16:17]
	v_fma_f64 v[14:15], -v[34:35], v[26:27], v[14:15]
	s_wait_dscnt 0x0
	v_fma_f64 v[2:3], -v[34:35], v[32:33], v[2:3]
	v_fma_f64 v[0:1], -v[34:35], v[30:31], v[0:1]
	s_cbranch_scc0 .LBB106_49
.LBB106_50:                             ;   in Loop: Header=BB106_48 Depth=2
	s_lshl_b32 s35, s31, 5
	s_lshl_b32 s34, s30, 5
	;; [unrolled: 1-line block ×3, first 2 shown]
; %bb.51:                               ;   in Loop: Header=BB106_48 Depth=2
	s_mul_i32 s36, s21, 0x108
	s_lshl_b32 s35, s35, 3
	v_mov_b32_e32 v25, s36
	s_lshl_b32 s31, s31, 3
	s_lshl_b32 s30, s30, 3
	s_add_co_i32 s31, s35, s31
	s_lshl_b32 s29, s29, 3
	ds_load_b64 v[30:31], v25
	s_addk_co_i32 s20, 0xfc00
	s_wait_dscnt 0x0
	v_div_scale_f64 v[32:33], null, v[30:31], v[30:31], v[16:17]
	v_div_scale_f64 v[38:39], vcc_lo, v[16:17], v[30:31], v[16:17]
	s_delay_alu instid0(VALU_DEP_2) | instskip(SKIP_1) | instid1(TRANS32_DEP_1)
	v_rcp_f64_e32 v[34:35], v[32:33]
	v_nop
	v_fma_f64 v[36:37], -v[32:33], v[34:35], 1.0
	s_delay_alu instid0(VALU_DEP_1) | instskip(NEXT) | instid1(VALU_DEP_1)
	v_fmac_f64_e32 v[34:35], v[34:35], v[36:37]
	v_fma_f64 v[36:37], -v[32:33], v[34:35], 1.0
	s_delay_alu instid0(VALU_DEP_1) | instskip(NEXT) | instid1(VALU_DEP_1)
	v_fmac_f64_e32 v[34:35], v[34:35], v[36:37]
	v_dual_mul_f64 v[36:37], v[38:39], v[34:35] :: v_dual_mov_b32 v25, s31
	s_lshl_b32 s31, s34, 3
	s_lshl_b32 s34, s21, 3
	s_add_co_i32 s30, s31, s30
	s_add_co_i32 s35, s31, s34
	s_delay_alu instid0(VALU_DEP_1) | instskip(SKIP_2) | instid1(VALU_DEP_1)
	v_fma_f64 v[32:33], -v[32:33], v[36:37], v[38:39]
	ds_load_2addr_b64 v[26:29], v25 offset1:1
	v_div_fmas_f64 v[32:33], v[32:33], v[34:35], v[36:37]
	v_div_fixup_f64 v[34:35], v[32:33], v[30:31], v[16:17]
	s_wait_dscnt 0x0
	s_delay_alu instid0(VALU_DEP_1) | instskip(NEXT) | instid1(VALU_DEP_1)
	v_fma_f64 v[28:29], -v[34:35], v[28:29], v[14:15]
	v_div_scale_f64 v[14:15], null, v[26:27], v[26:27], v[28:29]
	v_div_scale_f64 v[32:33], vcc_lo, v[28:29], v[26:27], v[28:29]
	s_delay_alu instid0(VALU_DEP_2) | instskip(SKIP_1) | instid1(TRANS32_DEP_1)
	v_rcp_f64_e32 v[16:17], v[14:15]
	v_nop
	v_fma_f64 v[30:31], -v[14:15], v[16:17], 1.0
	s_delay_alu instid0(VALU_DEP_1) | instskip(NEXT) | instid1(VALU_DEP_1)
	v_fmac_f64_e32 v[16:17], v[16:17], v[30:31]
	v_fma_f64 v[30:31], -v[14:15], v[16:17], 1.0
	s_delay_alu instid0(VALU_DEP_1) | instskip(NEXT) | instid1(VALU_DEP_1)
	v_fmac_f64_e32 v[16:17], v[16:17], v[30:31]
	v_mul_f64_e32 v[30:31], v[32:33], v[16:17]
	s_delay_alu instid0(VALU_DEP_1) | instskip(NEXT) | instid1(VALU_DEP_1)
	v_fma_f64 v[14:15], -v[14:15], v[30:31], v[32:33]
	v_div_fmas_f64 v[30:31], v[14:15], v[16:17], v[30:31]
	v_mov_b32_e32 v14, s35
	ds_load_b64 v[32:33], v14
	v_mov_b32_e32 v14, s30
	s_lshl_b32 s30, s33, 3
	s_delay_alu instid0(SALU_CYCLE_1)
	s_add_co_i32 s29, s30, s29
	s_add_co_i32 s31, s30, s34
	ds_load_2addr_b64 v[14:17], v14 offset1:1
	s_add_co_i32 s31, s31, -8
	s_wait_dscnt 0x1
	v_dual_fma_f64 v[2:3], -v[34:35], v[32:33], v[2:3] :: v_dual_mov_b32 v25, s31
	v_div_fixup_f64 v[36:37], v[30:31], v[26:27], v[28:29]
	s_wait_dscnt 0x0
	s_delay_alu instid0(VALU_DEP_1) | instskip(NEXT) | instid1(VALU_DEP_1)
	v_fma_f64 v[2:3], -v[36:37], v[16:17], v[2:3]
	v_div_scale_f64 v[16:17], null, v[14:15], v[14:15], v[2:3]
	v_div_scale_f64 v[28:29], vcc_lo, v[2:3], v[14:15], v[2:3]
	s_delay_alu instid0(VALU_DEP_2) | instskip(SKIP_1) | instid1(TRANS32_DEP_1)
	v_rcp_f64_e32 v[38:39], v[16:17]
	v_nop
	v_fma_f64 v[26:27], -v[16:17], v[38:39], 1.0
	s_delay_alu instid0(VALU_DEP_1) | instskip(NEXT) | instid1(VALU_DEP_1)
	v_fmac_f64_e32 v[38:39], v[38:39], v[26:27]
	v_fma_f64 v[26:27], -v[16:17], v[38:39], 1.0
	s_delay_alu instid0(VALU_DEP_1) | instskip(NEXT) | instid1(VALU_DEP_1)
	v_fmac_f64_e32 v[38:39], v[38:39], v[26:27]
	v_mul_f64_e32 v[40:41], v[28:29], v[38:39]
	s_delay_alu instid0(VALU_DEP_1)
	v_fma_f64 v[16:17], -v[16:17], v[40:41], v[28:29]
	ds_load_2addr_b64 v[26:29], v25 offset1:1
	v_mov_b32_e32 v25, s29
	s_add_co_i32 s29, s21, -4
	s_cmp_lt_i32 s21, 7
	ds_load_2addr_b64 v[30:33], v25 offset1:1
	s_wait_dscnt 0x1
	v_fma_f64 v[0:1], -v[34:35], v[28:29], v[0:1]
	v_div_fmas_f64 v[16:17], v[16:17], v[38:39], v[40:41]
	s_delay_alu instid0(VALU_DEP_2) | instskip(NEXT) | instid1(VALU_DEP_2)
	v_fma_f64 v[0:1], -v[36:37], v[26:27], v[0:1]
	v_div_fixup_f64 v[2:3], v[16:17], v[14:15], v[2:3]
	s_wait_dscnt 0x0
	s_delay_alu instid0(VALU_DEP_1) | instskip(NEXT) | instid1(VALU_DEP_1)
	v_fma_f64 v[0:1], -v[2:3], v[32:33], v[0:1]
	v_div_scale_f64 v[14:15], null, v[30:31], v[30:31], v[0:1]
	s_delay_alu instid0(VALU_DEP_1) | instskip(SKIP_1) | instid1(TRANS32_DEP_1)
	v_rcp_f64_e32 v[16:17], v[14:15]
	v_nop
	v_fma_f64 v[26:27], -v[14:15], v[16:17], 1.0
	s_delay_alu instid0(VALU_DEP_1) | instskip(NEXT) | instid1(VALU_DEP_1)
	v_fmac_f64_e32 v[16:17], v[16:17], v[26:27]
	v_fma_f64 v[26:27], -v[14:15], v[16:17], 1.0
	s_delay_alu instid0(VALU_DEP_1) | instskip(SKIP_1) | instid1(VALU_DEP_1)
	v_fmac_f64_e32 v[16:17], v[16:17], v[26:27]
	v_div_scale_f64 v[26:27], vcc_lo, v[0:1], v[30:31], v[0:1]
	v_mul_f64_e32 v[28:29], v[26:27], v[16:17]
	s_delay_alu instid0(VALU_DEP_1) | instskip(NEXT) | instid1(VALU_DEP_1)
	v_fma_f64 v[14:15], -v[14:15], v[28:29], v[26:27]
	v_div_fmas_f64 v[14:15], v[14:15], v[16:17], v[28:29]
	s_delay_alu instid0(VALU_DEP_1)
	v_div_fixup_f64 v[0:1], v[14:15], v[30:31], v[0:1]
	ds_store_b64 v21, v[34:35]
	ds_store_b64 v22, v[36:37]
	;; [unrolled: 1-line block ×4, first 2 shown]
	s_cbranch_scc1 .LBB106_53
; %bb.52:                               ;   in Loop: Header=BB106_48 Depth=2
	s_mov_b32 s21, s29
	s_branch .LBB106_48
.LBB106_53:                             ;   in Loop: Header=BB106_3 Depth=1
	s_cmp_lt_i32 s29, 0
	s_cbranch_scc1 .LBB106_66
; %bb.54:                               ;   in Loop: Header=BB106_3 Depth=1
	s_bitcmp1_b32 s29, 0
	s_cselect_b32 s20, -1, 0
	s_delay_alu instid0(SALU_CYCLE_1)
	s_and_b32 vcc_lo, exec_lo, s20
	s_mov_b32 s20, s29
	s_cbranch_vccnz .LBB106_59
; %bb.55:                               ;   in Loop: Header=BB106_3 Depth=1
	v_lshl_add_u32 v2, s29, 8, v18
	s_cmp_le_i32 s27, s29
	ds_load_b64 v[0:1], v2
	s_cbranch_scc1 .LBB106_58
; %bb.56:                               ;   in Loop: Header=BB106_3 Depth=1
	v_mov_b32_e32 v3, v5
	s_lshl_b32 s20, s29, 8
	s_mov_b32 s21, s27
	s_add_co_i32 s20, s18, s20
.LBB106_57:                             ;   Parent Loop BB106_3 Depth=1
                                        ; =>  This Inner Loop Header: Depth=2
	s_delay_alu instid0(SALU_CYCLE_1)
	v_mov_b32_e32 v16, s20
	s_add_co_i32 s21, s21, -1
	s_add_co_i32 s20, s20, -8
	s_cmp_gt_u32 s21, s29
	ds_load_b64 v[14:15], v3
	ds_load_b64 v[16:17], v16
	v_add_nc_u32_e32 v3, 0xffffff00, v3
	s_wait_dscnt 0x0
	v_fma_f64 v[0:1], -v[14:15], v[16:17], v[0:1]
	s_cbranch_scc1 .LBB106_57
.LBB106_58:                             ;   in Loop: Header=BB106_3 Depth=1
	s_mul_i32 s20, s29, 0x108
	s_delay_alu instid0(SALU_CYCLE_1) | instskip(SKIP_4) | instid1(VALU_DEP_1)
	v_mov_b32_e32 v3, s20
	s_add_co_i32 s20, s29, -1
	ds_load_b64 v[14:15], v3
	s_wait_dscnt 0x0
	v_div_scale_f64 v[16:17], null, v[14:15], v[14:15], v[0:1]
	v_rcp_f64_e32 v[22:23], v[16:17]
	v_nop
	s_delay_alu instid0(TRANS32_DEP_1) | instskip(NEXT) | instid1(VALU_DEP_1)
	v_fma_f64 v[24:25], -v[16:17], v[22:23], 1.0
	v_fmac_f64_e32 v[22:23], v[22:23], v[24:25]
	s_delay_alu instid0(VALU_DEP_1) | instskip(NEXT) | instid1(VALU_DEP_1)
	v_fma_f64 v[24:25], -v[16:17], v[22:23], 1.0
	v_fmac_f64_e32 v[22:23], v[22:23], v[24:25]
	v_div_scale_f64 v[24:25], vcc_lo, v[0:1], v[14:15], v[0:1]
	s_delay_alu instid0(VALU_DEP_1) | instskip(NEXT) | instid1(VALU_DEP_1)
	v_mul_f64_e32 v[26:27], v[24:25], v[22:23]
	v_fma_f64 v[16:17], -v[16:17], v[26:27], v[24:25]
	s_delay_alu instid0(VALU_DEP_1) | instskip(NEXT) | instid1(VALU_DEP_1)
	v_div_fmas_f64 v[16:17], v[16:17], v[22:23], v[26:27]
	v_div_fixup_f64 v[0:1], v[16:17], v[14:15], v[0:1]
	ds_store_b64 v2, v[0:1]
.LBB106_59:                             ;   in Loop: Header=BB106_3 Depth=1
	s_cmp_eq_u32 s29, 0
	s_cbranch_scc1 .LBB106_66
; %bb.60:                               ;   in Loop: Header=BB106_3 Depth=1
	s_lshl_b32 s29, s20, 8
	s_delay_alu instid0(SALU_CYCLE_1)
	s_add_co_i32 s21, s18, s29
	s_add_co_i32 s29, s19, s29
	s_branch .LBB106_62
.LBB106_61:                             ;   in Loop: Header=BB106_62 Depth=2
	s_addk_co_i32 s31, 0xfef8
	s_add_co_i32 s20, s20, -2
	v_mov_b32_e32 v0, s31
	s_addk_co_i32 s21, 0xfe00
	s_addk_co_i32 s29, 0xfe00
	s_cmp_eq_u32 s30, 0
	ds_load_b64 v[0:1], v0
	s_wait_dscnt 0x0
	v_div_scale_f64 v[16:17], null, v[0:1], v[0:1], v[2:3]
	s_delay_alu instid0(VALU_DEP_1) | instskip(SKIP_1) | instid1(TRANS32_DEP_1)
	v_rcp_f64_e32 v[22:23], v[16:17]
	v_nop
	v_fma_f64 v[24:25], -v[16:17], v[22:23], 1.0
	s_delay_alu instid0(VALU_DEP_1) | instskip(NEXT) | instid1(VALU_DEP_1)
	v_fmac_f64_e32 v[22:23], v[22:23], v[24:25]
	v_fma_f64 v[24:25], -v[16:17], v[22:23], 1.0
	s_delay_alu instid0(VALU_DEP_1) | instskip(SKIP_1) | instid1(VALU_DEP_1)
	v_fmac_f64_e32 v[22:23], v[22:23], v[24:25]
	v_div_scale_f64 v[24:25], vcc_lo, v[2:3], v[0:1], v[2:3]
	v_mul_f64_e32 v[26:27], v[24:25], v[22:23]
	s_delay_alu instid0(VALU_DEP_1) | instskip(NEXT) | instid1(VALU_DEP_1)
	v_fma_f64 v[16:17], -v[16:17], v[26:27], v[24:25]
	v_div_fmas_f64 v[16:17], v[16:17], v[22:23], v[26:27]
	s_delay_alu instid0(VALU_DEP_1)
	v_div_fixup_f64 v[0:1], v[16:17], v[0:1], v[2:3]
	ds_store_b64 v15, v[0:1]
	s_cbranch_scc1 .LBB106_66
.LBB106_62:                             ;   Parent Loop BB106_3 Depth=1
                                        ; =>  This Loop Header: Depth=2
                                        ;       Child Loop BB106_63 Depth 3
                                        ;       Child Loop BB106_65 Depth 3
	v_lshl_add_u32 v14, s20, 8, v18
	v_mov_b32_e32 v2, v5
	s_cmp_le_i32 s27, s20
	s_mov_b32 s30, s21
	s_mov_b32 s31, s27
	ds_load_b64 v[0:1], v14
	s_cbranch_scc1 .LBB106_64
.LBB106_63:                             ;   Parent Loop BB106_3 Depth=1
                                        ;     Parent Loop BB106_62 Depth=2
                                        ; =>    This Inner Loop Header: Depth=3
	v_mov_b32_e32 v3, s30
	s_add_co_i32 s31, s31, -1
	s_add_co_i32 s30, s30, -8
	s_cmp_le_u32 s31, s20
	ds_load_b64 v[16:17], v2
	ds_load_b64 v[22:23], v3
	v_add_nc_u32_e32 v2, 0xffffff00, v2
	s_wait_dscnt 0x0
	v_fma_f64 v[0:1], -v[16:17], v[22:23], v[0:1]
	s_cbranch_scc0 .LBB106_63
.LBB106_64:                             ;   in Loop: Header=BB106_62 Depth=2
	s_mul_i32 s31, s20, 0x108
	s_add_co_i32 s30, s20, -1
	v_mov_b32_e32 v2, s31
	v_lshl_add_u32 v15, s30, 8, v18
	s_cmp_le_i32 s26, s20
	s_mov_b32 s33, s29
	s_mov_b32 s34, s27
	ds_load_b64 v[16:17], v2
	ds_load_b64 v[2:3], v15
	s_wait_dscnt 0x1
	v_div_scale_f64 v[22:23], null, v[16:17], v[16:17], v[0:1]
	s_delay_alu instid0(VALU_DEP_1) | instskip(SKIP_1) | instid1(TRANS32_DEP_1)
	v_rcp_f64_e32 v[24:25], v[22:23]
	v_nop
	v_fma_f64 v[26:27], -v[22:23], v[24:25], 1.0
	s_delay_alu instid0(VALU_DEP_1) | instskip(NEXT) | instid1(VALU_DEP_1)
	v_fmac_f64_e32 v[24:25], v[24:25], v[26:27]
	v_fma_f64 v[26:27], -v[22:23], v[24:25], 1.0
	s_delay_alu instid0(VALU_DEP_1) | instskip(SKIP_1) | instid1(VALU_DEP_1)
	v_fmac_f64_e32 v[24:25], v[24:25], v[26:27]
	v_div_scale_f64 v[26:27], vcc_lo, v[0:1], v[16:17], v[0:1]
	v_mul_f64_e32 v[28:29], v[26:27], v[24:25]
	s_delay_alu instid0(VALU_DEP_1) | instskip(NEXT) | instid1(VALU_DEP_1)
	v_fma_f64 v[22:23], -v[22:23], v[28:29], v[26:27]
	v_div_fmas_f64 v[22:23], v[22:23], v[24:25], v[28:29]
	s_delay_alu instid0(VALU_DEP_1)
	v_div_fixup_f64 v[16:17], v[22:23], v[16:17], v[0:1]
	v_mov_b32_e32 v0, v5
	ds_store_b64 v14, v[16:17]
	s_cbranch_scc1 .LBB106_61
.LBB106_65:                             ;   Parent Loop BB106_3 Depth=1
                                        ;     Parent Loop BB106_62 Depth=2
                                        ; =>    This Inner Loop Header: Depth=3
	v_mov_b32_e32 v1, s33
	s_add_co_i32 s34, s34, -1
	s_add_co_i32 s33, s33, -8
	s_cmp_gt_u32 s34, s30
	ds_load_b64 v[16:17], v0
	ds_load_b64 v[22:23], v1
	v_add_nc_u32_e32 v0, 0xffffff00, v0
	s_wait_dscnt 0x0
	v_fma_f64 v[2:3], -v[16:17], v[22:23], v[2:3]
	s_cbranch_scc1 .LBB106_65
	s_branch .LBB106_61
.LBB106_66:                             ;   in Loop: Header=BB106_3 Depth=1
	s_mov_b32 s20, 0
.LBB106_67:                             ;   in Loop: Header=BB106_3 Depth=1
	s_delay_alu instid0(SALU_CYCLE_1)
	s_and_not1_b32 vcc_lo, exec_lo, s20
	s_cbranch_vccnz .LBB106_79
; %bb.68:                               ;   in Loop: Header=BB106_3 Depth=1
	s_and_not1_b32 vcc_lo, exec_lo, s22
	s_mov_b32 s29, 0
	s_cbranch_vccnz .LBB106_74
; %bb.69:                               ;   in Loop: Header=BB106_3 Depth=1
	s_mov_b32 s20, 0
	s_mov_b32 s21, 0
.LBB106_70:                             ;   Parent Loop BB106_3 Depth=1
                                        ; =>  This Loop Header: Depth=2
                                        ;       Child Loop BB106_71 Depth 3
	s_delay_alu instid0(SALU_CYCLE_1)
	s_or_b32 s31, s21, 1
	v_lshl_add_u32 v21, s21, 8, v18
	s_or_b32 s29, s21, 2
	s_or_b32 s30, s21, 3
	v_lshl_add_u32 v22, s31, 8, v18
	v_lshl_add_u32 v23, s29, 8, v18
	;; [unrolled: 1-line block ×3, first 2 shown]
	ds_load_b64 v[16:17], v21
	ds_load_b64 v[14:15], v22
	ds_load_b64 v[2:3], v23
	ds_load_b64 v[0:1], v24
	v_mov_b32_e32 v25, v18
	s_cmp_eq_u32 s21, 0
	s_mov_b32 s33, s20
	s_mov_b32 s34, s21
	s_cbranch_scc1 .LBB106_72
.LBB106_71:                             ;   Parent Loop BB106_3 Depth=1
                                        ;     Parent Loop BB106_70 Depth=2
                                        ; =>    This Inner Loop Header: Depth=3
	v_mov_b32_e32 v30, s33
	s_add_co_i32 s34, s34, -1
	s_add_co_i32 s33, s33, 8
	s_cmp_eq_u32 s34, 0
	ds_load_b64 v[34:35], v25
	ds_load_2addr_b64 v[26:29], v30 offset1:32
	ds_load_2addr_b64 v[30:33], v30 offset0:64 offset1:96
	v_add_nc_u32_e32 v25, 0x100, v25
	s_wait_dscnt 0x1
	v_fma_f64 v[16:17], -v[34:35], v[26:27], v[16:17]
	v_fma_f64 v[14:15], -v[34:35], v[28:29], v[14:15]
	s_wait_dscnt 0x0
	v_fma_f64 v[2:3], -v[34:35], v[30:31], v[2:3]
	v_fma_f64 v[0:1], -v[34:35], v[32:33], v[0:1]
	s_cbranch_scc0 .LBB106_71
.LBB106_72:                             ;   in Loop: Header=BB106_70 Depth=2
	s_mul_i32 s34, s21, 0x108
	s_lshl_b32 s33, s31, 5
	v_mov_b32_e32 v25, s34
	s_lshl_b32 s33, s33, 3
	s_lshl_b32 s34, s21, 3
	;; [unrolled: 1-line block ×3, first 2 shown]
	s_add_co_i32 s33, s33, s34
	ds_load_b64 v[30:31], v25
	s_lshl_b32 s31, s31, 3
	s_lshl_b32 s29, s29, 3
	;; [unrolled: 1-line block ×3, first 2 shown]
	s_add_co_i32 s29, s31, s29
	s_addk_co_i32 s20, 0x400
	s_wait_dscnt 0x0
	v_div_scale_f64 v[32:33], null, v[30:31], v[30:31], v[16:17]
	v_div_scale_f64 v[38:39], vcc_lo, v[16:17], v[30:31], v[16:17]
	s_delay_alu instid0(VALU_DEP_2) | instskip(SKIP_1) | instid1(TRANS32_DEP_1)
	v_rcp_f64_e32 v[34:35], v[32:33]
	v_nop
	v_fma_f64 v[36:37], -v[32:33], v[34:35], 1.0
	s_delay_alu instid0(VALU_DEP_1) | instskip(NEXT) | instid1(VALU_DEP_1)
	v_fmac_f64_e32 v[34:35], v[34:35], v[36:37]
	v_fma_f64 v[36:37], -v[32:33], v[34:35], 1.0
	s_delay_alu instid0(VALU_DEP_1) | instskip(NEXT) | instid1(VALU_DEP_1)
	v_fmac_f64_e32 v[34:35], v[34:35], v[36:37]
	v_dual_mul_f64 v[36:37], v[38:39], v[34:35] :: v_dual_mov_b32 v25, s33
	s_add_co_i32 s33, s31, s34
	s_delay_alu instid0(VALU_DEP_1) | instskip(SKIP_3) | instid1(SALU_CYCLE_1)
	v_fma_f64 v[32:33], -v[32:33], v[36:37], v[38:39]
	ds_load_b128 v[26:29], v25
	v_mov_b32_e32 v25, s29
	s_lshl_b32 s29, s30, 3
	s_add_co_i32 s29, s29, s34
	v_div_fmas_f64 v[32:33], v[32:33], v[34:35], v[36:37]
	s_delay_alu instid0(VALU_DEP_1) | instskip(SKIP_1) | instid1(VALU_DEP_1)
	v_div_fixup_f64 v[30:31], v[32:33], v[30:31], v[16:17]
	s_wait_dscnt 0x0
	v_fma_f64 v[26:27], -v[30:31], v[26:27], v[14:15]
	s_delay_alu instid0(VALU_DEP_1) | instskip(SKIP_1) | instid1(VALU_DEP_2)
	v_div_scale_f64 v[14:15], null, v[28:29], v[28:29], v[26:27]
	v_div_scale_f64 v[34:35], vcc_lo, v[26:27], v[28:29], v[26:27]
	v_rcp_f64_e32 v[16:17], v[14:15]
	v_nop
	s_delay_alu instid0(TRANS32_DEP_1) | instskip(NEXT) | instid1(VALU_DEP_1)
	v_fma_f64 v[32:33], -v[14:15], v[16:17], 1.0
	v_fmac_f64_e32 v[16:17], v[16:17], v[32:33]
	s_delay_alu instid0(VALU_DEP_1) | instskip(NEXT) | instid1(VALU_DEP_1)
	v_fma_f64 v[32:33], -v[14:15], v[16:17], 1.0
	v_fmac_f64_e32 v[16:17], v[16:17], v[32:33]
	s_delay_alu instid0(VALU_DEP_1) | instskip(NEXT) | instid1(VALU_DEP_1)
	v_mul_f64_e32 v[32:33], v[34:35], v[16:17]
	v_fma_f64 v[14:15], -v[14:15], v[32:33], v[34:35]
	ds_load_b64 v[34:35], v25
	v_mov_b32_e32 v25, s29
	s_add_co_i32 s29, s21, 4
	s_add_co_i32 s21, s21, 7
	s_delay_alu instid0(SALU_CYCLE_1)
	s_cmp_ge_i32 s21, s26
	v_div_fmas_f64 v[32:33], v[14:15], v[16:17], v[32:33]
	v_mov_b32_e32 v14, s33
	ds_load_b128 v[14:17], v14
	s_wait_dscnt 0x0
	v_fma_f64 v[2:3], -v[30:31], v[14:15], v[2:3]
	v_div_fixup_f64 v[32:33], v[32:33], v[28:29], v[26:27]
	s_delay_alu instid0(VALU_DEP_1) | instskip(NEXT) | instid1(VALU_DEP_1)
	v_fma_f64 v[2:3], -v[32:33], v[16:17], v[2:3]
	v_div_scale_f64 v[14:15], null, v[34:35], v[34:35], v[2:3]
	v_div_scale_f64 v[26:27], vcc_lo, v[2:3], v[34:35], v[2:3]
	s_delay_alu instid0(VALU_DEP_2) | instskip(SKIP_1) | instid1(TRANS32_DEP_1)
	v_rcp_f64_e32 v[36:37], v[14:15]
	v_nop
	v_fma_f64 v[16:17], -v[14:15], v[36:37], 1.0
	s_delay_alu instid0(VALU_DEP_1) | instskip(NEXT) | instid1(VALU_DEP_1)
	v_fmac_f64_e32 v[36:37], v[36:37], v[16:17]
	v_fma_f64 v[16:17], -v[14:15], v[36:37], 1.0
	s_delay_alu instid0(VALU_DEP_1) | instskip(NEXT) | instid1(VALU_DEP_1)
	v_fmac_f64_e32 v[36:37], v[36:37], v[16:17]
	v_mul_f64_e32 v[38:39], v[26:27], v[36:37]
	s_delay_alu instid0(VALU_DEP_1)
	v_fma_f64 v[40:41], -v[14:15], v[38:39], v[26:27]
	ds_load_b128 v[14:17], v25
	ds_load_b128 v[26:29], v25 offset:16
	s_wait_dscnt 0x1
	v_fma_f64 v[0:1], -v[30:31], v[14:15], v[0:1]
	v_div_fmas_f64 v[14:15], v[40:41], v[36:37], v[38:39]
	s_delay_alu instid0(VALU_DEP_2) | instskip(NEXT) | instid1(VALU_DEP_2)
	v_fma_f64 v[0:1], -v[32:33], v[16:17], v[0:1]
	v_div_fixup_f64 v[2:3], v[14:15], v[34:35], v[2:3]
	s_wait_dscnt 0x0
	s_delay_alu instid0(VALU_DEP_1) | instskip(NEXT) | instid1(VALU_DEP_1)
	v_fma_f64 v[0:1], -v[2:3], v[26:27], v[0:1]
	v_div_scale_f64 v[14:15], null, v[28:29], v[28:29], v[0:1]
	s_delay_alu instid0(VALU_DEP_1) | instskip(SKIP_1) | instid1(TRANS32_DEP_1)
	v_rcp_f64_e32 v[16:17], v[14:15]
	v_nop
	v_fma_f64 v[26:27], -v[14:15], v[16:17], 1.0
	s_delay_alu instid0(VALU_DEP_1) | instskip(NEXT) | instid1(VALU_DEP_1)
	v_fmac_f64_e32 v[16:17], v[16:17], v[26:27]
	v_fma_f64 v[26:27], -v[14:15], v[16:17], 1.0
	s_delay_alu instid0(VALU_DEP_1) | instskip(SKIP_1) | instid1(VALU_DEP_1)
	v_fmac_f64_e32 v[16:17], v[16:17], v[26:27]
	v_div_scale_f64 v[26:27], vcc_lo, v[0:1], v[28:29], v[0:1]
	v_mul_f64_e32 v[34:35], v[26:27], v[16:17]
	s_delay_alu instid0(VALU_DEP_1) | instskip(NEXT) | instid1(VALU_DEP_1)
	v_fma_f64 v[14:15], -v[14:15], v[34:35], v[26:27]
	v_div_fmas_f64 v[14:15], v[14:15], v[16:17], v[34:35]
	s_delay_alu instid0(VALU_DEP_1)
	v_div_fixup_f64 v[0:1], v[14:15], v[28:29], v[0:1]
	ds_store_b64 v21, v[30:31]
	ds_store_b64 v22, v[32:33]
	;; [unrolled: 1-line block ×4, first 2 shown]
	s_cbranch_scc1 .LBB106_74
; %bb.73:                               ;   in Loop: Header=BB106_70 Depth=2
	s_mov_b32 s21, s29
	s_branch .LBB106_70
.LBB106_74:                             ;   in Loop: Header=BB106_3 Depth=1
	s_cmp_ge_i32 s29, s26
	s_cbranch_scc1 .LBB106_79
; %bb.75:                               ;   in Loop: Header=BB106_3 Depth=1
	s_lshl_b32 s20, s29, 8
	s_branch .LBB106_77
.LBB106_76:                             ;   in Loop: Header=BB106_77 Depth=2
	s_mul_i32 s21, s29, 0x108
	s_add_co_i32 s29, s29, 1
	v_mov_b32_e32 v3, s21
	s_addk_co_i32 s20, 0x100
	s_cmp_ge_i32 s29, s26
	ds_load_b64 v[14:15], v3
	s_wait_dscnt 0x0
	v_div_scale_f64 v[16:17], null, v[14:15], v[14:15], v[0:1]
	s_delay_alu instid0(VALU_DEP_1) | instskip(SKIP_1) | instid1(TRANS32_DEP_1)
	v_rcp_f64_e32 v[22:23], v[16:17]
	v_nop
	v_fma_f64 v[24:25], -v[16:17], v[22:23], 1.0
	s_delay_alu instid0(VALU_DEP_1) | instskip(NEXT) | instid1(VALU_DEP_1)
	v_fmac_f64_e32 v[22:23], v[22:23], v[24:25]
	v_fma_f64 v[24:25], -v[16:17], v[22:23], 1.0
	s_delay_alu instid0(VALU_DEP_1) | instskip(SKIP_1) | instid1(VALU_DEP_1)
	v_fmac_f64_e32 v[22:23], v[22:23], v[24:25]
	v_div_scale_f64 v[24:25], vcc_lo, v[0:1], v[14:15], v[0:1]
	v_mul_f64_e32 v[26:27], v[24:25], v[22:23]
	s_delay_alu instid0(VALU_DEP_1) | instskip(NEXT) | instid1(VALU_DEP_1)
	v_fma_f64 v[16:17], -v[16:17], v[26:27], v[24:25]
	v_div_fmas_f64 v[16:17], v[16:17], v[22:23], v[26:27]
	s_delay_alu instid0(VALU_DEP_1)
	v_div_fixup_f64 v[0:1], v[16:17], v[14:15], v[0:1]
	ds_store_b64 v2, v[0:1]
	s_cbranch_scc1 .LBB106_79
.LBB106_77:                             ;   Parent Loop BB106_3 Depth=1
                                        ; =>  This Loop Header: Depth=2
                                        ;       Child Loop BB106_78 Depth 3
	v_lshl_add_u32 v2, s29, 8, v18
	v_mov_b32_e32 v3, v18
	s_cmp_eq_u32 s29, 0
	s_mov_b32 s21, s20
	s_mov_b32 s30, s29
	ds_load_b64 v[0:1], v2
	s_cbranch_scc1 .LBB106_76
.LBB106_78:                             ;   Parent Loop BB106_3 Depth=1
                                        ;     Parent Loop BB106_77 Depth=2
                                        ; =>    This Inner Loop Header: Depth=3
	v_mov_b32_e32 v16, s21
	s_add_co_i32 s30, s30, -1
	s_add_co_i32 s21, s21, 8
	s_cmp_eq_u32 s30, 0
	ds_load_b64 v[14:15], v3
	ds_load_b64 v[16:17], v16
	v_add_nc_u32_e32 v3, 0x100, v3
	s_wait_dscnt 0x0
	v_fma_f64 v[0:1], -v[14:15], v[16:17], v[0:1]
	s_cbranch_scc0 .LBB106_78
	s_branch .LBB106_76
.LBB106_79:                             ;   in Loop: Header=BB106_3 Depth=1
	s_and_saveexec_b32 s20, s28
	s_cbranch_execz .LBB106_2
; %bb.80:                               ;   in Loop: Header=BB106_3 Depth=1
	v_mov_b32_e32 v0, v18
	s_mov_b32 s21, s25
.LBB106_81:                             ;   Parent Loop BB106_3 Depth=1
                                        ; =>  This Inner Loop Header: Depth=2
	ds_load_b64 v[2:3], v0
	v_add_nc_u32_e32 v0, 0x100, v0
	s_add_co_i32 s21, s21, -1
	s_delay_alu instid0(SALU_CYCLE_1)
	s_cmp_lg_u32 s21, 0
	s_wait_dscnt 0x0
	global_store_b64 v[12:13], v[2:3], off
	s_wait_xcnt 0x0
	v_add_nc_u64_e32 v[12:13], s[6:7], v[12:13]
	s_cbranch_scc1 .LBB106_81
	s_branch .LBB106_2
.LBB106_82:
	s_endpgm
	.section	.rodata,"a",@progbits
	.p2align	6, 0x0
	.amdhsa_kernel _ZL31rocblas_trsm_small_right_deviceIddPKdPdLi32EEv13rocblas_fill_18rocblas_operation_17rocblas_diagonal_iiT0_T1_lilT2_lili
		.amdhsa_group_segment_fixed_size 16384
		.amdhsa_private_segment_fixed_size 0
		.amdhsa_kernarg_size 360
		.amdhsa_user_sgpr_count 2
		.amdhsa_user_sgpr_dispatch_ptr 0
		.amdhsa_user_sgpr_queue_ptr 0
		.amdhsa_user_sgpr_kernarg_segment_ptr 1
		.amdhsa_user_sgpr_dispatch_id 0
		.amdhsa_user_sgpr_kernarg_preload_length 0
		.amdhsa_user_sgpr_kernarg_preload_offset 0
		.amdhsa_user_sgpr_private_segment_size 0
		.amdhsa_wavefront_size32 1
		.amdhsa_uses_dynamic_stack 0
		.amdhsa_enable_private_segment 0
		.amdhsa_system_sgpr_workgroup_id_x 1
		.amdhsa_system_sgpr_workgroup_id_y 0
		.amdhsa_system_sgpr_workgroup_id_z 1
		.amdhsa_system_sgpr_workgroup_info 0
		.amdhsa_system_vgpr_workitem_id 0
		.amdhsa_next_free_vgpr 161
		.amdhsa_next_free_sgpr 38
		.amdhsa_named_barrier_count 0
		.amdhsa_reserve_vcc 1
		.amdhsa_float_round_mode_32 0
		.amdhsa_float_round_mode_16_64 0
		.amdhsa_float_denorm_mode_32 3
		.amdhsa_float_denorm_mode_16_64 3
		.amdhsa_fp16_overflow 0
		.amdhsa_memory_ordered 1
		.amdhsa_forward_progress 1
		.amdhsa_inst_pref_size 50
		.amdhsa_round_robin_scheduling 0
		.amdhsa_exception_fp_ieee_invalid_op 0
		.amdhsa_exception_fp_denorm_src 0
		.amdhsa_exception_fp_ieee_div_zero 0
		.amdhsa_exception_fp_ieee_overflow 0
		.amdhsa_exception_fp_ieee_underflow 0
		.amdhsa_exception_fp_ieee_inexact 0
		.amdhsa_exception_int_div_zero 0
	.end_amdhsa_kernel
	.section	.text._ZL31rocblas_trsm_small_right_deviceIddPKdPdLi32EEv13rocblas_fill_18rocblas_operation_17rocblas_diagonal_iiT0_T1_lilT2_lili,"axG",@progbits,_ZL31rocblas_trsm_small_right_deviceIddPKdPdLi32EEv13rocblas_fill_18rocblas_operation_17rocblas_diagonal_iiT0_T1_lilT2_lili,comdat
.Lfunc_end106:
	.size	_ZL31rocblas_trsm_small_right_deviceIddPKdPdLi32EEv13rocblas_fill_18rocblas_operation_17rocblas_diagonal_iiT0_T1_lilT2_lili, .Lfunc_end106-_ZL31rocblas_trsm_small_right_deviceIddPKdPdLi32EEv13rocblas_fill_18rocblas_operation_17rocblas_diagonal_iiT0_T1_lilT2_lili
                                        ; -- End function
	.set _ZL31rocblas_trsm_small_right_deviceIddPKdPdLi32EEv13rocblas_fill_18rocblas_operation_17rocblas_diagonal_iiT0_T1_lilT2_lili.num_vgpr, 46
	.set _ZL31rocblas_trsm_small_right_deviceIddPKdPdLi32EEv13rocblas_fill_18rocblas_operation_17rocblas_diagonal_iiT0_T1_lilT2_lili.num_agpr, 0
	.set _ZL31rocblas_trsm_small_right_deviceIddPKdPdLi32EEv13rocblas_fill_18rocblas_operation_17rocblas_diagonal_iiT0_T1_lilT2_lili.numbered_sgpr, 38
	.set _ZL31rocblas_trsm_small_right_deviceIddPKdPdLi32EEv13rocblas_fill_18rocblas_operation_17rocblas_diagonal_iiT0_T1_lilT2_lili.num_named_barrier, 0
	.set _ZL31rocblas_trsm_small_right_deviceIddPKdPdLi32EEv13rocblas_fill_18rocblas_operation_17rocblas_diagonal_iiT0_T1_lilT2_lili.private_seg_size, 0
	.set _ZL31rocblas_trsm_small_right_deviceIddPKdPdLi32EEv13rocblas_fill_18rocblas_operation_17rocblas_diagonal_iiT0_T1_lilT2_lili.uses_vcc, 1
	.set _ZL31rocblas_trsm_small_right_deviceIddPKdPdLi32EEv13rocblas_fill_18rocblas_operation_17rocblas_diagonal_iiT0_T1_lilT2_lili.uses_flat_scratch, 0
	.set _ZL31rocblas_trsm_small_right_deviceIddPKdPdLi32EEv13rocblas_fill_18rocblas_operation_17rocblas_diagonal_iiT0_T1_lilT2_lili.has_dyn_sized_stack, 0
	.set _ZL31rocblas_trsm_small_right_deviceIddPKdPdLi32EEv13rocblas_fill_18rocblas_operation_17rocblas_diagonal_iiT0_T1_lilT2_lili.has_recursion, 0
	.set _ZL31rocblas_trsm_small_right_deviceIddPKdPdLi32EEv13rocblas_fill_18rocblas_operation_17rocblas_diagonal_iiT0_T1_lilT2_lili.has_indirect_call, 0
	.section	.AMDGPU.csdata,"",@progbits
; Kernel info:
; codeLenInByte = 6348
; TotalNumSgprs: 40
; NumVgprs: 46
; ScratchSize: 0
; MemoryBound: 0
; FloatMode: 240
; IeeeMode: 1
; LDSByteSize: 16384 bytes/workgroup (compile time only)
; SGPRBlocks: 0
; VGPRBlocks: 10
; NumSGPRsForWavesPerEU: 40
; NumVGPRsForWavesPerEU: 161
; NamedBarCnt: 0
; Occupancy: 5
; WaveLimiterHint : 0
; COMPUTE_PGM_RSRC2:SCRATCH_EN: 0
; COMPUTE_PGM_RSRC2:USER_SGPR: 2
; COMPUTE_PGM_RSRC2:TRAP_HANDLER: 0
; COMPUTE_PGM_RSRC2:TGID_X_EN: 1
; COMPUTE_PGM_RSRC2:TGID_Y_EN: 0
; COMPUTE_PGM_RSRC2:TGID_Z_EN: 1
; COMPUTE_PGM_RSRC2:TIDIG_COMP_CNT: 0
	.section	.text._ZL38rocblas_trsm_small_left_device_sharedBILi64ELi32ELb0EddPKdPdEv13rocblas_fill_18rocblas_operation_17rocblas_diagonal_iiT3_T4_lilT5_lili,"axG",@progbits,_ZL38rocblas_trsm_small_left_device_sharedBILi64ELi32ELb0EddPKdPdEv13rocblas_fill_18rocblas_operation_17rocblas_diagonal_iiT3_T4_lilT5_lili,comdat
	.globl	_ZL38rocblas_trsm_small_left_device_sharedBILi64ELi32ELb0EddPKdPdEv13rocblas_fill_18rocblas_operation_17rocblas_diagonal_iiT3_T4_lilT5_lili ; -- Begin function _ZL38rocblas_trsm_small_left_device_sharedBILi64ELi32ELb0EddPKdPdEv13rocblas_fill_18rocblas_operation_17rocblas_diagonal_iiT3_T4_lilT5_lili
	.p2align	8
	.type	_ZL38rocblas_trsm_small_left_device_sharedBILi64ELi32ELb0EddPKdPdEv13rocblas_fill_18rocblas_operation_17rocblas_diagonal_iiT3_T4_lilT5_lili,@function
_ZL38rocblas_trsm_small_left_device_sharedBILi64ELi32ELb0EddPKdPdEv13rocblas_fill_18rocblas_operation_17rocblas_diagonal_iiT3_T4_lilT5_lili: ; @_ZL38rocblas_trsm_small_left_device_sharedBILi64ELi32ELb0EddPKdPdEv13rocblas_fill_18rocblas_operation_17rocblas_diagonal_iiT3_T4_lilT5_lili
; %bb.0:
	s_load_b32 s15, s[0:1], 0x60
	s_bfe_u32 s2, ttmp6, 0x40014
	s_lshr_b32 s3, ttmp7, 16
	s_add_co_i32 s2, s2, 1
	s_bfe_u32 s5, ttmp6, 0x40008
	s_mul_i32 s4, s3, s2
	s_getreg_b32 s2, hwreg(HW_REG_IB_STS2, 6, 4)
	s_add_co_i32 s5, s5, s4
	s_cmp_eq_u32 s2, 0
	s_cselect_b32 s19, s3, s5
	s_wait_kmcnt 0x0
	s_cmp_ge_u32 s19, s15
	s_cbranch_scc1 .LBB107_57
; %bb.1:
	s_clause 0x4
	s_load_b96 s[12:14], s[0:1], 0x28
	s_load_b96 s[16:18], s[0:1], 0x48
	s_load_b128 s[24:27], s[0:1], 0x4
	s_load_b32 s3, s[0:1], 0x68
	s_load_b64 s[28:29], s[0:1], 0x58
	s_bfe_u32 s8, ttmp6, 0x4000c
	s_load_b128 s[4:7], s[0:1], 0x18
	s_add_co_i32 s8, s8, 1
	s_and_b32 s20, ttmp6, 15
	s_mul_i32 s21, ttmp9, s8
	s_load_b128 s[8:11], s[0:1], 0x38
	s_wait_xcnt 0x0
	s_add_co_i32 s0, s20, s21
	v_dual_lshlrev_b32 v2, 3, v0 :: v_dual_lshlrev_b32 v6, 9, v0
	v_mov_b32_e32 v3, 0
	s_delay_alu instid0(VALU_DEP_2)
	v_or_b32_e32 v10, 0x8000, v2
	s_wait_kmcnt 0x0
	s_ashr_i32 s31, s14, 31
	s_ashr_i32 s23, s18, 31
	s_min_i32 s1, s26, 64
	s_add_co_i32 s3, s3, -1
	s_add_co_i32 s20, s1, -1
	s_cmp_eq_u32 s2, 0
	s_mov_b32 s30, s14
	s_cselect_b32 s0, ttmp9, s0
	s_delay_alu instid0(SALU_CYCLE_1) | instskip(NEXT) | instid1(SALU_CYCLE_1)
	s_lshl_b32 s2, s0, 6
	s_sub_co_i32 s21, s27, s2
	s_cmp_ge_u32 s0, s3
	v_cmp_gt_i32_e64 s0, s1, v0
	s_cselect_b32 s27, s21, 64
	s_ashr_i32 s3, s2, 31
	s_cmp_lg_u32 s25, 0x84
	v_cmp_gt_i32_e32 vcc_lo, s27, v0
	s_cselect_b32 s21, -1, 0
	s_cmp_gt_i32 s26, 0
	s_cselect_b32 s25, -1, 0
	s_cmp_lg_u32 s24, 0x6f
	s_cselect_b32 s22, -1, 0
	s_lshl_b64 s[2:3], s[2:3], 3
	s_lshl_b64 s[16:17], s[16:17], 3
	v_or_b32_e32 v1, s2, v2
	s_add_nc_u64 s[10:11], s[10:11], s[16:17]
	s_delay_alu instid0(VALU_DEP_1) | instid1(SALU_CYCLE_1)
	v_mad_nc_u64_u32 v[4:5], v1, s18, s[10:11]
	s_lshl_b64 s[10:11], s[28:29], 3
	s_delay_alu instid0(VALU_DEP_1)
	v_mad_u32 v5, s3, s18, v5
	s_lshl_b64 s[2:3], s[12:13], 3
	s_lshl_b32 s13, s1, 9
	s_add_nc_u64 s[2:3], s[6:7], s[2:3]
	s_and_b32 s12, vcc_lo, s25
	s_lshl_b64 s[6:7], s[30:31], 3
	s_addk_co_i32 s13, 0xfe00
	s_delay_alu instid0(VALU_DEP_1)
	v_mad_u32 v5, v1, s23, v5
	v_add_nc_u64_e32 v[0:1], s[2:3], v[2:3]
	v_add_nc_u32_e32 v3, v2, v6
	s_lshl_b64 s[2:3], s[8:9], 3
	s_get_pc_i64 s[8:9]
	s_add_nc_u64 s[8:9], s[8:9], __const._ZL38rocblas_trsm_small_left_device_sharedBILi64ELi32ELb0EddPKdPdEv13rocblas_fill_18rocblas_operation_17rocblas_diagonal_iiT3_T4_lilT5_lili.step_sizes@rel64+4
	s_branch .LBB107_3
.LBB107_2:                              ;   in Loop: Header=BB107_3 Depth=1
	s_or_b32 exec_lo, exec_lo, s14
	s_add_co_i32 s19, s19, 0x10000
	s_delay_alu instid0(SALU_CYCLE_1)
	s_cmp_lt_u32 s19, s15
	s_cbranch_scc0 .LBB107_57
.LBB107_3:                              ; =>This Loop Header: Depth=1
                                        ;     Child Loop BB107_5 Depth 2
                                        ;     Child Loop BB107_11 Depth 2
                                        ;     Child Loop BB107_15 Depth 2
                                        ;       Child Loop BB107_18 Depth 3
                                        ;         Child Loop BB107_19 Depth 4
                                        ;         Child Loop BB107_22 Depth 4
                                        ;           Child Loop BB107_23 Depth 5
                                        ;         Child Loop BB107_27 Depth 4
                                        ;           Child Loop BB107_29 Depth 5
                                        ;     Child Loop BB107_37 Depth 2
                                        ;       Child Loop BB107_40 Depth 3
                                        ;         Child Loop BB107_41 Depth 4
                                        ;         Child Loop BB107_43 Depth 4
                                        ;           Child Loop BB107_44 Depth 5
                                        ;         Child Loop BB107_48 Depth 4
                                        ;           Child Loop BB107_50 Depth 5
                                        ;     Child Loop BB107_56 Depth 2
	s_and_saveexec_b32 s14, s0
	s_cbranch_execz .LBB107_9
; %bb.4:                                ;   in Loop: Header=BB107_3 Depth=1
	v_mad_nc_u64_u32 v[6:7], s2, s19, v[0:1]
	v_mov_b32_e32 v8, v2
	s_mov_b32 s16, s1
	s_delay_alu instid0(VALU_DEP_2)
	v_mad_u32 v7, s3, s19, v7
.LBB107_5:                              ;   Parent Loop BB107_3 Depth=1
                                        ; =>  This Inner Loop Header: Depth=2
	global_load_b64 v[12:13], v[6:7], off
	s_wait_xcnt 0x0
	v_add_nc_u64_e32 v[6:7], s[6:7], v[6:7]
	s_add_co_i32 s16, s16, -1
	s_delay_alu instid0(SALU_CYCLE_1)
	s_cmp_eq_u32 s16, 0
	s_wait_loadcnt 0x0
	ds_store_b64 v8, v[12:13]
	v_add_nc_u32_e32 v8, 0x200, v8
	s_cbranch_scc0 .LBB107_5
; %bb.6:                                ;   in Loop: Header=BB107_3 Depth=1
	v_mov_b64_e32 v[6:7], 1.0
	s_and_b32 vcc_lo, exec_lo, s21
	s_cbranch_vccz .LBB107_8
; %bb.7:                                ;   in Loop: Header=BB107_3 Depth=1
	ds_load_b64 v[6:7], v3
	s_wait_dscnt 0x0
	v_div_scale_f64 v[8:9], null, v[6:7], v[6:7], 1.0
	s_delay_alu instid0(VALU_DEP_1) | instskip(SKIP_1) | instid1(TRANS32_DEP_1)
	v_rcp_f64_e32 v[12:13], v[8:9]
	v_nop
	v_fma_f64 v[14:15], -v[8:9], v[12:13], 1.0
	s_delay_alu instid0(VALU_DEP_1) | instskip(NEXT) | instid1(VALU_DEP_1)
	v_fmac_f64_e32 v[12:13], v[12:13], v[14:15]
	v_fma_f64 v[14:15], -v[8:9], v[12:13], 1.0
	s_delay_alu instid0(VALU_DEP_1) | instskip(SKIP_1) | instid1(VALU_DEP_1)
	v_fmac_f64_e32 v[12:13], v[12:13], v[14:15]
	v_div_scale_f64 v[14:15], vcc_lo, 1.0, v[6:7], 1.0
	v_mul_f64_e32 v[16:17], v[14:15], v[12:13]
	s_delay_alu instid0(VALU_DEP_1) | instskip(NEXT) | instid1(VALU_DEP_1)
	v_fma_f64 v[8:9], -v[8:9], v[16:17], v[14:15]
	v_div_fmas_f64 v[8:9], v[8:9], v[12:13], v[16:17]
	s_delay_alu instid0(VALU_DEP_1)
	v_div_fixup_f64 v[6:7], v[8:9], v[6:7], 1.0
.LBB107_8:                              ;   in Loop: Header=BB107_3 Depth=1
	ds_store_b64 v3, v[6:7]
.LBB107_9:                              ;   in Loop: Header=BB107_3 Depth=1
	s_or_b32 exec_lo, exec_lo, s14
	s_delay_alu instid0(VALU_DEP_3) | instskip(NEXT) | instid1(VALU_DEP_1)
	v_mad_nc_u64_u32 v[6:7], s10, s19, v[4:5]
	v_mad_u32 v7, s11, s19, v7
	s_and_saveexec_b32 s14, s12
	s_cbranch_execz .LBB107_12
; %bb.10:                               ;   in Loop: Header=BB107_3 Depth=1
	s_delay_alu instid0(VALU_DEP_1)
	v_mov_b64_e32 v[8:9], v[6:7]
	v_mov_b32_e32 v11, v10
	s_mov_b32 s16, s1
.LBB107_11:                             ;   Parent Loop BB107_3 Depth=1
                                        ; =>  This Inner Loop Header: Depth=2
	global_load_b64 v[12:13], v[8:9], off
	s_wait_xcnt 0x0
	v_add_nc_u64_e32 v[8:9], 8, v[8:9]
	s_add_co_i32 s16, s16, -1
	s_delay_alu instid0(SALU_CYCLE_1)
	s_cmp_lg_u32 s16, 0
	s_wait_loadcnt 0x0
	v_mul_f64_e32 v[12:13], s[4:5], v[12:13]
	ds_store_b64 v11, v[12:13]
	v_add_nc_u32_e32 v11, 0x200, v11
	s_cbranch_scc1 .LBB107_11
.LBB107_12:                             ;   in Loop: Header=BB107_3 Depth=1
	s_or_b32 exec_lo, exec_lo, s14
	s_delay_alu instid0(SALU_CYCLE_1)
	s_and_not1_b32 vcc_lo, exec_lo, s22
	s_mov_b32 s14, -1
	s_wait_dscnt 0x0
	s_barrier_signal -1
	s_barrier_wait -1
	s_cbranch_vccnz .LBB107_34
; %bb.13:                               ;   in Loop: Header=BB107_3 Depth=1
	s_mov_b32 s16, 0
	s_mov_b32 s14, 0
	s_branch .LBB107_15
.LBB107_14:                             ;   in Loop: Header=BB107_15 Depth=2
	s_cmp_lt_i32 s14, s1
	s_cselect_b32 s17, -1, 0
	s_add_co_i32 s18, s16, 1
	s_cmp_lt_u32 s16, 2
	s_wait_xcnt 0x0
	s_cselect_b32 s16, -1, 0
	s_delay_alu instid0(SALU_CYCLE_1) | instskip(NEXT) | instid1(SALU_CYCLE_1)
	s_and_b32 s16, s17, s16
	s_and_b32 vcc_lo, exec_lo, s16
	s_mov_b32 s16, s18
	s_cbranch_vccz .LBB107_33
.LBB107_15:                             ;   Parent Loop BB107_3 Depth=1
                                        ; =>  This Loop Header: Depth=2
                                        ;       Child Loop BB107_18 Depth 3
                                        ;         Child Loop BB107_19 Depth 4
                                        ;         Child Loop BB107_22 Depth 4
                                        ;           Child Loop BB107_23 Depth 5
                                        ;         Child Loop BB107_27 Depth 4
                                        ;           Child Loop BB107_29 Depth 5
	s_load_b32 s17, s[8:9], s16 offset:0x0 scale_offset
	s_wait_kmcnt 0x0
	s_add_co_i32 s18, s17, -1
	s_delay_alu instid0(SALU_CYCLE_1) | instskip(NEXT) | instid1(SALU_CYCLE_1)
	s_add_co_i32 s23, s18, s14
	s_cmp_ge_i32 s23, s1
	s_cbranch_scc1 .LBB107_14
; %bb.16:                               ;   in Loop: Header=BB107_15 Depth=2
	s_lshl_b32 s23, s14, 9
	s_max_i32 s24, s17, 1
	v_add_nc_u32_e32 v11, s23, v10
	s_lshl_b32 s25, s17, 9
	s_mul_i32 s26, s14, 0x208
	s_mul_i32 s27, s17, 0x208
	s_branch .LBB107_18
.LBB107_17:                             ;   in Loop: Header=BB107_18 Depth=3
	s_add_co_i32 s14, s14, s17
	v_add_nc_u32_e32 v11, s25, v11
	s_add_co_i32 s28, s18, s14
	s_add_co_i32 s23, s23, s25
	;; [unrolled: 1-line block ×3, first 2 shown]
	s_cmp_ge_i32 s28, s1
	s_cbranch_scc1 .LBB107_14
.LBB107_18:                             ;   Parent Loop BB107_3 Depth=1
                                        ;     Parent Loop BB107_15 Depth=2
                                        ; =>    This Loop Header: Depth=3
                                        ;         Child Loop BB107_19 Depth 4
                                        ;         Child Loop BB107_22 Depth 4
                                        ;           Child Loop BB107_23 Depth 5
                                        ;         Child Loop BB107_27 Depth 4
                                        ;           Child Loop BB107_29 Depth 5
	s_wait_xcnt 0x0
	v_mov_b32_e32 v8, v11
	s_mov_b32 s28, 0
	s_mov_b32 s29, s24
.LBB107_19:                             ;   Parent Loop BB107_3 Depth=1
                                        ;     Parent Loop BB107_15 Depth=2
                                        ;       Parent Loop BB107_18 Depth=3
                                        ; =>      This Inner Loop Header: Depth=4
	ds_load_b64 v[12:13], v8
	v_add_nc_u32_e32 v8, 0x200, v8
	s_add_co_i32 s29, s29, -1
	s_wait_dscnt 0x0
	scratch_store_b64 off, v[12:13], s28
	s_wait_xcnt 0x0
	s_add_co_i32 s28, s28, 8
	s_cmp_eq_u32 s29, 0
	s_cbranch_scc0 .LBB107_19
; %bb.20:                               ;   in Loop: Header=BB107_18 Depth=3
	s_cmp_lt_i32 s14, 1
	s_cbranch_scc1 .LBB107_25
; %bb.21:                               ;   in Loop: Header=BB107_18 Depth=3
	s_mov_b32 s28, 0
	s_mov_b32 s29, s23
.LBB107_22:                             ;   Parent Loop BB107_3 Depth=1
                                        ;     Parent Loop BB107_15 Depth=2
                                        ;       Parent Loop BB107_18 Depth=3
                                        ; =>      This Loop Header: Depth=4
                                        ;           Child Loop BB107_23 Depth 5
	v_lshl_add_u32 v8, s28, 9, v10
	s_mov_b32 s30, 0
	s_mov_b32 s31, s29
	;; [unrolled: 1-line block ×3, first 2 shown]
	ds_load_b64 v[8:9], v8
.LBB107_23:                             ;   Parent Loop BB107_3 Depth=1
                                        ;     Parent Loop BB107_15 Depth=2
                                        ;       Parent Loop BB107_18 Depth=3
                                        ;         Parent Loop BB107_22 Depth=4
                                        ; =>        This Inner Loop Header: Depth=5
	scratch_load_b64 v[12:13], off, s30
	v_mov_b32_e32 v14, s31
	s_add_co_i32 s33, s33, -1
	s_addk_co_i32 s31, 0x200
	ds_load_b64 v[14:15], v14
	s_wait_loadcnt_dscnt 0x0
	v_fma_f64 v[12:13], -v[8:9], v[14:15], v[12:13]
	scratch_store_b64 off, v[12:13], s30
	s_wait_xcnt 0x0
	s_add_co_i32 s30, s30, 8
	s_cmp_eq_u32 s33, 0
	s_cbranch_scc0 .LBB107_23
; %bb.24:                               ;   in Loop: Header=BB107_22 Depth=4
	s_add_co_i32 s28, s28, 1
	s_add_co_i32 s29, s29, 8
	s_cmp_eq_u32 s28, s14
	s_cbranch_scc0 .LBB107_22
.LBB107_25:                             ;   in Loop: Header=BB107_18 Depth=3
	s_lshl_b32 s28, s14, 9
	s_mov_b32 s29, 0
	s_mov_b32 s30, s26
	s_branch .LBB107_27
.LBB107_26:                             ;   in Loop: Header=BB107_27 Depth=4
	s_wait_xcnt 0x0
	s_mulk_i32 s33, 0x208
	s_addk_co_i32 s30, 0x200
	v_mov_b32_e32 v12, s33
	s_lshl_b32 s33, s29, 3
	s_add_co_i32 s29, s29, 1
	s_delay_alu instid0(SALU_CYCLE_1)
	s_cmp_eq_u32 s29, s24
	ds_load_b64 v[12:13], v12
	s_wait_loadcnt_dscnt 0x0
	v_dual_mul_f64 v[8:9], v[12:13], v[8:9] :: v_dual_add_nc_u32 v12, s31, v10
	scratch_store_b64 off, v[8:9], s33
	ds_store_b64 v12, v[8:9]
	s_cbranch_scc1 .LBB107_17
.LBB107_27:                             ;   Parent Loop BB107_3 Depth=1
                                        ;     Parent Loop BB107_15 Depth=2
                                        ;       Parent Loop BB107_18 Depth=3
                                        ; =>      This Loop Header: Depth=4
                                        ;           Child Loop BB107_29 Depth 5
	s_cmp_lg_u32 s29, 0
	s_cbranch_scc0 .LBB107_31
; %bb.28:                               ;   in Loop: Header=BB107_27 Depth=4
	s_lshl_b32 s34, s29, 3
	s_wait_xcnt 0x0
	s_add_co_i32 s33, s29, s14
	scratch_load_b64 v[8:9], off, s34
	s_lshl_b32 s31, s33, 9
	s_mov_b32 s35, 0
	s_mov_b32 s36, s30
	;; [unrolled: 1-line block ×3, first 2 shown]
.LBB107_29:                             ;   Parent Loop BB107_3 Depth=1
                                        ;     Parent Loop BB107_15 Depth=2
                                        ;       Parent Loop BB107_18 Depth=3
                                        ;         Parent Loop BB107_27 Depth=4
                                        ; =>        This Inner Loop Header: Depth=5
	scratch_load_b64 v[12:13], off, s35
	v_mov_b32_e32 v14, s36
	s_add_co_i32 s37, s37, -1
	s_wait_xcnt 0x0
	s_add_co_i32 s35, s35, 8
	s_add_co_i32 s36, s36, 8
	s_cmp_eq_u32 s37, 0
	ds_load_b64 v[14:15], v14
	s_wait_loadcnt_dscnt 0x0
	v_fma_f64 v[8:9], -v[12:13], v[14:15], v[8:9]
	scratch_store_b64 off, v[8:9], s34
	s_cbranch_scc0 .LBB107_29
; %bb.30:                               ;   in Loop: Header=BB107_27 Depth=4
	s_wait_xcnt 0x0
	s_branch .LBB107_26
.LBB107_31:                             ;   in Loop: Header=BB107_27 Depth=4
                                        ; implicit-def: $vgpr8_vgpr9
                                        ; implicit-def: $sgpr33
                                        ; implicit-def: $sgpr31
	s_cbranch_execz .LBB107_26
; %bb.32:                               ;   in Loop: Header=BB107_27 Depth=4
	scratch_load_b64 v[8:9], off, off
	s_mov_b32 s31, s28
	s_mov_b32 s33, s14
	s_branch .LBB107_26
.LBB107_33:                             ;   in Loop: Header=BB107_3 Depth=1
	s_mov_b32 s14, 0
.LBB107_34:                             ;   in Loop: Header=BB107_3 Depth=1
	s_delay_alu instid0(SALU_CYCLE_1)
	s_and_b32 vcc_lo, exec_lo, s14
	s_cbranch_vccz .LBB107_54
; %bb.35:                               ;   in Loop: Header=BB107_3 Depth=1
	s_mov_b32 s16, 0
	s_mov_b32 s14, s20
	s_branch .LBB107_37
.LBB107_36:                             ;   in Loop: Header=BB107_37 Depth=2
	s_cmp_gt_i32 s14, -1
	s_cselect_b32 s17, -1, 0
	s_add_co_i32 s18, s16, 1
	s_cmp_lt_u32 s16, 2
	s_cselect_b32 s16, -1, 0
	s_delay_alu instid0(SALU_CYCLE_1) | instskip(NEXT) | instid1(SALU_CYCLE_1)
	s_and_b32 s16, s17, s16
	s_and_not1_b32 vcc_lo, exec_lo, s16
	s_mov_b32 s16, s18
	s_cbranch_vccnz .LBB107_54
.LBB107_37:                             ;   Parent Loop BB107_3 Depth=1
                                        ; =>  This Loop Header: Depth=2
                                        ;       Child Loop BB107_40 Depth 3
                                        ;         Child Loop BB107_41 Depth 4
                                        ;         Child Loop BB107_43 Depth 4
                                        ;           Child Loop BB107_44 Depth 5
                                        ;         Child Loop BB107_48 Depth 4
                                        ;           Child Loop BB107_50 Depth 5
	s_load_b32 s17, s[8:9], s16 offset:0x0 scale_offset
	s_wait_kmcnt 0x0
	s_add_co_i32 s18, s17, -1
	s_delay_alu instid0(SALU_CYCLE_1)
	s_cmp_lt_i32 s14, s18
	s_cbranch_scc1 .LBB107_36
; %bb.38:                               ;   in Loop: Header=BB107_37 Depth=2
	v_lshl_add_u32 v11, s14, 9, v10
	s_lshl_b32 s24, s17, 9
	s_lshl_b32 s25, s14, 3
	;; [unrolled: 1-line block ×3, first 2 shown]
	s_max_i32 s23, s17, 1
	s_sub_co_i32 s24, 0, s24
	s_add_co_i32 s25, s13, s25
	s_sub_co_i32 s26, 0, s26
	s_mul_i32 s27, s14, 0x208
	s_mul_i32 s28, s17, 0xfffffdf8
	s_branch .LBB107_40
.LBB107_39:                             ;   in Loop: Header=BB107_40 Depth=3
	v_add_nc_u32_e32 v11, s24, v11
	s_sub_co_i32 s14, s14, s17
	s_add_co_i32 s25, s25, s26
	s_add_co_i32 s27, s27, s28
	s_cmp_lt_i32 s14, s18
	s_cbranch_scc1 .LBB107_36
.LBB107_40:                             ;   Parent Loop BB107_3 Depth=1
                                        ;     Parent Loop BB107_37 Depth=2
                                        ; =>    This Loop Header: Depth=3
                                        ;         Child Loop BB107_41 Depth 4
                                        ;         Child Loop BB107_43 Depth 4
                                        ;           Child Loop BB107_44 Depth 5
                                        ;         Child Loop BB107_48 Depth 4
                                        ;           Child Loop BB107_50 Depth 5
	s_wait_xcnt 0x0
	v_mov_b32_e32 v8, v11
	s_mov_b32 s29, 0
	s_mov_b32 s30, s23
.LBB107_41:                             ;   Parent Loop BB107_3 Depth=1
                                        ;     Parent Loop BB107_37 Depth=2
                                        ;       Parent Loop BB107_40 Depth=3
                                        ; =>      This Inner Loop Header: Depth=4
	ds_load_b64 v[12:13], v8
	v_add_nc_u32_e32 v8, 0xfffffe00, v8
	s_add_co_i32 s30, s30, -1
	s_wait_dscnt 0x0
	scratch_store_b64 off, v[12:13], s29
	s_wait_xcnt 0x0
	s_add_co_i32 s29, s29, 8
	s_cmp_eq_u32 s30, 0
	s_cbranch_scc0 .LBB107_41
; %bb.42:                               ;   in Loop: Header=BB107_40 Depth=3
	s_cmp_le_i32 s20, s14
	s_mov_b32 s29, s25
	s_mov_b32 s30, s20
	s_cbranch_scc1 .LBB107_46
.LBB107_43:                             ;   Parent Loop BB107_3 Depth=1
                                        ;     Parent Loop BB107_37 Depth=2
                                        ;       Parent Loop BB107_40 Depth=3
                                        ; =>      This Loop Header: Depth=4
                                        ;           Child Loop BB107_44 Depth 5
	v_lshl_add_u32 v8, s30, 9, v10
	s_mov_b32 s31, 0
	s_mov_b32 s33, s29
	;; [unrolled: 1-line block ×3, first 2 shown]
	ds_load_b64 v[8:9], v8
.LBB107_44:                             ;   Parent Loop BB107_3 Depth=1
                                        ;     Parent Loop BB107_37 Depth=2
                                        ;       Parent Loop BB107_40 Depth=3
                                        ;         Parent Loop BB107_43 Depth=4
                                        ; =>        This Inner Loop Header: Depth=5
	scratch_load_b64 v[12:13], off, s31
	v_mov_b32_e32 v14, s33
	s_add_co_i32 s34, s34, -1
	s_add_co_i32 s33, s33, -8
	ds_load_b64 v[14:15], v14
	s_wait_loadcnt_dscnt 0x0
	v_fma_f64 v[12:13], -v[8:9], v[14:15], v[12:13]
	scratch_store_b64 off, v[12:13], s31
	s_wait_xcnt 0x0
	s_add_co_i32 s31, s31, 8
	s_cmp_eq_u32 s34, 0
	s_cbranch_scc0 .LBB107_44
; %bb.45:                               ;   in Loop: Header=BB107_43 Depth=4
	s_add_co_i32 s30, s30, -1
	s_addk_co_i32 s29, 0xfe00
	s_cmp_le_i32 s30, s14
	s_cbranch_scc0 .LBB107_43
.LBB107_46:                             ;   in Loop: Header=BB107_40 Depth=3
	s_mov_b32 s29, 0
	s_mov_b32 s30, s27
	s_branch .LBB107_48
.LBB107_47:                             ;   in Loop: Header=BB107_48 Depth=4
	s_mul_i32 s33, s31, 0x208
	s_add_co_i32 s30, s30, -8
	v_mov_b32_e32 v12, s33
	s_lshl_b32 s33, s29, 3
	s_add_co_i32 s29, s29, 1
	s_delay_alu instid0(SALU_CYCLE_1)
	s_cmp_eq_u32 s29, s23
	ds_load_b64 v[12:13], v12
	s_wait_loadcnt_dscnt 0x0
	v_mul_f64_e32 v[8:9], v[12:13], v[8:9]
	v_lshl_add_u32 v12, s31, 9, v10
	scratch_store_b64 off, v[8:9], s33
	ds_store_b64 v12, v[8:9]
	s_cbranch_scc1 .LBB107_39
.LBB107_48:                             ;   Parent Loop BB107_3 Depth=1
                                        ;     Parent Loop BB107_37 Depth=2
                                        ;       Parent Loop BB107_40 Depth=3
                                        ; =>      This Loop Header: Depth=4
                                        ;           Child Loop BB107_50 Depth 5
	s_cmp_lg_u32 s29, 0
	s_cbranch_scc0 .LBB107_52
; %bb.49:                               ;   in Loop: Header=BB107_48 Depth=4
	s_wait_xcnt 0x0
	s_lshl_b32 s33, s29, 3
	s_sub_co_i32 s31, s14, s29
	scratch_load_b64 v[8:9], off, s33
	s_mov_b32 s34, 0
	s_mov_b32 s35, s30
	s_mov_b32 s36, s29
.LBB107_50:                             ;   Parent Loop BB107_3 Depth=1
                                        ;     Parent Loop BB107_37 Depth=2
                                        ;       Parent Loop BB107_40 Depth=3
                                        ;         Parent Loop BB107_48 Depth=4
                                        ; =>        This Inner Loop Header: Depth=5
	scratch_load_b64 v[12:13], off, s34
	v_mov_b32_e32 v14, s35
	s_add_co_i32 s36, s36, -1
	s_addk_co_i32 s35, 0xfe00
	s_wait_xcnt 0x0
	s_add_co_i32 s34, s34, 8
	s_cmp_eq_u32 s36, 0
	ds_load_b64 v[14:15], v14
	s_wait_loadcnt_dscnt 0x0
	v_fma_f64 v[8:9], -v[12:13], v[14:15], v[8:9]
	scratch_store_b64 off, v[8:9], s33
	s_cbranch_scc0 .LBB107_50
; %bb.51:                               ;   in Loop: Header=BB107_48 Depth=4
	s_wait_xcnt 0x0
	s_branch .LBB107_47
.LBB107_52:                             ;   in Loop: Header=BB107_48 Depth=4
	s_wait_xcnt 0x0
                                        ; implicit-def: $vgpr8_vgpr9
                                        ; implicit-def: $sgpr31
	s_cbranch_execz .LBB107_47
; %bb.53:                               ;   in Loop: Header=BB107_48 Depth=4
	scratch_load_b64 v[8:9], off, off
	s_mov_b32 s31, s14
	s_branch .LBB107_47
.LBB107_54:                             ;   in Loop: Header=BB107_3 Depth=1
	s_wait_storecnt_dscnt 0x0
	s_barrier_signal -1
	s_barrier_wait -1
	s_wait_xcnt 0x0
	s_and_saveexec_b32 s14, s12
	s_cbranch_execz .LBB107_2
; %bb.55:                               ;   in Loop: Header=BB107_3 Depth=1
	v_mov_b32_e32 v8, v10
	s_mov_b32 s16, s1
.LBB107_56:                             ;   Parent Loop BB107_3 Depth=1
                                        ; =>  This Inner Loop Header: Depth=2
	ds_load_b64 v[12:13], v8
	v_add_nc_u32_e32 v8, 0x200, v8
	s_add_co_i32 s16, s16, -1
	s_delay_alu instid0(SALU_CYCLE_1)
	s_cmp_lg_u32 s16, 0
	s_wait_dscnt 0x0
	global_store_b64 v[6:7], v[12:13], off
	s_wait_xcnt 0x0
	v_add_nc_u64_e32 v[6:7], 8, v[6:7]
	s_cbranch_scc1 .LBB107_56
	s_branch .LBB107_2
.LBB107_57:
	s_endpgm
	.section	.rodata,"a",@progbits
	.p2align	6, 0x0
	.amdhsa_kernel _ZL38rocblas_trsm_small_left_device_sharedBILi64ELi32ELb0EddPKdPdEv13rocblas_fill_18rocblas_operation_17rocblas_diagonal_iiT3_T4_lilT5_lili
		.amdhsa_group_segment_fixed_size 65536
		.amdhsa_private_segment_fixed_size 272
		.amdhsa_kernarg_size 360
		.amdhsa_user_sgpr_count 2
		.amdhsa_user_sgpr_dispatch_ptr 0
		.amdhsa_user_sgpr_queue_ptr 0
		.amdhsa_user_sgpr_kernarg_segment_ptr 1
		.amdhsa_user_sgpr_dispatch_id 0
		.amdhsa_user_sgpr_kernarg_preload_length 0
		.amdhsa_user_sgpr_kernarg_preload_offset 0
		.amdhsa_user_sgpr_private_segment_size 0
		.amdhsa_wavefront_size32 1
		.amdhsa_uses_dynamic_stack 0
		.amdhsa_enable_private_segment 1
		.amdhsa_system_sgpr_workgroup_id_x 1
		.amdhsa_system_sgpr_workgroup_id_y 0
		.amdhsa_system_sgpr_workgroup_id_z 1
		.amdhsa_system_sgpr_workgroup_info 0
		.amdhsa_system_vgpr_workitem_id 0
		.amdhsa_next_free_vgpr 257
		.amdhsa_next_free_sgpr 38
		.amdhsa_named_barrier_count 0
		.amdhsa_reserve_vcc 1
		.amdhsa_float_round_mode_32 0
		.amdhsa_float_round_mode_16_64 0
		.amdhsa_float_denorm_mode_32 3
		.amdhsa_float_denorm_mode_16_64 3
		.amdhsa_fp16_overflow 0
		.amdhsa_memory_ordered 1
		.amdhsa_forward_progress 1
		.amdhsa_inst_pref_size 17
		.amdhsa_round_robin_scheduling 0
		.amdhsa_exception_fp_ieee_invalid_op 0
		.amdhsa_exception_fp_denorm_src 0
		.amdhsa_exception_fp_ieee_div_zero 0
		.amdhsa_exception_fp_ieee_overflow 0
		.amdhsa_exception_fp_ieee_underflow 0
		.amdhsa_exception_fp_ieee_inexact 0
		.amdhsa_exception_int_div_zero 0
	.end_amdhsa_kernel
	.section	.text._ZL38rocblas_trsm_small_left_device_sharedBILi64ELi32ELb0EddPKdPdEv13rocblas_fill_18rocblas_operation_17rocblas_diagonal_iiT3_T4_lilT5_lili,"axG",@progbits,_ZL38rocblas_trsm_small_left_device_sharedBILi64ELi32ELb0EddPKdPdEv13rocblas_fill_18rocblas_operation_17rocblas_diagonal_iiT3_T4_lilT5_lili,comdat
.Lfunc_end107:
	.size	_ZL38rocblas_trsm_small_left_device_sharedBILi64ELi32ELb0EddPKdPdEv13rocblas_fill_18rocblas_operation_17rocblas_diagonal_iiT3_T4_lilT5_lili, .Lfunc_end107-_ZL38rocblas_trsm_small_left_device_sharedBILi64ELi32ELb0EddPKdPdEv13rocblas_fill_18rocblas_operation_17rocblas_diagonal_iiT3_T4_lilT5_lili
                                        ; -- End function
	.set _ZL38rocblas_trsm_small_left_device_sharedBILi64ELi32ELb0EddPKdPdEv13rocblas_fill_18rocblas_operation_17rocblas_diagonal_iiT3_T4_lilT5_lili.num_vgpr, 18
	.set _ZL38rocblas_trsm_small_left_device_sharedBILi64ELi32ELb0EddPKdPdEv13rocblas_fill_18rocblas_operation_17rocblas_diagonal_iiT3_T4_lilT5_lili.num_agpr, 0
	.set _ZL38rocblas_trsm_small_left_device_sharedBILi64ELi32ELb0EddPKdPdEv13rocblas_fill_18rocblas_operation_17rocblas_diagonal_iiT3_T4_lilT5_lili.numbered_sgpr, 38
	.set _ZL38rocblas_trsm_small_left_device_sharedBILi64ELi32ELb0EddPKdPdEv13rocblas_fill_18rocblas_operation_17rocblas_diagonal_iiT3_T4_lilT5_lili.num_named_barrier, 0
	.set _ZL38rocblas_trsm_small_left_device_sharedBILi64ELi32ELb0EddPKdPdEv13rocblas_fill_18rocblas_operation_17rocblas_diagonal_iiT3_T4_lilT5_lili.private_seg_size, 272
	.set _ZL38rocblas_trsm_small_left_device_sharedBILi64ELi32ELb0EddPKdPdEv13rocblas_fill_18rocblas_operation_17rocblas_diagonal_iiT3_T4_lilT5_lili.uses_vcc, 1
	.set _ZL38rocblas_trsm_small_left_device_sharedBILi64ELi32ELb0EddPKdPdEv13rocblas_fill_18rocblas_operation_17rocblas_diagonal_iiT3_T4_lilT5_lili.uses_flat_scratch, 0
	.set _ZL38rocblas_trsm_small_left_device_sharedBILi64ELi32ELb0EddPKdPdEv13rocblas_fill_18rocblas_operation_17rocblas_diagonal_iiT3_T4_lilT5_lili.has_dyn_sized_stack, 0
	.set _ZL38rocblas_trsm_small_left_device_sharedBILi64ELi32ELb0EddPKdPdEv13rocblas_fill_18rocblas_operation_17rocblas_diagonal_iiT3_T4_lilT5_lili.has_recursion, 0
	.set _ZL38rocblas_trsm_small_left_device_sharedBILi64ELi32ELb0EddPKdPdEv13rocblas_fill_18rocblas_operation_17rocblas_diagonal_iiT3_T4_lilT5_lili.has_indirect_call, 0
	.section	.AMDGPU.csdata,"",@progbits
; Kernel info:
; codeLenInByte = 2100
; TotalNumSgprs: 40
; NumVgprs: 18
; ScratchSize: 272
; MemoryBound: 0
; FloatMode: 240
; IeeeMode: 1
; LDSByteSize: 65536 bytes/workgroup (compile time only)
; SGPRBlocks: 0
; VGPRBlocks: 16
; NumSGPRsForWavesPerEU: 40
; NumVGPRsForWavesPerEU: 257
; NamedBarCnt: 0
; Occupancy: 3
; WaveLimiterHint : 0
; COMPUTE_PGM_RSRC2:SCRATCH_EN: 1
; COMPUTE_PGM_RSRC2:USER_SGPR: 2
; COMPUTE_PGM_RSRC2:TRAP_HANDLER: 0
; COMPUTE_PGM_RSRC2:TGID_X_EN: 1
; COMPUTE_PGM_RSRC2:TGID_Y_EN: 0
; COMPUTE_PGM_RSRC2:TGID_Z_EN: 1
; COMPUTE_PGM_RSRC2:TIDIG_COMP_CNT: 0
	.section	.text._ZL30rocblas_trsm_small_left_deviceILi64ELi32ELb0EddPKdPdEv13rocblas_fill_18rocblas_operation_17rocblas_diagonal_iiT3_T4_lilT5_lili,"axG",@progbits,_ZL30rocblas_trsm_small_left_deviceILi64ELi32ELb0EddPKdPdEv13rocblas_fill_18rocblas_operation_17rocblas_diagonal_iiT3_T4_lilT5_lili,comdat
	.globl	_ZL30rocblas_trsm_small_left_deviceILi64ELi32ELb0EddPKdPdEv13rocblas_fill_18rocblas_operation_17rocblas_diagonal_iiT3_T4_lilT5_lili ; -- Begin function _ZL30rocblas_trsm_small_left_deviceILi64ELi32ELb0EddPKdPdEv13rocblas_fill_18rocblas_operation_17rocblas_diagonal_iiT3_T4_lilT5_lili
	.p2align	8
	.type	_ZL30rocblas_trsm_small_left_deviceILi64ELi32ELb0EddPKdPdEv13rocblas_fill_18rocblas_operation_17rocblas_diagonal_iiT3_T4_lilT5_lili,@function
_ZL30rocblas_trsm_small_left_deviceILi64ELi32ELb0EddPKdPdEv13rocblas_fill_18rocblas_operation_17rocblas_diagonal_iiT3_T4_lilT5_lili: ; @_ZL30rocblas_trsm_small_left_deviceILi64ELi32ELb0EddPKdPdEv13rocblas_fill_18rocblas_operation_17rocblas_diagonal_iiT3_T4_lilT5_lili
; %bb.0:
	s_load_b32 s28, s[0:1], 0x60
	s_bfe_u32 s2, ttmp6, 0x40014
	s_lshr_b32 s4, ttmp7, 16
	s_add_co_i32 s2, s2, 1
	s_bfe_u32 s5, ttmp6, 0x40008
	s_mul_i32 s2, s4, s2
	s_getreg_b32 s3, hwreg(HW_REG_IB_STS2, 6, 4)
	s_add_co_i32 s5, s5, s2
	s_cmp_eq_u32 s3, 0
	s_mov_b32 s19, 0
	s_cselect_b32 s2, s4, s5
	s_wait_kmcnt 0x0
	s_cmp_ge_u32 s2, s28
	s_cbranch_scc1 .LBB108_54
; %bb.1:
	s_clause 0x4
	s_load_b96 s[16:18], s[0:1], 0x28
	s_load_b96 s[24:26], s[0:1], 0x48
	s_load_b128 s[8:11], s[0:1], 0x4
	s_load_b32 s22, s[0:1], 0x68
	s_load_b64 s[20:21], s[0:1], 0x58
	s_bfe_u32 s12, ttmp6, 0x4000c
	s_and_b32 s23, ttmp6, 15
	s_add_co_i32 s12, s12, 1
	s_load_b128 s[4:7], s[0:1], 0x18
	s_mul_i32 s27, ttmp9, s12
	s_load_b128 s[12:15], s[0:1], 0x38
	s_wait_xcnt 0x0
	s_add_co_i32 s0, s23, s27
	s_mov_b32 s35, 0
                                        ; implicit-def: $sgpr36
                                        ; implicit-def: $sgpr37
	v_lshlrev_b32_e32 v1, 9, v0
	s_wait_kmcnt 0x0
	s_ashr_i32 s23, s18, 31
	s_ashr_i32 s1, s26, 31
	s_min_i32 s29, s10, 64
	s_lshl_b64 s[24:25], s[24:25], 3
	s_add_co_i32 s10, s22, -1
	s_add_co_i32 s30, s29, -1
	s_cmp_eq_u32 s3, 0
	s_mov_b32 s22, s18
	s_cselect_b32 s3, ttmp9, s0
	s_mov_b32 s0, s26
	s_lshl_b32 s27, s3, 6
	s_add_nc_u64 s[14:15], s[14:15], s[24:25]
	v_or_b32_e32 v2, s27, v0
	s_delay_alu instid0(VALU_DEP_1) | instskip(NEXT) | instid1(VALU_DEP_1)
	v_ashrrev_i32_e32 v3, 31, v2
	v_mul_u64_e32 v[4:5], s[0:1], v[2:3]
	s_sub_co_i32 s0, s11, s27
	s_cmp_ge_u32 s3, s10
	v_lshlrev_b32_e32 v2, 3, v0
	s_cselect_b32 s1, s0, 64
	s_cmp_lg_u32 s9, 0x84
	v_mov_b32_e32 v3, 0
	s_cselect_b32 s31, -1, 0
	s_cmp_lg_u32 s8, 0x6f
	v_add_nc_u32_e32 v14, v2, v1
	s_cselect_b32 s33, -1, 0
	s_lshl_b64 s[16:17], s[16:17], 3
	v_cmp_gt_i32_e64 s0, s29, v0
	s_add_nc_u64 s[6:7], s[6:7], s[16:17]
	v_cmp_gt_i32_e64 s1, s1, v0
	v_add_nc_u64_e32 v[0:1], s[6:7], v[2:3]
	s_lshl_b32 s34, s29, 9
	s_lshl_b64 s[8:9], s[12:13], 3
	s_lshl_b64 s[10:11], s[22:23], 3
	;; [unrolled: 1-line block ×3, first 2 shown]
	s_addk_co_i32 s34, 0xfe00
	s_get_pc_i64 s[6:7]
	s_add_nc_u64 s[6:7], s[6:7], __const._ZL30rocblas_trsm_small_left_deviceILi64ELi32ELb0EddPKdPdEv13rocblas_fill_18rocblas_operation_17rocblas_diagonal_iiT3_T4_lilT5_lili.step_sizes@rel64+4
	v_lshl_add_u64 v[4:5], v[4:5], 3, s[14:15]
	s_branch .LBB108_4
.LBB108_2:                              ;   in Loop: Header=BB108_4 Depth=1
	s_add_co_i32 s2, s2, 0x10000
	s_delay_alu instid0(SALU_CYCLE_1)
	s_cmp_ge_u32 s2, s28
	s_cselect_b32 s3, -1, 0
	s_and_not1_b32 s37, s37, exec_lo
	s_or_not1_b32 s14, s3, exec_lo
.LBB108_3:                              ;   in Loop: Header=BB108_4 Depth=1
	s_wait_xcnt 0x0
	s_or_b32 exec_lo, exec_lo, s38
	s_delay_alu instid0(SALU_CYCLE_1) | instskip(NEXT) | instid1(SALU_CYCLE_1)
	s_and_b32 s3, exec_lo, s14
	s_or_b32 s35, s3, s35
	s_and_not1_b32 s3, s36, exec_lo
	s_and_b32 s14, s37, exec_lo
	s_delay_alu instid0(SALU_CYCLE_1)
	s_or_b32 s36, s3, s14
	s_and_not1_b32 exec_lo, exec_lo, s35
	s_cbranch_execz .LBB108_53
.LBB108_4:                              ; =>This Loop Header: Depth=1
                                        ;     Child Loop BB108_6 Depth 2
                                        ;     Child Loop BB108_14 Depth 2
                                        ;       Child Loop BB108_17 Depth 3
                                        ;         Child Loop BB108_18 Depth 4
                                        ;         Child Loop BB108_21 Depth 4
                                        ;           Child Loop BB108_22 Depth 5
                                        ;         Child Loop BB108_26 Depth 4
                                        ;           Child Loop BB108_28 Depth 5
                                        ;     Child Loop BB108_36 Depth 2
                                        ;       Child Loop BB108_39 Depth 3
                                        ;         Child Loop BB108_40 Depth 4
                                        ;         Child Loop BB108_42 Depth 4
                                        ;           Child Loop BB108_43 Depth 5
                                        ;         Child Loop BB108_47 Depth 4
                                        ;           Child Loop BB108_49 Depth 5
	s_mov_b32 s3, s19
	s_and_saveexec_b32 s14, s0
	s_cbranch_execz .LBB108_10
; %bb.5:                                ;   in Loop: Header=BB108_4 Depth=1
	v_mad_nc_u64_u32 v[6:7], s8, s2, v[0:1]
	v_mov_b32_e32 v3, v2
	s_mov_b32 s15, s29
	s_delay_alu instid0(VALU_DEP_2)
	v_mad_u32 v7, s9, s2, v7
.LBB108_6:                              ;   Parent Loop BB108_4 Depth=1
                                        ; =>  This Inner Loop Header: Depth=2
	global_load_b64 v[8:9], v[6:7], off
	s_wait_xcnt 0x0
	v_add_nc_u64_e32 v[6:7], s[10:11], v[6:7]
	s_add_co_i32 s15, s15, -1
	s_delay_alu instid0(SALU_CYCLE_1)
	s_cmp_eq_u32 s15, 0
	s_wait_loadcnt 0x0
	ds_store_b64 v3, v[8:9]
	v_add_nc_u32_e32 v3, 0x200, v3
	s_cbranch_scc0 .LBB108_6
; %bb.7:                                ;   in Loop: Header=BB108_4 Depth=1
	v_mov_b64_e32 v[6:7], 1.0
	s_and_b32 vcc_lo, exec_lo, s31
	s_cbranch_vccz .LBB108_9
; %bb.8:                                ;   in Loop: Header=BB108_4 Depth=1
	ds_load_b64 v[6:7], v14
	s_wait_dscnt 0x0
	v_div_scale_f64 v[8:9], null, v[6:7], v[6:7], 1.0
	s_delay_alu instid0(VALU_DEP_1) | instskip(SKIP_1) | instid1(TRANS32_DEP_1)
	v_rcp_f64_e32 v[10:11], v[8:9]
	v_nop
	v_fma_f64 v[12:13], -v[8:9], v[10:11], 1.0
	s_delay_alu instid0(VALU_DEP_1) | instskip(NEXT) | instid1(VALU_DEP_1)
	v_fmac_f64_e32 v[10:11], v[10:11], v[12:13]
	v_fma_f64 v[12:13], -v[8:9], v[10:11], 1.0
	s_delay_alu instid0(VALU_DEP_1) | instskip(SKIP_1) | instid1(VALU_DEP_1)
	v_fmac_f64_e32 v[10:11], v[10:11], v[12:13]
	v_div_scale_f64 v[12:13], vcc_lo, 1.0, v[6:7], 1.0
	v_mul_f64_e32 v[16:17], v[12:13], v[10:11]
	s_delay_alu instid0(VALU_DEP_1) | instskip(NEXT) | instid1(VALU_DEP_1)
	v_fma_f64 v[8:9], -v[8:9], v[16:17], v[12:13]
	v_div_fmas_f64 v[8:9], v[8:9], v[10:11], v[16:17]
	s_delay_alu instid0(VALU_DEP_1)
	v_div_fixup_f64 v[6:7], v[8:9], v[6:7], 1.0
.LBB108_9:                              ;   in Loop: Header=BB108_4 Depth=1
	ds_store_b64 v14, v[6:7]
.LBB108_10:                             ;   in Loop: Header=BB108_4 Depth=1
	s_or_b32 exec_lo, exec_lo, s14
	s_mov_b32 s14, -1
	s_or_b32 s37, s37, exec_lo
	s_wait_dscnt 0x0
	s_barrier_signal -1
	s_barrier_wait -1
	s_and_saveexec_b32 s38, s1
	s_cbranch_execz .LBB108_3
; %bb.11:                               ;   in Loop: Header=BB108_4 Depth=1
	s_mul_u64 s[14:15], s[20:21], s[2:3]
	s_and_not1_b32 vcc_lo, exec_lo, s33
	v_lshl_add_u64 v[6:7], s[14:15], 3, v[4:5]
	s_mul_u64 s[14:15], s[12:13], s[2:3]
	s_mov_b32 s3, -1
	s_cbranch_vccnz .LBB108_33
; %bb.12:                               ;   in Loop: Header=BB108_4 Depth=1
	v_add_nc_u64_e32 v[8:9], s[14:15], v[4:5]
	s_mov_b32 s3, 0
	s_mov_b32 s16, 0
	s_branch .LBB108_14
.LBB108_13:                             ;   in Loop: Header=BB108_14 Depth=2
	s_cmp_lt_i32 s16, s29
	s_cselect_b32 s17, -1, 0
	s_add_co_i32 s18, s3, 1
	s_cmp_lt_u32 s3, 2
	s_wait_xcnt 0x0
	s_cselect_b32 s3, -1, 0
	s_delay_alu instid0(SALU_CYCLE_1) | instskip(NEXT) | instid1(SALU_CYCLE_1)
	s_and_b32 s3, s17, s3
	s_and_b32 vcc_lo, exec_lo, s3
	s_mov_b32 s3, s18
	s_cbranch_vccz .LBB108_32
.LBB108_14:                             ;   Parent Loop BB108_4 Depth=1
                                        ; =>  This Loop Header: Depth=2
                                        ;       Child Loop BB108_17 Depth 3
                                        ;         Child Loop BB108_18 Depth 4
                                        ;         Child Loop BB108_21 Depth 4
                                        ;           Child Loop BB108_22 Depth 5
                                        ;         Child Loop BB108_26 Depth 4
                                        ;           Child Loop BB108_28 Depth 5
	s_load_b32 s22, s[6:7], s3 offset:0x0 scale_offset
	s_wait_kmcnt 0x0
	s_add_co_i32 s39, s22, -1
	s_delay_alu instid0(SALU_CYCLE_1) | instskip(NEXT) | instid1(SALU_CYCLE_1)
	s_add_co_i32 s17, s39, s16
	s_cmp_ge_i32 s17, s29
	s_cbranch_scc1 .LBB108_13
; %bb.15:                               ;   in Loop: Header=BB108_14 Depth=2
	s_ashr_i32 s17, s16, 31
	s_ashr_i32 s23, s22, 31
	v_lshl_add_u64 v[10:11], s[16:17], 3, v[8:9]
	s_max_i32 s40, s22, 1
	s_lshl_b64 s[24:25], s[22:23], 3
	s_lshl_b32 s17, s16, 9
	s_lshl_b32 s23, s22, 9
	s_mul_i32 s41, s16, 0x208
	s_mul_i32 s42, s22, 0x208
	s_branch .LBB108_17
.LBB108_16:                             ;   in Loop: Header=BB108_17 Depth=3
	v_add_nc_u64_e32 v[10:11], s[24:25], v[10:11]
	s_add_co_i32 s16, s16, s22
	s_add_co_i32 s17, s17, s23
	;; [unrolled: 1-line block ×4, first 2 shown]
	s_cmp_ge_i32 s18, s29
	s_cbranch_scc1 .LBB108_13
.LBB108_17:                             ;   Parent Loop BB108_4 Depth=1
                                        ;     Parent Loop BB108_14 Depth=2
                                        ; =>    This Loop Header: Depth=3
                                        ;         Child Loop BB108_18 Depth 4
                                        ;         Child Loop BB108_21 Depth 4
                                        ;           Child Loop BB108_22 Depth 5
                                        ;         Child Loop BB108_26 Depth 4
                                        ;           Child Loop BB108_28 Depth 5
	s_wait_xcnt 0x0
	v_mov_b64_e32 v[12:13], v[10:11]
	s_mov_b32 s18, 0
	s_mov_b32 s26, s40
.LBB108_18:                             ;   Parent Loop BB108_4 Depth=1
                                        ;     Parent Loop BB108_14 Depth=2
                                        ;       Parent Loop BB108_17 Depth=3
                                        ; =>      This Inner Loop Header: Depth=4
	global_load_b64 v[16:17], v[12:13], off
	s_wait_xcnt 0x0
	v_add_nc_u64_e32 v[12:13], 8, v[12:13]
	s_add_co_i32 s26, s26, -1
	s_wait_loadcnt 0x0
	v_mul_f64_e32 v[16:17], s[4:5], v[16:17]
	scratch_store_b64 off, v[16:17], s18
	s_wait_xcnt 0x0
	s_add_co_i32 s18, s18, 8
	s_cmp_eq_u32 s26, 0
	s_cbranch_scc0 .LBB108_18
; %bb.19:                               ;   in Loop: Header=BB108_17 Depth=3
	s_cmp_lt_i32 s16, 1
	s_cbranch_scc1 .LBB108_24
; %bb.20:                               ;   in Loop: Header=BB108_17 Depth=3
	s_mov_b32 s18, 0
	s_mov_b32 s26, s17
.LBB108_21:                             ;   Parent Loop BB108_4 Depth=1
                                        ;     Parent Loop BB108_14 Depth=2
                                        ;       Parent Loop BB108_17 Depth=3
                                        ; =>      This Loop Header: Depth=4
                                        ;           Child Loop BB108_22 Depth 5
	v_lshl_add_u64 v[12:13], s[18:19], 3, v[6:7]
	s_mov_b32 s27, 0
	s_mov_b32 s43, s26
	;; [unrolled: 1-line block ×3, first 2 shown]
	global_load_b64 v[12:13], v[12:13], off
.LBB108_22:                             ;   Parent Loop BB108_4 Depth=1
                                        ;     Parent Loop BB108_14 Depth=2
                                        ;       Parent Loop BB108_17 Depth=3
                                        ;         Parent Loop BB108_21 Depth=4
                                        ; =>        This Inner Loop Header: Depth=5
	scratch_load_b64 v[16:17], off, s27
	v_mov_b32_e32 v3, s43
	s_add_co_i32 s44, s44, -1
	s_addk_co_i32 s43, 0x200
	ds_load_b64 v[18:19], v3
	s_wait_loadcnt_dscnt 0x0
	v_fma_f64 v[16:17], -v[12:13], v[18:19], v[16:17]
	scratch_store_b64 off, v[16:17], s27
	s_wait_xcnt 0x0
	s_add_co_i32 s27, s27, 8
	s_cmp_eq_u32 s44, 0
	s_cbranch_scc0 .LBB108_22
; %bb.23:                               ;   in Loop: Header=BB108_21 Depth=4
	s_add_co_i32 s18, s18, 1
	s_add_co_i32 s26, s26, 8
	s_cmp_eq_u32 s18, s16
	s_cbranch_scc0 .LBB108_21
.LBB108_24:                             ;   in Loop: Header=BB108_17 Depth=3
	s_mov_b32 s18, 0
	s_mov_b32 s43, s41
	s_branch .LBB108_26
.LBB108_25:                             ;   in Loop: Header=BB108_26 Depth=4
	s_mul_i32 s27, s26, 0x208
	s_wait_xcnt 0x1
	s_lshl_b32 s44, s18, 3
	v_mov_b32_e32 v3, s27
	s_ashr_i32 s27, s26, 31
	s_add_co_i32 s18, s18, 1
	s_addk_co_i32 s43, 0x200
	s_cmp_eq_u32 s18, s40
	s_wait_xcnt 0x0
	ds_load_b64 v[16:17], v3
	s_wait_loadcnt_dscnt 0x0
	v_mul_f64_e32 v[12:13], v[16:17], v[12:13]
	v_lshl_add_u64 v[16:17], s[26:27], 3, v[6:7]
	scratch_store_b64 off, v[12:13], s44
	global_store_b64 v[16:17], v[12:13], off
	s_cbranch_scc1 .LBB108_16
.LBB108_26:                             ;   Parent Loop BB108_4 Depth=1
                                        ;     Parent Loop BB108_14 Depth=2
                                        ;       Parent Loop BB108_17 Depth=3
                                        ; =>      This Loop Header: Depth=4
                                        ;           Child Loop BB108_28 Depth 5
	s_cmp_lg_u32 s18, 0
	s_cbranch_scc0 .LBB108_30
; %bb.27:                               ;   in Loop: Header=BB108_26 Depth=4
	s_lshl_b32 s27, s18, 3
	s_add_co_i32 s26, s18, s16
	scratch_load_b64 v[12:13], off, s27
	s_mov_b32 s44, 0
	s_mov_b32 s45, s43
	;; [unrolled: 1-line block ×3, first 2 shown]
.LBB108_28:                             ;   Parent Loop BB108_4 Depth=1
                                        ;     Parent Loop BB108_14 Depth=2
                                        ;       Parent Loop BB108_17 Depth=3
                                        ;         Parent Loop BB108_26 Depth=4
                                        ; =>        This Inner Loop Header: Depth=5
	scratch_load_b64 v[16:17], off, s44
	v_mov_b32_e32 v3, s45
	s_add_co_i32 s46, s46, -1
	s_wait_xcnt 0x0
	s_add_co_i32 s44, s44, 8
	s_add_co_i32 s45, s45, 8
	s_cmp_eq_u32 s46, 0
	ds_load_b64 v[18:19], v3
	s_wait_loadcnt_dscnt 0x0
	v_fma_f64 v[12:13], -v[16:17], v[18:19], v[12:13]
	scratch_store_b64 off, v[12:13], s27
	s_cbranch_scc0 .LBB108_28
; %bb.29:                               ;   in Loop: Header=BB108_26 Depth=4
	s_wait_xcnt 0x0
	s_branch .LBB108_25
.LBB108_30:                             ;   in Loop: Header=BB108_26 Depth=4
                                        ; implicit-def: $vgpr12_vgpr13
                                        ; implicit-def: $sgpr26
	s_cbranch_execz .LBB108_25
; %bb.31:                               ;   in Loop: Header=BB108_26 Depth=4
	scratch_load_b64 v[12:13], off, off
	s_mov_b32 s26, s16
	s_branch .LBB108_25
.LBB108_32:                             ;   in Loop: Header=BB108_4 Depth=1
	s_mov_b32 s3, 0
.LBB108_33:                             ;   in Loop: Header=BB108_4 Depth=1
	s_delay_alu instid0(SALU_CYCLE_1)
	s_and_b32 vcc_lo, exec_lo, s3
	s_cbranch_vccz .LBB108_2
; %bb.34:                               ;   in Loop: Header=BB108_4 Depth=1
	v_add_nc_u64_e32 v[8:9], s[14:15], v[4:5]
	s_mov_b32 s3, 0
	s_mov_b32 s14, s30
	s_branch .LBB108_36
.LBB108_35:                             ;   in Loop: Header=BB108_36 Depth=2
	s_cmp_gt_i32 s14, -1
	s_cselect_b32 s15, -1, 0
	s_add_co_i32 s16, s3, 1
	s_cmp_lt_u32 s3, 2
	s_wait_xcnt 0x0
	s_cselect_b32 s3, -1, 0
	s_delay_alu instid0(SALU_CYCLE_1) | instskip(NEXT) | instid1(SALU_CYCLE_1)
	s_and_b32 s3, s15, s3
	s_and_not1_b32 vcc_lo, exec_lo, s3
	s_mov_b32 s3, s16
	s_cbranch_vccnz .LBB108_2
.LBB108_36:                             ;   Parent Loop BB108_4 Depth=1
                                        ; =>  This Loop Header: Depth=2
                                        ;       Child Loop BB108_39 Depth 3
                                        ;         Child Loop BB108_40 Depth 4
                                        ;         Child Loop BB108_42 Depth 4
                                        ;           Child Loop BB108_43 Depth 5
                                        ;         Child Loop BB108_47 Depth 4
                                        ;           Child Loop BB108_49 Depth 5
	s_load_b32 s18, s[6:7], s3 offset:0x0 scale_offset
	s_wait_kmcnt 0x0
	s_add_co_i32 s24, s18, -1
	s_delay_alu instid0(SALU_CYCLE_1)
	s_cmp_lt_i32 s14, s24
	s_cbranch_scc1 .LBB108_35
; %bb.37:                               ;   in Loop: Header=BB108_36 Depth=2
	s_lshl_b32 s15, s14, 3
	s_lshl_b32 s16, s18, 3
	s_max_i32 s25, s18, 1
	s_add_co_i32 s26, s34, s15
	s_sub_co_i32 s27, 0, s16
	s_mul_i32 s39, s14, 0x208
	s_mul_i32 s40, s18, 0xfffffdf8
	s_branch .LBB108_39
.LBB108_38:                             ;   in Loop: Header=BB108_39 Depth=3
	s_sub_co_i32 s14, s14, s18
	s_add_co_i32 s26, s26, s27
	s_add_co_i32 s39, s39, s40
	s_cmp_lt_i32 s14, s24
	s_cbranch_scc1 .LBB108_35
.LBB108_39:                             ;   Parent Loop BB108_4 Depth=1
                                        ;     Parent Loop BB108_36 Depth=2
                                        ; =>    This Loop Header: Depth=3
                                        ;         Child Loop BB108_40 Depth 4
                                        ;         Child Loop BB108_42 Depth 4
                                        ;           Child Loop BB108_43 Depth 5
                                        ;         Child Loop BB108_47 Depth 4
                                        ;           Child Loop BB108_49 Depth 5
	s_ashr_i32 s15, s14, 31
	s_mov_b32 s16, 0
	s_wait_xcnt 0x0
	v_lshl_add_u64 v[10:11], s[14:15], 3, v[8:9]
	s_mov_b32 s17, s25
.LBB108_40:                             ;   Parent Loop BB108_4 Depth=1
                                        ;     Parent Loop BB108_36 Depth=2
                                        ;       Parent Loop BB108_39 Depth=3
                                        ; =>      This Inner Loop Header: Depth=4
	global_load_b64 v[12:13], v[10:11], off
	s_wait_xcnt 0x0
	v_add_nc_u64_e32 v[10:11], -8, v[10:11]
	s_add_co_i32 s17, s17, -1
	s_wait_loadcnt 0x0
	v_mul_f64_e32 v[12:13], s[4:5], v[12:13]
	scratch_store_b64 off, v[12:13], s16
	s_wait_xcnt 0x0
	s_add_co_i32 s16, s16, 8
	s_cmp_eq_u32 s17, 0
	s_cbranch_scc0 .LBB108_40
; %bb.41:                               ;   in Loop: Header=BB108_39 Depth=3
	s_cmp_le_i32 s30, s14
	s_mov_b32 s22, s26
	s_mov_b32 s16, s30
	s_cbranch_scc1 .LBB108_45
.LBB108_42:                             ;   Parent Loop BB108_4 Depth=1
                                        ;     Parent Loop BB108_36 Depth=2
                                        ;       Parent Loop BB108_39 Depth=3
                                        ; =>      This Loop Header: Depth=4
                                        ;           Child Loop BB108_43 Depth 5
	s_ashr_i32 s17, s16, 31
	s_mov_b32 s23, s22
	v_lshl_add_u64 v[10:11], s[16:17], 3, v[6:7]
	s_mov_b32 s17, 0
	s_mov_b32 s41, s25
	global_load_b64 v[10:11], v[10:11], off
.LBB108_43:                             ;   Parent Loop BB108_4 Depth=1
                                        ;     Parent Loop BB108_36 Depth=2
                                        ;       Parent Loop BB108_39 Depth=3
                                        ;         Parent Loop BB108_42 Depth=4
                                        ; =>        This Inner Loop Header: Depth=5
	scratch_load_b64 v[12:13], off, s17
	v_mov_b32_e32 v3, s23
	s_add_co_i32 s41, s41, -1
	s_add_co_i32 s23, s23, -8
	ds_load_b64 v[16:17], v3
	s_wait_loadcnt_dscnt 0x0
	v_fma_f64 v[12:13], -v[10:11], v[16:17], v[12:13]
	scratch_store_b64 off, v[12:13], s17
	s_wait_xcnt 0x0
	s_add_co_i32 s17, s17, 8
	s_cmp_eq_u32 s41, 0
	s_cbranch_scc0 .LBB108_43
; %bb.44:                               ;   in Loop: Header=BB108_42 Depth=4
	s_add_co_i32 s16, s16, -1
	s_addk_co_i32 s22, 0xfe00
	s_cmp_le_i32 s16, s14
	s_cbranch_scc0 .LBB108_42
.LBB108_45:                             ;   in Loop: Header=BB108_39 Depth=3
	s_mov_b32 s41, 0
	s_mov_b32 s42, s39
	s_branch .LBB108_47
.LBB108_46:                             ;   in Loop: Header=BB108_47 Depth=4
	s_wait_xcnt 0x1
	s_mulk_i32 s22, 0x208
	s_add_co_i32 s42, s42, -8
	v_mov_b32_e32 v3, s22
	s_lshl_b32 s22, s41, 3
	s_add_co_i32 s41, s41, 1
	s_delay_alu instid0(SALU_CYCLE_1)
	s_cmp_eq_u32 s41, s25
	s_wait_xcnt 0x0
	ds_load_b64 v[12:13], v3
	s_wait_loadcnt_dscnt 0x0
	v_mul_f64_e32 v[10:11], v[12:13], v[10:11]
	v_lshl_add_u64 v[12:13], s[16:17], 3, v[6:7]
	scratch_store_b64 off, v[10:11], s22
	global_store_b64 v[12:13], v[10:11], off
	s_cbranch_scc1 .LBB108_38
.LBB108_47:                             ;   Parent Loop BB108_4 Depth=1
                                        ;     Parent Loop BB108_36 Depth=2
                                        ;       Parent Loop BB108_39 Depth=3
                                        ; =>      This Loop Header: Depth=4
                                        ;           Child Loop BB108_49 Depth 5
	s_cmp_lg_u32 s41, 0
	s_cbranch_scc0 .LBB108_51
; %bb.48:                               ;   in Loop: Header=BB108_47 Depth=4
	s_lshl_b32 s16, s41, 3
	s_mov_b32 s17, 0
	scratch_load_b64 v[10:11], off, s16
	s_mov_b32 s22, s42
	s_mov_b32 s23, s41
.LBB108_49:                             ;   Parent Loop BB108_4 Depth=1
                                        ;     Parent Loop BB108_36 Depth=2
                                        ;       Parent Loop BB108_39 Depth=3
                                        ;         Parent Loop BB108_47 Depth=4
                                        ; =>        This Inner Loop Header: Depth=5
	scratch_load_b64 v[12:13], off, s17
	v_mov_b32_e32 v3, s22
	s_add_co_i32 s23, s23, -1
	s_addk_co_i32 s22, 0xfe00
	s_wait_xcnt 0x0
	s_add_co_i32 s17, s17, 8
	s_cmp_eq_u32 s23, 0
	ds_load_b64 v[16:17], v3
	s_wait_loadcnt_dscnt 0x0
	v_fma_f64 v[10:11], -v[12:13], v[16:17], v[10:11]
	scratch_store_b64 off, v[10:11], s16
	s_cbranch_scc0 .LBB108_49
; %bb.50:                               ;   in Loop: Header=BB108_47 Depth=4
	s_sub_co_i32 s22, s14, s41
	s_delay_alu instid0(SALU_CYCLE_1)
	s_ashr_i32 s23, s22, 31
	s_wait_xcnt 0x0
	s_mov_b64 s[16:17], s[22:23]
	s_branch .LBB108_46
.LBB108_51:                             ;   in Loop: Header=BB108_47 Depth=4
                                        ; implicit-def: $vgpr10_vgpr11
                                        ; implicit-def: $sgpr22
                                        ; implicit-def: $sgpr16_sgpr17
	s_cbranch_execz .LBB108_46
; %bb.52:                               ;   in Loop: Header=BB108_47 Depth=4
	scratch_load_b64 v[10:11], off, off
	s_mov_b64 s[16:17], s[14:15]
	s_mov_b32 s22, s14
	s_branch .LBB108_46
.LBB108_53:
	s_or_b32 exec_lo, exec_lo, s35
	s_and_saveexec_b32 s0, s36
	s_delay_alu instid0(SALU_CYCLE_1)
	s_xor_b32 s0, exec_lo, s0
.LBB108_54:
	s_endpgm
	.section	.rodata,"a",@progbits
	.p2align	6, 0x0
	.amdhsa_kernel _ZL30rocblas_trsm_small_left_deviceILi64ELi32ELb0EddPKdPdEv13rocblas_fill_18rocblas_operation_17rocblas_diagonal_iiT3_T4_lilT5_lili
		.amdhsa_group_segment_fixed_size 32768
		.amdhsa_private_segment_fixed_size 272
		.amdhsa_kernarg_size 360
		.amdhsa_user_sgpr_count 2
		.amdhsa_user_sgpr_dispatch_ptr 0
		.amdhsa_user_sgpr_queue_ptr 0
		.amdhsa_user_sgpr_kernarg_segment_ptr 1
		.amdhsa_user_sgpr_dispatch_id 0
		.amdhsa_user_sgpr_kernarg_preload_length 0
		.amdhsa_user_sgpr_kernarg_preload_offset 0
		.amdhsa_user_sgpr_private_segment_size 0
		.amdhsa_wavefront_size32 1
		.amdhsa_uses_dynamic_stack 0
		.amdhsa_enable_private_segment 1
		.amdhsa_system_sgpr_workgroup_id_x 1
		.amdhsa_system_sgpr_workgroup_id_y 0
		.amdhsa_system_sgpr_workgroup_id_z 1
		.amdhsa_system_sgpr_workgroup_info 0
		.amdhsa_system_vgpr_workitem_id 0
		.amdhsa_next_free_vgpr 161
		.amdhsa_next_free_sgpr 47
		.amdhsa_named_barrier_count 0
		.amdhsa_reserve_vcc 1
		.amdhsa_float_round_mode_32 0
		.amdhsa_float_round_mode_16_64 0
		.amdhsa_float_denorm_mode_32 3
		.amdhsa_float_denorm_mode_16_64 3
		.amdhsa_fp16_overflow 0
		.amdhsa_memory_ordered 1
		.amdhsa_forward_progress 1
		.amdhsa_inst_pref_size 16
		.amdhsa_round_robin_scheduling 0
		.amdhsa_exception_fp_ieee_invalid_op 0
		.amdhsa_exception_fp_denorm_src 0
		.amdhsa_exception_fp_ieee_div_zero 0
		.amdhsa_exception_fp_ieee_overflow 0
		.amdhsa_exception_fp_ieee_underflow 0
		.amdhsa_exception_fp_ieee_inexact 0
		.amdhsa_exception_int_div_zero 0
	.end_amdhsa_kernel
	.section	.text._ZL30rocblas_trsm_small_left_deviceILi64ELi32ELb0EddPKdPdEv13rocblas_fill_18rocblas_operation_17rocblas_diagonal_iiT3_T4_lilT5_lili,"axG",@progbits,_ZL30rocblas_trsm_small_left_deviceILi64ELi32ELb0EddPKdPdEv13rocblas_fill_18rocblas_operation_17rocblas_diagonal_iiT3_T4_lilT5_lili,comdat
.Lfunc_end108:
	.size	_ZL30rocblas_trsm_small_left_deviceILi64ELi32ELb0EddPKdPdEv13rocblas_fill_18rocblas_operation_17rocblas_diagonal_iiT3_T4_lilT5_lili, .Lfunc_end108-_ZL30rocblas_trsm_small_left_deviceILi64ELi32ELb0EddPKdPdEv13rocblas_fill_18rocblas_operation_17rocblas_diagonal_iiT3_T4_lilT5_lili
                                        ; -- End function
	.set _ZL30rocblas_trsm_small_left_deviceILi64ELi32ELb0EddPKdPdEv13rocblas_fill_18rocblas_operation_17rocblas_diagonal_iiT3_T4_lilT5_lili.num_vgpr, 20
	.set _ZL30rocblas_trsm_small_left_deviceILi64ELi32ELb0EddPKdPdEv13rocblas_fill_18rocblas_operation_17rocblas_diagonal_iiT3_T4_lilT5_lili.num_agpr, 0
	.set _ZL30rocblas_trsm_small_left_deviceILi64ELi32ELb0EddPKdPdEv13rocblas_fill_18rocblas_operation_17rocblas_diagonal_iiT3_T4_lilT5_lili.numbered_sgpr, 47
	.set _ZL30rocblas_trsm_small_left_deviceILi64ELi32ELb0EddPKdPdEv13rocblas_fill_18rocblas_operation_17rocblas_diagonal_iiT3_T4_lilT5_lili.num_named_barrier, 0
	.set _ZL30rocblas_trsm_small_left_deviceILi64ELi32ELb0EddPKdPdEv13rocblas_fill_18rocblas_operation_17rocblas_diagonal_iiT3_T4_lilT5_lili.private_seg_size, 272
	.set _ZL30rocblas_trsm_small_left_deviceILi64ELi32ELb0EddPKdPdEv13rocblas_fill_18rocblas_operation_17rocblas_diagonal_iiT3_T4_lilT5_lili.uses_vcc, 1
	.set _ZL30rocblas_trsm_small_left_deviceILi64ELi32ELb0EddPKdPdEv13rocblas_fill_18rocblas_operation_17rocblas_diagonal_iiT3_T4_lilT5_lili.uses_flat_scratch, 0
	.set _ZL30rocblas_trsm_small_left_deviceILi64ELi32ELb0EddPKdPdEv13rocblas_fill_18rocblas_operation_17rocblas_diagonal_iiT3_T4_lilT5_lili.has_dyn_sized_stack, 0
	.set _ZL30rocblas_trsm_small_left_deviceILi64ELi32ELb0EddPKdPdEv13rocblas_fill_18rocblas_operation_17rocblas_diagonal_iiT3_T4_lilT5_lili.has_recursion, 0
	.set _ZL30rocblas_trsm_small_left_deviceILi64ELi32ELb0EddPKdPdEv13rocblas_fill_18rocblas_operation_17rocblas_diagonal_iiT3_T4_lilT5_lili.has_indirect_call, 0
	.section	.AMDGPU.csdata,"",@progbits
; Kernel info:
; codeLenInByte = 2012
; TotalNumSgprs: 49
; NumVgprs: 20
; ScratchSize: 272
; MemoryBound: 0
; FloatMode: 240
; IeeeMode: 1
; LDSByteSize: 32768 bytes/workgroup (compile time only)
; SGPRBlocks: 0
; VGPRBlocks: 10
; NumSGPRsForWavesPerEU: 49
; NumVGPRsForWavesPerEU: 161
; NamedBarCnt: 0
; Occupancy: 5
; WaveLimiterHint : 0
; COMPUTE_PGM_RSRC2:SCRATCH_EN: 1
; COMPUTE_PGM_RSRC2:USER_SGPR: 2
; COMPUTE_PGM_RSRC2:TRAP_HANDLER: 0
; COMPUTE_PGM_RSRC2:TGID_X_EN: 1
; COMPUTE_PGM_RSRC2:TGID_Y_EN: 0
; COMPUTE_PGM_RSRC2:TGID_Z_EN: 1
; COMPUTE_PGM_RSRC2:TIDIG_COMP_CNT: 0
	.section	.text._ZL38rocblas_trsm_small_left_device_sharedBILi64ELi32ELb1EddPKdPdEv13rocblas_fill_18rocblas_operation_17rocblas_diagonal_iiT3_T4_lilT5_lili,"axG",@progbits,_ZL38rocblas_trsm_small_left_device_sharedBILi64ELi32ELb1EddPKdPdEv13rocblas_fill_18rocblas_operation_17rocblas_diagonal_iiT3_T4_lilT5_lili,comdat
	.globl	_ZL38rocblas_trsm_small_left_device_sharedBILi64ELi32ELb1EddPKdPdEv13rocblas_fill_18rocblas_operation_17rocblas_diagonal_iiT3_T4_lilT5_lili ; -- Begin function _ZL38rocblas_trsm_small_left_device_sharedBILi64ELi32ELb1EddPKdPdEv13rocblas_fill_18rocblas_operation_17rocblas_diagonal_iiT3_T4_lilT5_lili
	.p2align	8
	.type	_ZL38rocblas_trsm_small_left_device_sharedBILi64ELi32ELb1EddPKdPdEv13rocblas_fill_18rocblas_operation_17rocblas_diagonal_iiT3_T4_lilT5_lili,@function
_ZL38rocblas_trsm_small_left_device_sharedBILi64ELi32ELb1EddPKdPdEv13rocblas_fill_18rocblas_operation_17rocblas_diagonal_iiT3_T4_lilT5_lili: ; @_ZL38rocblas_trsm_small_left_device_sharedBILi64ELi32ELb1EddPKdPdEv13rocblas_fill_18rocblas_operation_17rocblas_diagonal_iiT3_T4_lilT5_lili
; %bb.0:
	s_load_b32 s15, s[0:1], 0x60
	s_bfe_u32 s2, ttmp6, 0x40014
	s_lshr_b32 s3, ttmp7, 16
	s_add_co_i32 s2, s2, 1
	s_bfe_u32 s5, ttmp6, 0x40008
	s_mul_i32 s4, s3, s2
	s_getreg_b32 s2, hwreg(HW_REG_IB_STS2, 6, 4)
	s_add_co_i32 s5, s5, s4
	s_cmp_eq_u32 s2, 0
	s_cselect_b32 s19, s3, s5
	s_wait_kmcnt 0x0
	s_cmp_ge_u32 s19, s15
	s_cbranch_scc1 .LBB109_57
; %bb.1:
	s_clause 0x4
	s_load_b96 s[12:14], s[0:1], 0x28
	s_load_b96 s[16:18], s[0:1], 0x48
	s_load_b128 s[24:27], s[0:1], 0x4
	s_load_b32 s3, s[0:1], 0x68
	s_load_b64 s[28:29], s[0:1], 0x58
	s_bfe_u32 s8, ttmp6, 0x4000c
	s_load_b128 s[4:7], s[0:1], 0x18
	s_add_co_i32 s8, s8, 1
	s_and_b32 s20, ttmp6, 15
	s_mul_i32 s21, ttmp9, s8
	s_load_b128 s[8:11], s[0:1], 0x38
	s_wait_xcnt 0x0
	s_add_co_i32 s0, s20, s21
	v_dual_lshlrev_b32 v2, 3, v0 :: v_dual_lshlrev_b32 v6, 9, v0
	v_mov_b32_e32 v3, 0
	s_delay_alu instid0(VALU_DEP_2)
	v_or_b32_e32 v10, 0x8000, v2
	s_wait_kmcnt 0x0
	s_ashr_i32 s31, s14, 31
	s_ashr_i32 s23, s18, 31
	s_min_i32 s1, s26, 64
	s_add_co_i32 s3, s3, -1
	s_add_co_i32 s20, s1, -1
	s_cmp_eq_u32 s2, 0
	s_mov_b32 s30, s14
	s_cselect_b32 s0, ttmp9, s0
	s_delay_alu instid0(SALU_CYCLE_1) | instskip(NEXT) | instid1(SALU_CYCLE_1)
	s_lshl_b32 s2, s0, 6
	s_sub_co_i32 s21, s27, s2
	s_cmp_ge_u32 s0, s3
	v_cmp_gt_i32_e64 s0, s1, v0
	s_cselect_b32 s27, s21, 64
	s_ashr_i32 s3, s2, 31
	s_cmp_lg_u32 s25, 0x84
	v_cmp_gt_i32_e32 vcc_lo, s27, v0
	s_cselect_b32 s21, -1, 0
	s_cmp_gt_i32 s26, 0
	s_cselect_b32 s25, -1, 0
	s_cmp_lg_u32 s24, 0x6f
	s_cselect_b32 s22, -1, 0
	s_lshl_b64 s[2:3], s[2:3], 3
	s_lshl_b64 s[16:17], s[16:17], 3
	v_or_b32_e32 v1, s2, v2
	s_add_nc_u64 s[10:11], s[10:11], s[16:17]
	s_delay_alu instid0(VALU_DEP_1) | instid1(SALU_CYCLE_1)
	v_mad_nc_u64_u32 v[4:5], v1, s18, s[10:11]
	s_lshl_b64 s[10:11], s[28:29], 3
	s_delay_alu instid0(VALU_DEP_1)
	v_mad_u32 v5, s3, s18, v5
	s_lshl_b64 s[2:3], s[12:13], 3
	s_lshl_b32 s13, s1, 3
	s_add_nc_u64 s[2:3], s[6:7], s[2:3]
	s_and_b32 s12, vcc_lo, s25
	s_lshl_b64 s[6:7], s[30:31], 3
	s_add_co_i32 s13, s13, -8
	s_delay_alu instid0(VALU_DEP_1)
	v_mad_u32 v5, v1, s23, v5
	v_add_nc_u64_e32 v[0:1], s[2:3], v[2:3]
	v_add_nc_u32_e32 v3, v2, v6
	s_lshl_b64 s[2:3], s[8:9], 3
	s_get_pc_i64 s[8:9]
	s_add_nc_u64 s[8:9], s[8:9], __const._ZL38rocblas_trsm_small_left_device_sharedBILi64ELi32ELb1EddPKdPdEv13rocblas_fill_18rocblas_operation_17rocblas_diagonal_iiT3_T4_lilT5_lili.step_sizes@rel64+4
	s_branch .LBB109_3
.LBB109_2:                              ;   in Loop: Header=BB109_3 Depth=1
	s_or_b32 exec_lo, exec_lo, s14
	s_add_co_i32 s19, s19, 0x10000
	s_delay_alu instid0(SALU_CYCLE_1)
	s_cmp_lt_u32 s19, s15
	s_cbranch_scc0 .LBB109_57
.LBB109_3:                              ; =>This Loop Header: Depth=1
                                        ;     Child Loop BB109_5 Depth 2
                                        ;     Child Loop BB109_11 Depth 2
	;; [unrolled: 1-line block ×3, first 2 shown]
                                        ;       Child Loop BB109_18 Depth 3
                                        ;         Child Loop BB109_19 Depth 4
                                        ;         Child Loop BB109_21 Depth 4
                                        ;           Child Loop BB109_22 Depth 5
                                        ;         Child Loop BB109_26 Depth 4
                                        ;           Child Loop BB109_28 Depth 5
                                        ;     Child Loop BB109_36 Depth 2
                                        ;       Child Loop BB109_39 Depth 3
                                        ;         Child Loop BB109_40 Depth 4
                                        ;         Child Loop BB109_43 Depth 4
                                        ;           Child Loop BB109_44 Depth 5
                                        ;         Child Loop BB109_48 Depth 4
                                        ;           Child Loop BB109_50 Depth 5
                                        ;     Child Loop BB109_56 Depth 2
	s_and_saveexec_b32 s14, s0
	s_cbranch_execz .LBB109_9
; %bb.4:                                ;   in Loop: Header=BB109_3 Depth=1
	v_mad_nc_u64_u32 v[6:7], s2, s19, v[0:1]
	v_mov_b32_e32 v8, v2
	s_mov_b32 s16, s1
	s_delay_alu instid0(VALU_DEP_2)
	v_mad_u32 v7, s3, s19, v7
.LBB109_5:                              ;   Parent Loop BB109_3 Depth=1
                                        ; =>  This Inner Loop Header: Depth=2
	global_load_b64 v[12:13], v[6:7], off
	s_wait_xcnt 0x0
	v_add_nc_u64_e32 v[6:7], s[6:7], v[6:7]
	s_add_co_i32 s16, s16, -1
	s_delay_alu instid0(SALU_CYCLE_1)
	s_cmp_eq_u32 s16, 0
	s_wait_loadcnt 0x0
	ds_store_b64 v8, v[12:13]
	v_add_nc_u32_e32 v8, 0x200, v8
	s_cbranch_scc0 .LBB109_5
; %bb.6:                                ;   in Loop: Header=BB109_3 Depth=1
	v_mov_b64_e32 v[6:7], 1.0
	s_and_b32 vcc_lo, exec_lo, s21
	s_cbranch_vccz .LBB109_8
; %bb.7:                                ;   in Loop: Header=BB109_3 Depth=1
	ds_load_b64 v[6:7], v3
	s_wait_dscnt 0x0
	v_div_scale_f64 v[8:9], null, v[6:7], v[6:7], 1.0
	s_delay_alu instid0(VALU_DEP_1) | instskip(SKIP_1) | instid1(TRANS32_DEP_1)
	v_rcp_f64_e32 v[12:13], v[8:9]
	v_nop
	v_fma_f64 v[14:15], -v[8:9], v[12:13], 1.0
	s_delay_alu instid0(VALU_DEP_1) | instskip(NEXT) | instid1(VALU_DEP_1)
	v_fmac_f64_e32 v[12:13], v[12:13], v[14:15]
	v_fma_f64 v[14:15], -v[8:9], v[12:13], 1.0
	s_delay_alu instid0(VALU_DEP_1) | instskip(SKIP_1) | instid1(VALU_DEP_1)
	v_fmac_f64_e32 v[12:13], v[12:13], v[14:15]
	v_div_scale_f64 v[14:15], vcc_lo, 1.0, v[6:7], 1.0
	v_mul_f64_e32 v[16:17], v[14:15], v[12:13]
	s_delay_alu instid0(VALU_DEP_1) | instskip(NEXT) | instid1(VALU_DEP_1)
	v_fma_f64 v[8:9], -v[8:9], v[16:17], v[14:15]
	v_div_fmas_f64 v[8:9], v[8:9], v[12:13], v[16:17]
	s_delay_alu instid0(VALU_DEP_1)
	v_div_fixup_f64 v[6:7], v[8:9], v[6:7], 1.0
.LBB109_8:                              ;   in Loop: Header=BB109_3 Depth=1
	ds_store_b64 v3, v[6:7]
.LBB109_9:                              ;   in Loop: Header=BB109_3 Depth=1
	s_or_b32 exec_lo, exec_lo, s14
	s_delay_alu instid0(VALU_DEP_3) | instskip(NEXT) | instid1(VALU_DEP_1)
	v_mad_nc_u64_u32 v[6:7], s10, s19, v[4:5]
	v_mad_u32 v7, s11, s19, v7
	s_and_saveexec_b32 s14, s12
	s_cbranch_execz .LBB109_12
; %bb.10:                               ;   in Loop: Header=BB109_3 Depth=1
	s_delay_alu instid0(VALU_DEP_1)
	v_mov_b64_e32 v[8:9], v[6:7]
	v_mov_b32_e32 v11, v10
	s_mov_b32 s16, s1
.LBB109_11:                             ;   Parent Loop BB109_3 Depth=1
                                        ; =>  This Inner Loop Header: Depth=2
	global_load_b64 v[12:13], v[8:9], off
	s_wait_xcnt 0x0
	v_add_nc_u64_e32 v[8:9], 8, v[8:9]
	s_add_co_i32 s16, s16, -1
	s_delay_alu instid0(SALU_CYCLE_1)
	s_cmp_lg_u32 s16, 0
	s_wait_loadcnt 0x0
	v_mul_f64_e32 v[12:13], s[4:5], v[12:13]
	ds_store_b64 v11, v[12:13]
	v_add_nc_u32_e32 v11, 0x200, v11
	s_cbranch_scc1 .LBB109_11
.LBB109_12:                             ;   in Loop: Header=BB109_3 Depth=1
	s_or_b32 exec_lo, exec_lo, s14
	s_delay_alu instid0(SALU_CYCLE_1)
	s_and_not1_b32 vcc_lo, exec_lo, s22
	s_mov_b32 s14, -1
	s_wait_dscnt 0x0
	s_barrier_signal -1
	s_barrier_wait -1
	s_cbranch_vccnz .LBB109_33
; %bb.13:                               ;   in Loop: Header=BB109_3 Depth=1
	s_mov_b32 s16, 0
	s_mov_b32 s14, s20
	s_branch .LBB109_15
.LBB109_14:                             ;   in Loop: Header=BB109_15 Depth=2
	s_cmp_gt_i32 s14, -1
	s_cselect_b32 s17, -1, 0
	s_add_co_i32 s18, s16, 1
	s_cmp_lt_u32 s16, 2
	s_wait_xcnt 0x0
	s_cselect_b32 s16, -1, 0
	s_delay_alu instid0(SALU_CYCLE_1) | instskip(NEXT) | instid1(SALU_CYCLE_1)
	s_and_b32 s16, s17, s16
	s_and_b32 vcc_lo, exec_lo, s16
	s_mov_b32 s16, s18
	s_cbranch_vccz .LBB109_32
.LBB109_15:                             ;   Parent Loop BB109_3 Depth=1
                                        ; =>  This Loop Header: Depth=2
                                        ;       Child Loop BB109_18 Depth 3
                                        ;         Child Loop BB109_19 Depth 4
                                        ;         Child Loop BB109_21 Depth 4
                                        ;           Child Loop BB109_22 Depth 5
                                        ;         Child Loop BB109_26 Depth 4
                                        ;           Child Loop BB109_28 Depth 5
	s_load_b32 s17, s[8:9], s16 offset:0x0 scale_offset
	s_wait_kmcnt 0x0
	s_add_co_i32 s18, s17, -1
	s_delay_alu instid0(SALU_CYCLE_1)
	s_cmp_lt_i32 s14, s18
	s_cbranch_scc1 .LBB109_14
; %bb.16:                               ;   in Loop: Header=BB109_15 Depth=2
	s_lshl_b32 s25, s14, 9
	s_lshl_b32 s24, s17, 9
	v_add_nc_u32_e32 v11, s25, v10
	s_max_i32 s23, s17, 1
	s_sub_co_i32 s24, 0, s24
	s_add_co_i32 s25, s13, s25
	s_mul_i32 s26, s14, 0x208
	s_mul_i32 s27, s17, 0xfffffdf8
	s_branch .LBB109_18
.LBB109_17:                             ;   in Loop: Header=BB109_18 Depth=3
	v_add_nc_u32_e32 v11, s24, v11
	s_sub_co_i32 s14, s14, s17
	s_add_co_i32 s25, s25, s24
	s_add_co_i32 s26, s26, s27
	s_cmp_lt_i32 s14, s18
	s_cbranch_scc1 .LBB109_14
.LBB109_18:                             ;   Parent Loop BB109_3 Depth=1
                                        ;     Parent Loop BB109_15 Depth=2
                                        ; =>    This Loop Header: Depth=3
                                        ;         Child Loop BB109_19 Depth 4
                                        ;         Child Loop BB109_21 Depth 4
                                        ;           Child Loop BB109_22 Depth 5
                                        ;         Child Loop BB109_26 Depth 4
                                        ;           Child Loop BB109_28 Depth 5
	s_wait_xcnt 0x0
	v_mov_b32_e32 v8, v11
	s_mov_b32 s28, 0
	s_mov_b32 s29, s23
.LBB109_19:                             ;   Parent Loop BB109_3 Depth=1
                                        ;     Parent Loop BB109_15 Depth=2
                                        ;       Parent Loop BB109_18 Depth=3
                                        ; =>      This Inner Loop Header: Depth=4
	ds_load_b64 v[12:13], v8
	v_add_nc_u32_e32 v8, 0xfffffe00, v8
	s_add_co_i32 s29, s29, -1
	s_wait_dscnt 0x0
	scratch_store_b64 off, v[12:13], s28
	s_wait_xcnt 0x0
	s_add_co_i32 s28, s28, 8
	s_cmp_eq_u32 s29, 0
	s_cbranch_scc0 .LBB109_19
; %bb.20:                               ;   in Loop: Header=BB109_18 Depth=3
	s_cmp_le_i32 s20, s14
	s_mov_b32 s28, s25
	s_mov_b32 s29, s20
	s_cbranch_scc1 .LBB109_24
.LBB109_21:                             ;   Parent Loop BB109_3 Depth=1
                                        ;     Parent Loop BB109_15 Depth=2
                                        ;       Parent Loop BB109_18 Depth=3
                                        ; =>      This Loop Header: Depth=4
                                        ;           Child Loop BB109_22 Depth 5
	v_lshl_add_u32 v8, s29, 9, v10
	s_mov_b32 s30, 0
	s_mov_b32 s31, s28
	;; [unrolled: 1-line block ×3, first 2 shown]
	ds_load_b64 v[8:9], v8
.LBB109_22:                             ;   Parent Loop BB109_3 Depth=1
                                        ;     Parent Loop BB109_15 Depth=2
                                        ;       Parent Loop BB109_18 Depth=3
                                        ;         Parent Loop BB109_21 Depth=4
                                        ; =>        This Inner Loop Header: Depth=5
	scratch_load_b64 v[12:13], off, s30
	v_mov_b32_e32 v14, s31
	s_add_co_i32 s33, s33, -1
	s_addk_co_i32 s31, 0xfe00
	ds_load_b64 v[14:15], v14
	s_wait_loadcnt_dscnt 0x0
	v_fma_f64 v[12:13], -v[8:9], v[14:15], v[12:13]
	scratch_store_b64 off, v[12:13], s30
	s_wait_xcnt 0x0
	s_add_co_i32 s30, s30, 8
	s_cmp_eq_u32 s33, 0
	s_cbranch_scc0 .LBB109_22
; %bb.23:                               ;   in Loop: Header=BB109_21 Depth=4
	s_add_co_i32 s29, s29, -1
	s_add_co_i32 s28, s28, -8
	s_cmp_le_i32 s29, s14
	s_cbranch_scc0 .LBB109_21
.LBB109_24:                             ;   in Loop: Header=BB109_18 Depth=3
	s_lshl_b32 s28, s14, 9
	s_mov_b32 s29, 0
	s_mov_b32 s30, s26
	s_branch .LBB109_26
.LBB109_25:                             ;   in Loop: Header=BB109_26 Depth=4
	s_wait_xcnt 0x0
	s_mulk_i32 s33, 0x208
	s_addk_co_i32 s30, 0xfe00
	v_mov_b32_e32 v12, s33
	s_lshl_b32 s33, s29, 3
	s_add_co_i32 s29, s29, 1
	s_delay_alu instid0(SALU_CYCLE_1)
	s_cmp_eq_u32 s29, s23
	ds_load_b64 v[12:13], v12
	s_wait_loadcnt_dscnt 0x0
	v_dual_mul_f64 v[8:9], v[12:13], v[8:9] :: v_dual_add_nc_u32 v12, s31, v10
	scratch_store_b64 off, v[8:9], s33
	ds_store_b64 v12, v[8:9]
	s_cbranch_scc1 .LBB109_17
.LBB109_26:                             ;   Parent Loop BB109_3 Depth=1
                                        ;     Parent Loop BB109_15 Depth=2
                                        ;       Parent Loop BB109_18 Depth=3
                                        ; =>      This Loop Header: Depth=4
                                        ;           Child Loop BB109_28 Depth 5
	s_cmp_lg_u32 s29, 0
	s_cbranch_scc0 .LBB109_30
; %bb.27:                               ;   in Loop: Header=BB109_26 Depth=4
	s_lshl_b32 s34, s29, 3
	s_wait_xcnt 0x0
	s_sub_co_i32 s33, s14, s29
	scratch_load_b64 v[8:9], off, s34
	s_lshl_b32 s31, s33, 9
	s_mov_b32 s35, 0
	s_mov_b32 s36, s30
	;; [unrolled: 1-line block ×3, first 2 shown]
.LBB109_28:                             ;   Parent Loop BB109_3 Depth=1
                                        ;     Parent Loop BB109_15 Depth=2
                                        ;       Parent Loop BB109_18 Depth=3
                                        ;         Parent Loop BB109_26 Depth=4
                                        ; =>        This Inner Loop Header: Depth=5
	scratch_load_b64 v[12:13], off, s35
	v_mov_b32_e32 v14, s36
	s_add_co_i32 s37, s37, -1
	s_add_co_i32 s36, s36, -8
	s_wait_xcnt 0x0
	s_add_co_i32 s35, s35, 8
	s_cmp_eq_u32 s37, 0
	ds_load_b64 v[14:15], v14
	s_wait_loadcnt_dscnt 0x0
	v_fma_f64 v[8:9], -v[12:13], v[14:15], v[8:9]
	scratch_store_b64 off, v[8:9], s34
	s_cbranch_scc0 .LBB109_28
; %bb.29:                               ;   in Loop: Header=BB109_26 Depth=4
	s_wait_xcnt 0x0
	s_branch .LBB109_25
.LBB109_30:                             ;   in Loop: Header=BB109_26 Depth=4
                                        ; implicit-def: $vgpr8_vgpr9
                                        ; implicit-def: $sgpr33
                                        ; implicit-def: $sgpr31
	s_cbranch_execz .LBB109_25
; %bb.31:                               ;   in Loop: Header=BB109_26 Depth=4
	scratch_load_b64 v[8:9], off, off
	s_mov_b32 s31, s28
	s_mov_b32 s33, s14
	s_branch .LBB109_25
.LBB109_32:                             ;   in Loop: Header=BB109_3 Depth=1
	s_mov_b32 s14, 0
.LBB109_33:                             ;   in Loop: Header=BB109_3 Depth=1
	s_delay_alu instid0(SALU_CYCLE_1)
	s_and_b32 vcc_lo, exec_lo, s14
	s_cbranch_vccz .LBB109_54
; %bb.34:                               ;   in Loop: Header=BB109_3 Depth=1
	s_mov_b32 s14, 0
	s_mov_b32 s16, 0
	s_branch .LBB109_36
.LBB109_35:                             ;   in Loop: Header=BB109_36 Depth=2
	s_cmp_lt_i32 s14, s1
	s_cselect_b32 s17, -1, 0
	s_add_co_i32 s18, s16, 1
	s_cmp_lt_u32 s16, 2
	s_cselect_b32 s16, -1, 0
	s_delay_alu instid0(SALU_CYCLE_1) | instskip(NEXT) | instid1(SALU_CYCLE_1)
	s_and_b32 s16, s17, s16
	s_and_not1_b32 vcc_lo, exec_lo, s16
	s_mov_b32 s16, s18
	s_cbranch_vccnz .LBB109_54
.LBB109_36:                             ;   Parent Loop BB109_3 Depth=1
                                        ; =>  This Loop Header: Depth=2
                                        ;       Child Loop BB109_39 Depth 3
                                        ;         Child Loop BB109_40 Depth 4
                                        ;         Child Loop BB109_43 Depth 4
                                        ;           Child Loop BB109_44 Depth 5
                                        ;         Child Loop BB109_48 Depth 4
                                        ;           Child Loop BB109_50 Depth 5
	s_load_b32 s17, s[8:9], s16 offset:0x0 scale_offset
	s_wait_kmcnt 0x0
	s_add_co_i32 s18, s17, -1
	s_delay_alu instid0(SALU_CYCLE_1) | instskip(NEXT) | instid1(SALU_CYCLE_1)
	s_add_co_i32 s23, s18, s14
	s_cmp_ge_i32 s23, s1
	s_cbranch_scc1 .LBB109_35
; %bb.37:                               ;   in Loop: Header=BB109_36 Depth=2
	v_lshl_add_u32 v11, s14, 9, v10
	s_max_i32 s23, s17, 1
	s_lshl_b32 s24, s17, 9
	s_lshl_b32 s25, s14, 3
	;; [unrolled: 1-line block ×3, first 2 shown]
	s_mul_i32 s27, s14, 0x208
	s_mul_i32 s28, s17, 0x208
	s_branch .LBB109_39
.LBB109_38:                             ;   in Loop: Header=BB109_39 Depth=3
	s_add_co_i32 s14, s14, s17
	v_add_nc_u32_e32 v11, s24, v11
	s_add_co_i32 s29, s18, s14
	s_add_co_i32 s25, s25, s26
	;; [unrolled: 1-line block ×3, first 2 shown]
	s_cmp_ge_i32 s29, s1
	s_cbranch_scc1 .LBB109_35
.LBB109_39:                             ;   Parent Loop BB109_3 Depth=1
                                        ;     Parent Loop BB109_36 Depth=2
                                        ; =>    This Loop Header: Depth=3
                                        ;         Child Loop BB109_40 Depth 4
                                        ;         Child Loop BB109_43 Depth 4
                                        ;           Child Loop BB109_44 Depth 5
                                        ;         Child Loop BB109_48 Depth 4
                                        ;           Child Loop BB109_50 Depth 5
	s_wait_xcnt 0x0
	v_mov_b32_e32 v8, v11
	s_mov_b32 s29, 0
	s_mov_b32 s30, s23
.LBB109_40:                             ;   Parent Loop BB109_3 Depth=1
                                        ;     Parent Loop BB109_36 Depth=2
                                        ;       Parent Loop BB109_39 Depth=3
                                        ; =>      This Inner Loop Header: Depth=4
	ds_load_b64 v[12:13], v8
	v_add_nc_u32_e32 v8, 0x200, v8
	s_add_co_i32 s30, s30, -1
	s_wait_dscnt 0x0
	scratch_store_b64 off, v[12:13], s29
	s_wait_xcnt 0x0
	s_add_co_i32 s29, s29, 8
	s_cmp_eq_u32 s30, 0
	s_cbranch_scc0 .LBB109_40
; %bb.41:                               ;   in Loop: Header=BB109_39 Depth=3
	s_cmp_lt_i32 s14, 1
	s_cbranch_scc1 .LBB109_46
; %bb.42:                               ;   in Loop: Header=BB109_39 Depth=3
	s_mov_b32 s29, 0
	s_mov_b32 s30, s25
.LBB109_43:                             ;   Parent Loop BB109_3 Depth=1
                                        ;     Parent Loop BB109_36 Depth=2
                                        ;       Parent Loop BB109_39 Depth=3
                                        ; =>      This Loop Header: Depth=4
                                        ;           Child Loop BB109_44 Depth 5
	v_lshl_add_u32 v8, s29, 9, v10
	s_mov_b32 s31, 0
	s_mov_b32 s33, s30
	;; [unrolled: 1-line block ×3, first 2 shown]
	ds_load_b64 v[8:9], v8
.LBB109_44:                             ;   Parent Loop BB109_3 Depth=1
                                        ;     Parent Loop BB109_36 Depth=2
                                        ;       Parent Loop BB109_39 Depth=3
                                        ;         Parent Loop BB109_43 Depth=4
                                        ; =>        This Inner Loop Header: Depth=5
	scratch_load_b64 v[12:13], off, s31
	v_mov_b32_e32 v14, s33
	s_add_co_i32 s34, s34, -1
	s_add_co_i32 s33, s33, 8
	ds_load_b64 v[14:15], v14
	s_wait_loadcnt_dscnt 0x0
	v_fma_f64 v[12:13], -v[8:9], v[14:15], v[12:13]
	scratch_store_b64 off, v[12:13], s31
	s_wait_xcnt 0x0
	s_add_co_i32 s31, s31, 8
	s_cmp_eq_u32 s34, 0
	s_cbranch_scc0 .LBB109_44
; %bb.45:                               ;   in Loop: Header=BB109_43 Depth=4
	s_add_co_i32 s29, s29, 1
	s_addk_co_i32 s30, 0x200
	s_cmp_eq_u32 s29, s14
	s_cbranch_scc0 .LBB109_43
.LBB109_46:                             ;   in Loop: Header=BB109_39 Depth=3
	s_mov_b32 s29, 0
	s_mov_b32 s30, s27
	s_branch .LBB109_48
.LBB109_47:                             ;   in Loop: Header=BB109_48 Depth=4
	s_add_co_i32 s31, s29, s14
	s_add_co_i32 s30, s30, 8
	s_wait_xcnt 0x0
	s_mul_i32 s33, s31, 0x208
	s_delay_alu instid0(SALU_CYCLE_1) | instskip(SKIP_2) | instid1(SALU_CYCLE_1)
	v_mov_b32_e32 v12, s33
	s_lshl_b32 s33, s29, 3
	s_add_co_i32 s29, s29, 1
	s_cmp_eq_u32 s29, s23
	ds_load_b64 v[12:13], v12
	s_wait_loadcnt_dscnt 0x0
	v_mul_f64_e32 v[8:9], v[12:13], v[8:9]
	v_lshl_add_u32 v12, s31, 9, v10
	scratch_store_b64 off, v[8:9], s33
	ds_store_b64 v12, v[8:9]
	s_cbranch_scc1 .LBB109_38
.LBB109_48:                             ;   Parent Loop BB109_3 Depth=1
                                        ;     Parent Loop BB109_36 Depth=2
                                        ;       Parent Loop BB109_39 Depth=3
                                        ; =>      This Loop Header: Depth=4
                                        ;           Child Loop BB109_50 Depth 5
	s_cmp_lg_u32 s29, 0
	s_cbranch_scc0 .LBB109_52
; %bb.49:                               ;   in Loop: Header=BB109_48 Depth=4
	s_lshl_b32 s31, s29, 3
	s_wait_xcnt 0x0
	s_mov_b32 s33, 0
	scratch_load_b64 v[8:9], off, s31
	s_mov_b32 s34, s30
	s_mov_b32 s35, s29
.LBB109_50:                             ;   Parent Loop BB109_3 Depth=1
                                        ;     Parent Loop BB109_36 Depth=2
                                        ;       Parent Loop BB109_39 Depth=3
                                        ;         Parent Loop BB109_48 Depth=4
                                        ; =>        This Inner Loop Header: Depth=5
	scratch_load_b64 v[12:13], off, s33
	v_mov_b32_e32 v14, s34
	s_add_co_i32 s35, s35, -1
	s_addk_co_i32 s34, 0x200
	s_wait_xcnt 0x0
	s_add_co_i32 s33, s33, 8
	s_cmp_eq_u32 s35, 0
	ds_load_b64 v[14:15], v14
	s_wait_loadcnt_dscnt 0x0
	v_fma_f64 v[8:9], -v[12:13], v[14:15], v[8:9]
	scratch_store_b64 off, v[8:9], s31
	s_cbranch_scc0 .LBB109_50
; %bb.51:                               ;   in Loop: Header=BB109_48 Depth=4
	s_wait_xcnt 0x0
	s_branch .LBB109_47
.LBB109_52:                             ;   in Loop: Header=BB109_48 Depth=4
                                        ; implicit-def: $vgpr8_vgpr9
	s_cbranch_execz .LBB109_47
; %bb.53:                               ;   in Loop: Header=BB109_48 Depth=4
	scratch_load_b64 v[8:9], off, off
	s_branch .LBB109_47
.LBB109_54:                             ;   in Loop: Header=BB109_3 Depth=1
	s_wait_storecnt_dscnt 0x0
	s_barrier_signal -1
	s_barrier_wait -1
	s_wait_xcnt 0x0
	s_and_saveexec_b32 s14, s12
	s_cbranch_execz .LBB109_2
; %bb.55:                               ;   in Loop: Header=BB109_3 Depth=1
	v_mov_b32_e32 v8, v10
	s_mov_b32 s16, s1
.LBB109_56:                             ;   Parent Loop BB109_3 Depth=1
                                        ; =>  This Inner Loop Header: Depth=2
	ds_load_b64 v[12:13], v8
	v_add_nc_u32_e32 v8, 0x200, v8
	s_add_co_i32 s16, s16, -1
	s_delay_alu instid0(SALU_CYCLE_1)
	s_cmp_lg_u32 s16, 0
	s_wait_dscnt 0x0
	global_store_b64 v[6:7], v[12:13], off
	s_wait_xcnt 0x0
	v_add_nc_u64_e32 v[6:7], 8, v[6:7]
	s_cbranch_scc1 .LBB109_56
	s_branch .LBB109_2
.LBB109_57:
	s_endpgm
	.section	.rodata,"a",@progbits
	.p2align	6, 0x0
	.amdhsa_kernel _ZL38rocblas_trsm_small_left_device_sharedBILi64ELi32ELb1EddPKdPdEv13rocblas_fill_18rocblas_operation_17rocblas_diagonal_iiT3_T4_lilT5_lili
		.amdhsa_group_segment_fixed_size 65536
		.amdhsa_private_segment_fixed_size 272
		.amdhsa_kernarg_size 360
		.amdhsa_user_sgpr_count 2
		.amdhsa_user_sgpr_dispatch_ptr 0
		.amdhsa_user_sgpr_queue_ptr 0
		.amdhsa_user_sgpr_kernarg_segment_ptr 1
		.amdhsa_user_sgpr_dispatch_id 0
		.amdhsa_user_sgpr_kernarg_preload_length 0
		.amdhsa_user_sgpr_kernarg_preload_offset 0
		.amdhsa_user_sgpr_private_segment_size 0
		.amdhsa_wavefront_size32 1
		.amdhsa_uses_dynamic_stack 0
		.amdhsa_enable_private_segment 1
		.amdhsa_system_sgpr_workgroup_id_x 1
		.amdhsa_system_sgpr_workgroup_id_y 0
		.amdhsa_system_sgpr_workgroup_id_z 1
		.amdhsa_system_sgpr_workgroup_info 0
		.amdhsa_system_vgpr_workitem_id 0
		.amdhsa_next_free_vgpr 257
		.amdhsa_next_free_sgpr 38
		.amdhsa_named_barrier_count 0
		.amdhsa_reserve_vcc 1
		.amdhsa_float_round_mode_32 0
		.amdhsa_float_round_mode_16_64 0
		.amdhsa_float_denorm_mode_32 3
		.amdhsa_float_denorm_mode_16_64 3
		.amdhsa_fp16_overflow 0
		.amdhsa_memory_ordered 1
		.amdhsa_forward_progress 1
		.amdhsa_inst_pref_size 17
		.amdhsa_round_robin_scheduling 0
		.amdhsa_exception_fp_ieee_invalid_op 0
		.amdhsa_exception_fp_denorm_src 0
		.amdhsa_exception_fp_ieee_div_zero 0
		.amdhsa_exception_fp_ieee_overflow 0
		.amdhsa_exception_fp_ieee_underflow 0
		.amdhsa_exception_fp_ieee_inexact 0
		.amdhsa_exception_int_div_zero 0
	.end_amdhsa_kernel
	.section	.text._ZL38rocblas_trsm_small_left_device_sharedBILi64ELi32ELb1EddPKdPdEv13rocblas_fill_18rocblas_operation_17rocblas_diagonal_iiT3_T4_lilT5_lili,"axG",@progbits,_ZL38rocblas_trsm_small_left_device_sharedBILi64ELi32ELb1EddPKdPdEv13rocblas_fill_18rocblas_operation_17rocblas_diagonal_iiT3_T4_lilT5_lili,comdat
.Lfunc_end109:
	.size	_ZL38rocblas_trsm_small_left_device_sharedBILi64ELi32ELb1EddPKdPdEv13rocblas_fill_18rocblas_operation_17rocblas_diagonal_iiT3_T4_lilT5_lili, .Lfunc_end109-_ZL38rocblas_trsm_small_left_device_sharedBILi64ELi32ELb1EddPKdPdEv13rocblas_fill_18rocblas_operation_17rocblas_diagonal_iiT3_T4_lilT5_lili
                                        ; -- End function
	.set _ZL38rocblas_trsm_small_left_device_sharedBILi64ELi32ELb1EddPKdPdEv13rocblas_fill_18rocblas_operation_17rocblas_diagonal_iiT3_T4_lilT5_lili.num_vgpr, 18
	.set _ZL38rocblas_trsm_small_left_device_sharedBILi64ELi32ELb1EddPKdPdEv13rocblas_fill_18rocblas_operation_17rocblas_diagonal_iiT3_T4_lilT5_lili.num_agpr, 0
	.set _ZL38rocblas_trsm_small_left_device_sharedBILi64ELi32ELb1EddPKdPdEv13rocblas_fill_18rocblas_operation_17rocblas_diagonal_iiT3_T4_lilT5_lili.numbered_sgpr, 38
	.set _ZL38rocblas_trsm_small_left_device_sharedBILi64ELi32ELb1EddPKdPdEv13rocblas_fill_18rocblas_operation_17rocblas_diagonal_iiT3_T4_lilT5_lili.num_named_barrier, 0
	.set _ZL38rocblas_trsm_small_left_device_sharedBILi64ELi32ELb1EddPKdPdEv13rocblas_fill_18rocblas_operation_17rocblas_diagonal_iiT3_T4_lilT5_lili.private_seg_size, 272
	.set _ZL38rocblas_trsm_small_left_device_sharedBILi64ELi32ELb1EddPKdPdEv13rocblas_fill_18rocblas_operation_17rocblas_diagonal_iiT3_T4_lilT5_lili.uses_vcc, 1
	.set _ZL38rocblas_trsm_small_left_device_sharedBILi64ELi32ELb1EddPKdPdEv13rocblas_fill_18rocblas_operation_17rocblas_diagonal_iiT3_T4_lilT5_lili.uses_flat_scratch, 0
	.set _ZL38rocblas_trsm_small_left_device_sharedBILi64ELi32ELb1EddPKdPdEv13rocblas_fill_18rocblas_operation_17rocblas_diagonal_iiT3_T4_lilT5_lili.has_dyn_sized_stack, 0
	.set _ZL38rocblas_trsm_small_left_device_sharedBILi64ELi32ELb1EddPKdPdEv13rocblas_fill_18rocblas_operation_17rocblas_diagonal_iiT3_T4_lilT5_lili.has_recursion, 0
	.set _ZL38rocblas_trsm_small_left_device_sharedBILi64ELi32ELb1EddPKdPdEv13rocblas_fill_18rocblas_operation_17rocblas_diagonal_iiT3_T4_lilT5_lili.has_indirect_call, 0
	.section	.AMDGPU.csdata,"",@progbits
; Kernel info:
; codeLenInByte = 2092
; TotalNumSgprs: 40
; NumVgprs: 18
; ScratchSize: 272
; MemoryBound: 0
; FloatMode: 240
; IeeeMode: 1
; LDSByteSize: 65536 bytes/workgroup (compile time only)
; SGPRBlocks: 0
; VGPRBlocks: 16
; NumSGPRsForWavesPerEU: 40
; NumVGPRsForWavesPerEU: 257
; NamedBarCnt: 0
; Occupancy: 3
; WaveLimiterHint : 0
; COMPUTE_PGM_RSRC2:SCRATCH_EN: 1
; COMPUTE_PGM_RSRC2:USER_SGPR: 2
; COMPUTE_PGM_RSRC2:TRAP_HANDLER: 0
; COMPUTE_PGM_RSRC2:TGID_X_EN: 1
; COMPUTE_PGM_RSRC2:TGID_Y_EN: 0
; COMPUTE_PGM_RSRC2:TGID_Z_EN: 1
; COMPUTE_PGM_RSRC2:TIDIG_COMP_CNT: 0
	.section	.text._ZL30rocblas_trsm_small_left_deviceILi64ELi32ELb1EddPKdPdEv13rocblas_fill_18rocblas_operation_17rocblas_diagonal_iiT3_T4_lilT5_lili,"axG",@progbits,_ZL30rocblas_trsm_small_left_deviceILi64ELi32ELb1EddPKdPdEv13rocblas_fill_18rocblas_operation_17rocblas_diagonal_iiT3_T4_lilT5_lili,comdat
	.globl	_ZL30rocblas_trsm_small_left_deviceILi64ELi32ELb1EddPKdPdEv13rocblas_fill_18rocblas_operation_17rocblas_diagonal_iiT3_T4_lilT5_lili ; -- Begin function _ZL30rocblas_trsm_small_left_deviceILi64ELi32ELb1EddPKdPdEv13rocblas_fill_18rocblas_operation_17rocblas_diagonal_iiT3_T4_lilT5_lili
	.p2align	8
	.type	_ZL30rocblas_trsm_small_left_deviceILi64ELi32ELb1EddPKdPdEv13rocblas_fill_18rocblas_operation_17rocblas_diagonal_iiT3_T4_lilT5_lili,@function
_ZL30rocblas_trsm_small_left_deviceILi64ELi32ELb1EddPKdPdEv13rocblas_fill_18rocblas_operation_17rocblas_diagonal_iiT3_T4_lilT5_lili: ; @_ZL30rocblas_trsm_small_left_deviceILi64ELi32ELb1EddPKdPdEv13rocblas_fill_18rocblas_operation_17rocblas_diagonal_iiT3_T4_lilT5_lili
; %bb.0:
	s_load_b32 s26, s[0:1], 0x60
	s_bfe_u32 s2, ttmp6, 0x40014
	s_lshr_b32 s4, ttmp7, 16
	s_add_co_i32 s2, s2, 1
	s_bfe_u32 s5, ttmp6, 0x40008
	s_mul_i32 s2, s4, s2
	s_getreg_b32 s3, hwreg(HW_REG_IB_STS2, 6, 4)
	s_add_co_i32 s5, s5, s2
	s_cmp_eq_u32 s3, 0
	s_mov_b32 s19, 0
	s_cselect_b32 s2, s4, s5
	s_wait_kmcnt 0x0
	s_cmp_ge_u32 s2, s26
	s_cbranch_scc1 .LBB110_54
; %bb.1:
	s_clause 0x4
	s_load_b96 s[16:18], s[0:1], 0x28
	s_load_b96 s[28:30], s[0:1], 0x48
	s_load_b128 s[8:11], s[0:1], 0x4
	s_load_b32 s22, s[0:1], 0x68
	s_load_b64 s[20:21], s[0:1], 0x58
	s_bfe_u32 s12, ttmp6, 0x4000c
	s_and_b32 s23, ttmp6, 15
	s_add_co_i32 s12, s12, 1
	s_load_b128 s[4:7], s[0:1], 0x18
	s_mul_i32 s24, ttmp9, s12
	s_load_b128 s[12:15], s[0:1], 0x38
	s_wait_xcnt 0x0
	s_add_co_i32 s0, s23, s24
	s_mov_b32 s33, 0
                                        ; implicit-def: $sgpr34
                                        ; implicit-def: $sgpr35
	v_lshlrev_b32_e32 v1, 9, v0
	s_wait_kmcnt 0x0
	s_ashr_i32 s23, s18, 31
	s_ashr_i32 s1, s30, 31
	s_min_i32 s27, s10, 64
	s_lshl_b64 s[24:25], s[28:29], 3
	s_add_co_i32 s10, s22, -1
	s_add_co_i32 s28, s27, -1
	s_cmp_eq_u32 s3, 0
	s_mov_b32 s22, s18
	s_cselect_b32 s3, ttmp9, s0
	s_mov_b32 s0, s30
	s_lshl_b32 s29, s3, 6
	s_add_nc_u64 s[14:15], s[14:15], s[24:25]
	v_or_b32_e32 v2, s29, v0
	s_delay_alu instid0(VALU_DEP_1) | instskip(NEXT) | instid1(VALU_DEP_1)
	v_ashrrev_i32_e32 v3, 31, v2
	v_mul_u64_e32 v[4:5], s[0:1], v[2:3]
	s_sub_co_i32 s0, s11, s29
	s_cmp_ge_u32 s3, s10
	v_lshlrev_b32_e32 v2, 3, v0
	s_cselect_b32 s1, s0, 64
	s_cmp_lg_u32 s9, 0x84
	v_mov_b32_e32 v3, 0
	s_cselect_b32 s29, -1, 0
	s_cmp_lg_u32 s8, 0x6f
	v_add_nc_u32_e32 v14, v2, v1
	s_cselect_b32 s30, -1, 0
	s_lshl_b64 s[16:17], s[16:17], 3
	v_cmp_gt_i32_e64 s0, s27, v0
	s_add_nc_u64 s[6:7], s[6:7], s[16:17]
	v_cmp_gt_i32_e64 s1, s1, v0
	v_add_nc_u64_e32 v[0:1], s[6:7], v[2:3]
	s_lshl_b32 s31, s27, 3
	s_lshl_b64 s[8:9], s[12:13], 3
	s_lshl_b64 s[10:11], s[22:23], 3
	;; [unrolled: 1-line block ×3, first 2 shown]
	s_add_co_i32 s31, s31, -8
	s_get_pc_i64 s[6:7]
	s_add_nc_u64 s[6:7], s[6:7], __const._ZL30rocblas_trsm_small_left_deviceILi64ELi32ELb1EddPKdPdEv13rocblas_fill_18rocblas_operation_17rocblas_diagonal_iiT3_T4_lilT5_lili.step_sizes@rel64+4
	v_lshl_add_u64 v[4:5], v[4:5], 3, s[14:15]
	s_branch .LBB110_4
.LBB110_2:                              ;   in Loop: Header=BB110_4 Depth=1
	s_add_co_i32 s2, s2, 0x10000
	s_delay_alu instid0(SALU_CYCLE_1)
	s_cmp_ge_u32 s2, s26
	s_cselect_b32 s3, -1, 0
	s_and_not1_b32 s35, s35, exec_lo
	s_or_not1_b32 s14, s3, exec_lo
.LBB110_3:                              ;   in Loop: Header=BB110_4 Depth=1
	s_wait_xcnt 0x0
	s_or_b32 exec_lo, exec_lo, s36
	s_delay_alu instid0(SALU_CYCLE_1) | instskip(NEXT) | instid1(SALU_CYCLE_1)
	s_and_b32 s3, exec_lo, s14
	s_or_b32 s33, s3, s33
	s_and_not1_b32 s3, s34, exec_lo
	s_and_b32 s14, s35, exec_lo
	s_delay_alu instid0(SALU_CYCLE_1)
	s_or_b32 s34, s3, s14
	s_and_not1_b32 exec_lo, exec_lo, s33
	s_cbranch_execz .LBB110_53
.LBB110_4:                              ; =>This Loop Header: Depth=1
                                        ;     Child Loop BB110_6 Depth 2
                                        ;     Child Loop BB110_14 Depth 2
                                        ;       Child Loop BB110_17 Depth 3
                                        ;         Child Loop BB110_18 Depth 4
                                        ;         Child Loop BB110_20 Depth 4
                                        ;           Child Loop BB110_21 Depth 5
                                        ;         Child Loop BB110_25 Depth 4
                                        ;           Child Loop BB110_27 Depth 5
                                        ;     Child Loop BB110_35 Depth 2
                                        ;       Child Loop BB110_38 Depth 3
                                        ;         Child Loop BB110_39 Depth 4
                                        ;         Child Loop BB110_42 Depth 4
                                        ;           Child Loop BB110_43 Depth 5
                                        ;         Child Loop BB110_47 Depth 4
                                        ;           Child Loop BB110_49 Depth 5
	s_mov_b32 s3, s19
	s_and_saveexec_b32 s14, s0
	s_cbranch_execz .LBB110_10
; %bb.5:                                ;   in Loop: Header=BB110_4 Depth=1
	v_mad_nc_u64_u32 v[6:7], s8, s2, v[0:1]
	v_mov_b32_e32 v3, v2
	s_mov_b32 s15, s27
	s_delay_alu instid0(VALU_DEP_2)
	v_mad_u32 v7, s9, s2, v7
.LBB110_6:                              ;   Parent Loop BB110_4 Depth=1
                                        ; =>  This Inner Loop Header: Depth=2
	global_load_b64 v[8:9], v[6:7], off
	s_wait_xcnt 0x0
	v_add_nc_u64_e32 v[6:7], s[10:11], v[6:7]
	s_add_co_i32 s15, s15, -1
	s_delay_alu instid0(SALU_CYCLE_1)
	s_cmp_eq_u32 s15, 0
	s_wait_loadcnt 0x0
	ds_store_b64 v3, v[8:9]
	v_add_nc_u32_e32 v3, 0x200, v3
	s_cbranch_scc0 .LBB110_6
; %bb.7:                                ;   in Loop: Header=BB110_4 Depth=1
	v_mov_b64_e32 v[6:7], 1.0
	s_and_b32 vcc_lo, exec_lo, s29
	s_cbranch_vccz .LBB110_9
; %bb.8:                                ;   in Loop: Header=BB110_4 Depth=1
	ds_load_b64 v[6:7], v14
	s_wait_dscnt 0x0
	v_div_scale_f64 v[8:9], null, v[6:7], v[6:7], 1.0
	s_delay_alu instid0(VALU_DEP_1) | instskip(SKIP_1) | instid1(TRANS32_DEP_1)
	v_rcp_f64_e32 v[10:11], v[8:9]
	v_nop
	v_fma_f64 v[12:13], -v[8:9], v[10:11], 1.0
	s_delay_alu instid0(VALU_DEP_1) | instskip(NEXT) | instid1(VALU_DEP_1)
	v_fmac_f64_e32 v[10:11], v[10:11], v[12:13]
	v_fma_f64 v[12:13], -v[8:9], v[10:11], 1.0
	s_delay_alu instid0(VALU_DEP_1) | instskip(SKIP_1) | instid1(VALU_DEP_1)
	v_fmac_f64_e32 v[10:11], v[10:11], v[12:13]
	v_div_scale_f64 v[12:13], vcc_lo, 1.0, v[6:7], 1.0
	v_mul_f64_e32 v[16:17], v[12:13], v[10:11]
	s_delay_alu instid0(VALU_DEP_1) | instskip(NEXT) | instid1(VALU_DEP_1)
	v_fma_f64 v[8:9], -v[8:9], v[16:17], v[12:13]
	v_div_fmas_f64 v[8:9], v[8:9], v[10:11], v[16:17]
	s_delay_alu instid0(VALU_DEP_1)
	v_div_fixup_f64 v[6:7], v[8:9], v[6:7], 1.0
.LBB110_9:                              ;   in Loop: Header=BB110_4 Depth=1
	ds_store_b64 v14, v[6:7]
.LBB110_10:                             ;   in Loop: Header=BB110_4 Depth=1
	s_or_b32 exec_lo, exec_lo, s14
	s_mov_b32 s14, -1
	s_or_b32 s35, s35, exec_lo
	s_wait_dscnt 0x0
	s_barrier_signal -1
	s_barrier_wait -1
	s_and_saveexec_b32 s36, s1
	s_cbranch_execz .LBB110_3
; %bb.11:                               ;   in Loop: Header=BB110_4 Depth=1
	s_mul_u64 s[14:15], s[20:21], s[2:3]
	s_and_not1_b32 vcc_lo, exec_lo, s30
	v_lshl_add_u64 v[6:7], s[14:15], 3, v[4:5]
	s_mul_u64 s[14:15], s[12:13], s[2:3]
	s_mov_b32 s3, -1
	s_cbranch_vccnz .LBB110_32
; %bb.12:                               ;   in Loop: Header=BB110_4 Depth=1
	v_add_nc_u64_e32 v[8:9], s[14:15], v[4:5]
	s_mov_b32 s3, 0
	s_mov_b32 s16, s28
	s_branch .LBB110_14
.LBB110_13:                             ;   in Loop: Header=BB110_14 Depth=2
	s_cmp_gt_i32 s16, -1
	s_cselect_b32 s17, -1, 0
	s_add_co_i32 s18, s3, 1
	s_cmp_lt_u32 s3, 2
	s_wait_xcnt 0x0
	s_cselect_b32 s3, -1, 0
	s_delay_alu instid0(SALU_CYCLE_1) | instskip(NEXT) | instid1(SALU_CYCLE_1)
	s_and_b32 s3, s17, s3
	s_and_b32 vcc_lo, exec_lo, s3
	s_mov_b32 s3, s18
	s_cbranch_vccz .LBB110_31
.LBB110_14:                             ;   Parent Loop BB110_4 Depth=1
                                        ; =>  This Loop Header: Depth=2
                                        ;       Child Loop BB110_17 Depth 3
                                        ;         Child Loop BB110_18 Depth 4
                                        ;         Child Loop BB110_20 Depth 4
                                        ;           Child Loop BB110_21 Depth 5
                                        ;         Child Loop BB110_25 Depth 4
                                        ;           Child Loop BB110_27 Depth 5
	s_load_b32 s18, s[6:7], s3 offset:0x0 scale_offset
	s_wait_kmcnt 0x0
	s_add_co_i32 s37, s18, -1
	s_delay_alu instid0(SALU_CYCLE_1)
	s_cmp_lt_i32 s16, s37
	s_cbranch_scc1 .LBB110_13
; %bb.15:                               ;   in Loop: Header=BB110_14 Depth=2
	s_lshl_b32 s17, s16, 9
	s_lshl_b32 s22, s18, 9
	s_max_i32 s38, s18, 1
	s_add_co_i32 s39, s31, s17
	s_sub_co_i32 s40, 0, s22
	s_mul_i32 s41, s16, 0x208
	s_mul_i32 s42, s18, 0xfffffdf8
	s_branch .LBB110_17
.LBB110_16:                             ;   in Loop: Header=BB110_17 Depth=3
	s_sub_co_i32 s16, s16, s18
	s_add_co_i32 s39, s39, s40
	s_add_co_i32 s41, s41, s42
	s_cmp_lt_i32 s16, s37
	s_cbranch_scc1 .LBB110_13
.LBB110_17:                             ;   Parent Loop BB110_4 Depth=1
                                        ;     Parent Loop BB110_14 Depth=2
                                        ; =>    This Loop Header: Depth=3
                                        ;         Child Loop BB110_18 Depth 4
                                        ;         Child Loop BB110_20 Depth 4
                                        ;           Child Loop BB110_21 Depth 5
                                        ;         Child Loop BB110_25 Depth 4
                                        ;           Child Loop BB110_27 Depth 5
	s_ashr_i32 s17, s16, 31
	s_mov_b32 s22, 0
	s_wait_xcnt 0x0
	v_lshl_add_u64 v[10:11], s[16:17], 3, v[8:9]
	s_mov_b32 s23, s38
.LBB110_18:                             ;   Parent Loop BB110_4 Depth=1
                                        ;     Parent Loop BB110_14 Depth=2
                                        ;       Parent Loop BB110_17 Depth=3
                                        ; =>      This Inner Loop Header: Depth=4
	global_load_b64 v[12:13], v[10:11], off
	s_wait_xcnt 0x0
	v_add_nc_u64_e32 v[10:11], -8, v[10:11]
	s_add_co_i32 s23, s23, -1
	s_wait_loadcnt 0x0
	v_mul_f64_e32 v[12:13], s[4:5], v[12:13]
	scratch_store_b64 off, v[12:13], s22
	s_wait_xcnt 0x0
	s_add_co_i32 s22, s22, 8
	s_cmp_eq_u32 s23, 0
	s_cbranch_scc0 .LBB110_18
; %bb.19:                               ;   in Loop: Header=BB110_17 Depth=3
	s_cmp_le_i32 s28, s16
	s_mov_b32 s24, s39
	s_mov_b32 s22, s28
	s_cbranch_scc1 .LBB110_23
.LBB110_20:                             ;   Parent Loop BB110_4 Depth=1
                                        ;     Parent Loop BB110_14 Depth=2
                                        ;       Parent Loop BB110_17 Depth=3
                                        ; =>      This Loop Header: Depth=4
                                        ;           Child Loop BB110_21 Depth 5
	s_ashr_i32 s23, s22, 31
	s_mov_b32 s25, s24
	v_lshl_add_u64 v[10:11], s[22:23], 3, v[6:7]
	s_mov_b32 s23, 0
	s_mov_b32 s43, s38
	global_load_b64 v[10:11], v[10:11], off
.LBB110_21:                             ;   Parent Loop BB110_4 Depth=1
                                        ;     Parent Loop BB110_14 Depth=2
                                        ;       Parent Loop BB110_17 Depth=3
                                        ;         Parent Loop BB110_20 Depth=4
                                        ; =>        This Inner Loop Header: Depth=5
	scratch_load_b64 v[12:13], off, s23
	v_mov_b32_e32 v3, s25
	s_add_co_i32 s43, s43, -1
	s_addk_co_i32 s25, 0xfe00
	ds_load_b64 v[16:17], v3
	s_wait_loadcnt_dscnt 0x0
	v_fma_f64 v[12:13], -v[10:11], v[16:17], v[12:13]
	scratch_store_b64 off, v[12:13], s23
	s_wait_xcnt 0x0
	s_add_co_i32 s23, s23, 8
	s_cmp_eq_u32 s43, 0
	s_cbranch_scc0 .LBB110_21
; %bb.22:                               ;   in Loop: Header=BB110_20 Depth=4
	s_add_co_i32 s22, s22, -1
	s_add_co_i32 s24, s24, -8
	s_cmp_le_i32 s22, s16
	s_cbranch_scc0 .LBB110_20
.LBB110_23:                             ;   in Loop: Header=BB110_17 Depth=3
	s_mov_b32 s43, 0
	s_mov_b32 s44, s41
	s_branch .LBB110_25
.LBB110_24:                             ;   in Loop: Header=BB110_25 Depth=4
	s_wait_xcnt 0x1
	s_mulk_i32 s24, 0x208
	s_addk_co_i32 s44, 0xfe00
	v_mov_b32_e32 v3, s24
	s_lshl_b32 s24, s43, 3
	s_add_co_i32 s43, s43, 1
	s_delay_alu instid0(SALU_CYCLE_1)
	s_cmp_eq_u32 s43, s38
	s_wait_xcnt 0x0
	ds_load_b64 v[12:13], v3
	s_wait_loadcnt_dscnt 0x0
	v_mul_f64_e32 v[10:11], v[12:13], v[10:11]
	v_lshl_add_u64 v[12:13], s[22:23], 3, v[6:7]
	scratch_store_b64 off, v[10:11], s24
	global_store_b64 v[12:13], v[10:11], off
	s_cbranch_scc1 .LBB110_16
.LBB110_25:                             ;   Parent Loop BB110_4 Depth=1
                                        ;     Parent Loop BB110_14 Depth=2
                                        ;       Parent Loop BB110_17 Depth=3
                                        ; =>      This Loop Header: Depth=4
                                        ;           Child Loop BB110_27 Depth 5
	s_cmp_lg_u32 s43, 0
	s_cbranch_scc0 .LBB110_29
; %bb.26:                               ;   in Loop: Header=BB110_25 Depth=4
	s_lshl_b32 s22, s43, 3
	s_mov_b32 s23, 0
	scratch_load_b64 v[10:11], off, s22
	s_mov_b32 s24, s44
	s_mov_b32 s25, s43
.LBB110_27:                             ;   Parent Loop BB110_4 Depth=1
                                        ;     Parent Loop BB110_14 Depth=2
                                        ;       Parent Loop BB110_17 Depth=3
                                        ;         Parent Loop BB110_25 Depth=4
                                        ; =>        This Inner Loop Header: Depth=5
	scratch_load_b64 v[12:13], off, s23
	v_mov_b32_e32 v3, s24
	s_add_co_i32 s25, s25, -1
	s_add_co_i32 s24, s24, -8
	s_wait_xcnt 0x0
	s_add_co_i32 s23, s23, 8
	s_cmp_eq_u32 s25, 0
	ds_load_b64 v[16:17], v3
	s_wait_loadcnt_dscnt 0x0
	v_fma_f64 v[10:11], -v[12:13], v[16:17], v[10:11]
	scratch_store_b64 off, v[10:11], s22
	s_cbranch_scc0 .LBB110_27
; %bb.28:                               ;   in Loop: Header=BB110_25 Depth=4
	s_sub_co_i32 s24, s16, s43
	s_delay_alu instid0(SALU_CYCLE_1)
	s_ashr_i32 s25, s24, 31
	s_wait_xcnt 0x0
	s_mov_b64 s[22:23], s[24:25]
	s_branch .LBB110_24
.LBB110_29:                             ;   in Loop: Header=BB110_25 Depth=4
                                        ; implicit-def: $vgpr10_vgpr11
                                        ; implicit-def: $sgpr24
                                        ; implicit-def: $sgpr22_sgpr23
	s_cbranch_execz .LBB110_24
; %bb.30:                               ;   in Loop: Header=BB110_25 Depth=4
	scratch_load_b64 v[10:11], off, off
	s_mov_b64 s[22:23], s[16:17]
	s_mov_b32 s24, s16
	s_branch .LBB110_24
.LBB110_31:                             ;   in Loop: Header=BB110_4 Depth=1
	s_mov_b32 s3, 0
.LBB110_32:                             ;   in Loop: Header=BB110_4 Depth=1
	s_delay_alu instid0(SALU_CYCLE_1)
	s_and_b32 vcc_lo, exec_lo, s3
	s_cbranch_vccz .LBB110_2
; %bb.33:                               ;   in Loop: Header=BB110_4 Depth=1
	v_add_nc_u64_e32 v[8:9], s[14:15], v[4:5]
	s_mov_b32 s14, 0
	s_mov_b32 s3, 0
	s_branch .LBB110_35
.LBB110_34:                             ;   in Loop: Header=BB110_35 Depth=2
	s_cmp_lt_i32 s14, s27
	s_cselect_b32 s15, -1, 0
	s_add_co_i32 s16, s3, 1
	s_cmp_lt_u32 s3, 2
	s_wait_xcnt 0x0
	s_cselect_b32 s3, -1, 0
	s_delay_alu instid0(SALU_CYCLE_1) | instskip(NEXT) | instid1(SALU_CYCLE_1)
	s_and_b32 s3, s15, s3
	s_and_not1_b32 vcc_lo, exec_lo, s3
	s_mov_b32 s3, s16
	s_cbranch_vccnz .LBB110_2
.LBB110_35:                             ;   Parent Loop BB110_4 Depth=1
                                        ; =>  This Loop Header: Depth=2
                                        ;       Child Loop BB110_38 Depth 3
                                        ;         Child Loop BB110_39 Depth 4
                                        ;         Child Loop BB110_42 Depth 4
                                        ;           Child Loop BB110_43 Depth 5
                                        ;         Child Loop BB110_47 Depth 4
                                        ;           Child Loop BB110_49 Depth 5
	s_load_b32 s16, s[6:7], s3 offset:0x0 scale_offset
	s_wait_kmcnt 0x0
	s_add_co_i32 s24, s16, -1
	s_delay_alu instid0(SALU_CYCLE_1) | instskip(NEXT) | instid1(SALU_CYCLE_1)
	s_add_co_i32 s15, s24, s14
	s_cmp_ge_i32 s15, s27
	s_cbranch_scc1 .LBB110_34
; %bb.36:                               ;   in Loop: Header=BB110_35 Depth=2
	s_ashr_i32 s15, s14, 31
	s_ashr_i32 s17, s16, 31
	v_lshl_add_u64 v[10:11], s[14:15], 3, v[8:9]
	s_max_i32 s25, s16, 1
	s_lshl_b64 s[22:23], s[16:17], 3
	s_lshl_b32 s15, s14, 3
	s_lshl_b32 s17, s16, 3
	s_mul_i32 s37, s14, 0x208
	s_mul_i32 s38, s16, 0x208
	s_branch .LBB110_38
.LBB110_37:                             ;   in Loop: Header=BB110_38 Depth=3
	v_add_nc_u64_e32 v[10:11], s[22:23], v[10:11]
	s_add_co_i32 s14, s14, s16
	s_add_co_i32 s15, s15, s17
	;; [unrolled: 1-line block ×4, first 2 shown]
	s_cmp_ge_i32 s18, s27
	s_cbranch_scc1 .LBB110_34
.LBB110_38:                             ;   Parent Loop BB110_4 Depth=1
                                        ;     Parent Loop BB110_35 Depth=2
                                        ; =>    This Loop Header: Depth=3
                                        ;         Child Loop BB110_39 Depth 4
                                        ;         Child Loop BB110_42 Depth 4
                                        ;           Child Loop BB110_43 Depth 5
                                        ;         Child Loop BB110_47 Depth 4
                                        ;           Child Loop BB110_49 Depth 5
	s_wait_xcnt 0x0
	v_mov_b64_e32 v[12:13], v[10:11]
	s_mov_b32 s18, 0
	s_mov_b32 s39, s25
.LBB110_39:                             ;   Parent Loop BB110_4 Depth=1
                                        ;     Parent Loop BB110_35 Depth=2
                                        ;       Parent Loop BB110_38 Depth=3
                                        ; =>      This Inner Loop Header: Depth=4
	global_load_b64 v[16:17], v[12:13], off
	s_wait_xcnt 0x0
	v_add_nc_u64_e32 v[12:13], 8, v[12:13]
	s_add_co_i32 s39, s39, -1
	s_wait_loadcnt 0x0
	v_mul_f64_e32 v[16:17], s[4:5], v[16:17]
	scratch_store_b64 off, v[16:17], s18
	s_wait_xcnt 0x0
	s_add_co_i32 s18, s18, 8
	s_cmp_eq_u32 s39, 0
	s_cbranch_scc0 .LBB110_39
; %bb.40:                               ;   in Loop: Header=BB110_38 Depth=3
	s_cmp_lt_i32 s14, 1
	s_cbranch_scc1 .LBB110_45
; %bb.41:                               ;   in Loop: Header=BB110_38 Depth=3
	s_mov_b32 s18, 0
	s_mov_b32 s39, s15
.LBB110_42:                             ;   Parent Loop BB110_4 Depth=1
                                        ;     Parent Loop BB110_35 Depth=2
                                        ;       Parent Loop BB110_38 Depth=3
                                        ; =>      This Loop Header: Depth=4
                                        ;           Child Loop BB110_43 Depth 5
	v_lshl_add_u64 v[12:13], s[18:19], 3, v[6:7]
	s_mov_b32 s40, 0
	s_mov_b32 s41, s39
	;; [unrolled: 1-line block ×3, first 2 shown]
	global_load_b64 v[12:13], v[12:13], off
.LBB110_43:                             ;   Parent Loop BB110_4 Depth=1
                                        ;     Parent Loop BB110_35 Depth=2
                                        ;       Parent Loop BB110_38 Depth=3
                                        ;         Parent Loop BB110_42 Depth=4
                                        ; =>        This Inner Loop Header: Depth=5
	scratch_load_b64 v[16:17], off, s40
	v_mov_b32_e32 v3, s41
	s_add_co_i32 s42, s42, -1
	s_add_co_i32 s41, s41, 8
	ds_load_b64 v[18:19], v3
	s_wait_loadcnt_dscnt 0x0
	v_fma_f64 v[16:17], -v[12:13], v[18:19], v[16:17]
	scratch_store_b64 off, v[16:17], s40
	s_wait_xcnt 0x0
	s_add_co_i32 s40, s40, 8
	s_cmp_eq_u32 s42, 0
	s_cbranch_scc0 .LBB110_43
; %bb.44:                               ;   in Loop: Header=BB110_42 Depth=4
	s_add_co_i32 s18, s18, 1
	s_addk_co_i32 s39, 0x200
	s_cmp_eq_u32 s18, s14
	s_cbranch_scc0 .LBB110_42
.LBB110_45:                             ;   in Loop: Header=BB110_38 Depth=3
	s_mov_b32 s18, 0
	s_mov_b32 s39, s37
	s_branch .LBB110_47
.LBB110_46:                             ;   in Loop: Header=BB110_47 Depth=4
	s_add_co_i32 s40, s18, s14
	s_wait_xcnt 0x1
	s_lshl_b32 s42, s18, 3
	s_mul_i32 s41, s40, 0x208
	s_add_co_i32 s18, s18, 1
	v_mov_b32_e32 v3, s41
	s_ashr_i32 s41, s40, 31
	s_add_co_i32 s39, s39, 8
	s_cmp_eq_u32 s18, s25
	s_wait_xcnt 0x0
	ds_load_b64 v[16:17], v3
	s_wait_loadcnt_dscnt 0x0
	v_mul_f64_e32 v[12:13], v[16:17], v[12:13]
	v_lshl_add_u64 v[16:17], s[40:41], 3, v[6:7]
	scratch_store_b64 off, v[12:13], s42
	global_store_b64 v[16:17], v[12:13], off
	s_cbranch_scc1 .LBB110_37
.LBB110_47:                             ;   Parent Loop BB110_4 Depth=1
                                        ;     Parent Loop BB110_35 Depth=2
                                        ;       Parent Loop BB110_38 Depth=3
                                        ; =>      This Loop Header: Depth=4
                                        ;           Child Loop BB110_49 Depth 5
	s_cmp_lg_u32 s18, 0
	s_cbranch_scc0 .LBB110_51
; %bb.48:                               ;   in Loop: Header=BB110_47 Depth=4
	s_lshl_b32 s40, s18, 3
	s_mov_b32 s41, 0
	scratch_load_b64 v[12:13], off, s40
	s_mov_b32 s42, s39
	s_mov_b32 s43, s18
.LBB110_49:                             ;   Parent Loop BB110_4 Depth=1
                                        ;     Parent Loop BB110_35 Depth=2
                                        ;       Parent Loop BB110_38 Depth=3
                                        ;         Parent Loop BB110_47 Depth=4
                                        ; =>        This Inner Loop Header: Depth=5
	scratch_load_b64 v[16:17], off, s41
	v_mov_b32_e32 v3, s42
	s_add_co_i32 s43, s43, -1
	s_addk_co_i32 s42, 0x200
	s_wait_xcnt 0x0
	s_add_co_i32 s41, s41, 8
	s_cmp_eq_u32 s43, 0
	ds_load_b64 v[18:19], v3
	s_wait_loadcnt_dscnt 0x0
	v_fma_f64 v[12:13], -v[16:17], v[18:19], v[12:13]
	scratch_store_b64 off, v[12:13], s40
	s_cbranch_scc0 .LBB110_49
; %bb.50:                               ;   in Loop: Header=BB110_47 Depth=4
	s_wait_xcnt 0x0
	s_branch .LBB110_46
.LBB110_51:                             ;   in Loop: Header=BB110_47 Depth=4
                                        ; implicit-def: $vgpr12_vgpr13
	s_cbranch_execz .LBB110_46
; %bb.52:                               ;   in Loop: Header=BB110_47 Depth=4
	scratch_load_b64 v[12:13], off, off
	s_branch .LBB110_46
.LBB110_53:
	s_or_b32 exec_lo, exec_lo, s33
	s_and_saveexec_b32 s0, s34
	s_delay_alu instid0(SALU_CYCLE_1)
	s_xor_b32 s0, exec_lo, s0
.LBB110_54:
	s_endpgm
	.section	.rodata,"a",@progbits
	.p2align	6, 0x0
	.amdhsa_kernel _ZL30rocblas_trsm_small_left_deviceILi64ELi32ELb1EddPKdPdEv13rocblas_fill_18rocblas_operation_17rocblas_diagonal_iiT3_T4_lilT5_lili
		.amdhsa_group_segment_fixed_size 32768
		.amdhsa_private_segment_fixed_size 272
		.amdhsa_kernarg_size 360
		.amdhsa_user_sgpr_count 2
		.amdhsa_user_sgpr_dispatch_ptr 0
		.amdhsa_user_sgpr_queue_ptr 0
		.amdhsa_user_sgpr_kernarg_segment_ptr 1
		.amdhsa_user_sgpr_dispatch_id 0
		.amdhsa_user_sgpr_kernarg_preload_length 0
		.amdhsa_user_sgpr_kernarg_preload_offset 0
		.amdhsa_user_sgpr_private_segment_size 0
		.amdhsa_wavefront_size32 1
		.amdhsa_uses_dynamic_stack 0
		.amdhsa_enable_private_segment 1
		.amdhsa_system_sgpr_workgroup_id_x 1
		.amdhsa_system_sgpr_workgroup_id_y 0
		.amdhsa_system_sgpr_workgroup_id_z 1
		.amdhsa_system_sgpr_workgroup_info 0
		.amdhsa_system_vgpr_workitem_id 0
		.amdhsa_next_free_vgpr 161
		.amdhsa_next_free_sgpr 45
		.amdhsa_named_barrier_count 0
		.amdhsa_reserve_vcc 1
		.amdhsa_float_round_mode_32 0
		.amdhsa_float_round_mode_16_64 0
		.amdhsa_float_denorm_mode_32 3
		.amdhsa_float_denorm_mode_16_64 3
		.amdhsa_fp16_overflow 0
		.amdhsa_memory_ordered 1
		.amdhsa_forward_progress 1
		.amdhsa_inst_pref_size 16
		.amdhsa_round_robin_scheduling 0
		.amdhsa_exception_fp_ieee_invalid_op 0
		.amdhsa_exception_fp_denorm_src 0
		.amdhsa_exception_fp_ieee_div_zero 0
		.amdhsa_exception_fp_ieee_overflow 0
		.amdhsa_exception_fp_ieee_underflow 0
		.amdhsa_exception_fp_ieee_inexact 0
		.amdhsa_exception_int_div_zero 0
	.end_amdhsa_kernel
	.section	.text._ZL30rocblas_trsm_small_left_deviceILi64ELi32ELb1EddPKdPdEv13rocblas_fill_18rocblas_operation_17rocblas_diagonal_iiT3_T4_lilT5_lili,"axG",@progbits,_ZL30rocblas_trsm_small_left_deviceILi64ELi32ELb1EddPKdPdEv13rocblas_fill_18rocblas_operation_17rocblas_diagonal_iiT3_T4_lilT5_lili,comdat
.Lfunc_end110:
	.size	_ZL30rocblas_trsm_small_left_deviceILi64ELi32ELb1EddPKdPdEv13rocblas_fill_18rocblas_operation_17rocblas_diagonal_iiT3_T4_lilT5_lili, .Lfunc_end110-_ZL30rocblas_trsm_small_left_deviceILi64ELi32ELb1EddPKdPdEv13rocblas_fill_18rocblas_operation_17rocblas_diagonal_iiT3_T4_lilT5_lili
                                        ; -- End function
	.set _ZL30rocblas_trsm_small_left_deviceILi64ELi32ELb1EddPKdPdEv13rocblas_fill_18rocblas_operation_17rocblas_diagonal_iiT3_T4_lilT5_lili.num_vgpr, 20
	.set _ZL30rocblas_trsm_small_left_deviceILi64ELi32ELb1EddPKdPdEv13rocblas_fill_18rocblas_operation_17rocblas_diagonal_iiT3_T4_lilT5_lili.num_agpr, 0
	.set _ZL30rocblas_trsm_small_left_deviceILi64ELi32ELb1EddPKdPdEv13rocblas_fill_18rocblas_operation_17rocblas_diagonal_iiT3_T4_lilT5_lili.numbered_sgpr, 45
	.set _ZL30rocblas_trsm_small_left_deviceILi64ELi32ELb1EddPKdPdEv13rocblas_fill_18rocblas_operation_17rocblas_diagonal_iiT3_T4_lilT5_lili.num_named_barrier, 0
	.set _ZL30rocblas_trsm_small_left_deviceILi64ELi32ELb1EddPKdPdEv13rocblas_fill_18rocblas_operation_17rocblas_diagonal_iiT3_T4_lilT5_lili.private_seg_size, 272
	.set _ZL30rocblas_trsm_small_left_deviceILi64ELi32ELb1EddPKdPdEv13rocblas_fill_18rocblas_operation_17rocblas_diagonal_iiT3_T4_lilT5_lili.uses_vcc, 1
	.set _ZL30rocblas_trsm_small_left_deviceILi64ELi32ELb1EddPKdPdEv13rocblas_fill_18rocblas_operation_17rocblas_diagonal_iiT3_T4_lilT5_lili.uses_flat_scratch, 0
	.set _ZL30rocblas_trsm_small_left_deviceILi64ELi32ELb1EddPKdPdEv13rocblas_fill_18rocblas_operation_17rocblas_diagonal_iiT3_T4_lilT5_lili.has_dyn_sized_stack, 0
	.set _ZL30rocblas_trsm_small_left_deviceILi64ELi32ELb1EddPKdPdEv13rocblas_fill_18rocblas_operation_17rocblas_diagonal_iiT3_T4_lilT5_lili.has_recursion, 0
	.set _ZL30rocblas_trsm_small_left_deviceILi64ELi32ELb1EddPKdPdEv13rocblas_fill_18rocblas_operation_17rocblas_diagonal_iiT3_T4_lilT5_lili.has_indirect_call, 0
	.section	.AMDGPU.csdata,"",@progbits
; Kernel info:
; codeLenInByte = 2008
; TotalNumSgprs: 47
; NumVgprs: 20
; ScratchSize: 272
; MemoryBound: 0
; FloatMode: 240
; IeeeMode: 1
; LDSByteSize: 32768 bytes/workgroup (compile time only)
; SGPRBlocks: 0
; VGPRBlocks: 10
; NumSGPRsForWavesPerEU: 47
; NumVGPRsForWavesPerEU: 161
; NamedBarCnt: 0
; Occupancy: 5
; WaveLimiterHint : 0
; COMPUTE_PGM_RSRC2:SCRATCH_EN: 1
; COMPUTE_PGM_RSRC2:USER_SGPR: 2
; COMPUTE_PGM_RSRC2:TRAP_HANDLER: 0
; COMPUTE_PGM_RSRC2:TGID_X_EN: 1
; COMPUTE_PGM_RSRC2:TGID_Y_EN: 0
; COMPUTE_PGM_RSRC2:TGID_Z_EN: 1
; COMPUTE_PGM_RSRC2:TIDIG_COMP_CNT: 0
	.section	.text._ZL31rocblas_trsm_small_right_deviceIddPKdPdLi64EEv13rocblas_fill_18rocblas_operation_17rocblas_diagonal_iiT0_T1_lilT2_lili,"axG",@progbits,_ZL31rocblas_trsm_small_right_deviceIddPKdPdLi64EEv13rocblas_fill_18rocblas_operation_17rocblas_diagonal_iiT0_T1_lilT2_lili,comdat
	.globl	_ZL31rocblas_trsm_small_right_deviceIddPKdPdLi64EEv13rocblas_fill_18rocblas_operation_17rocblas_diagonal_iiT0_T1_lilT2_lili ; -- Begin function _ZL31rocblas_trsm_small_right_deviceIddPKdPdLi64EEv13rocblas_fill_18rocblas_operation_17rocblas_diagonal_iiT0_T1_lilT2_lili
	.p2align	8
	.type	_ZL31rocblas_trsm_small_right_deviceIddPKdPdLi64EEv13rocblas_fill_18rocblas_operation_17rocblas_diagonal_iiT0_T1_lilT2_lili,@function
_ZL31rocblas_trsm_small_right_deviceIddPKdPdLi64EEv13rocblas_fill_18rocblas_operation_17rocblas_diagonal_iiT0_T1_lilT2_lili: ; @_ZL31rocblas_trsm_small_right_deviceIddPKdPdLi64EEv13rocblas_fill_18rocblas_operation_17rocblas_diagonal_iiT0_T1_lilT2_lili
; %bb.0:
	s_load_b32 s23, s[0:1], 0x60
	s_bfe_u32 s2, ttmp6, 0x40014
	s_lshr_b32 s3, ttmp7, 16
	s_add_co_i32 s2, s2, 1
	s_bfe_u32 s5, ttmp6, 0x40008
	s_mul_i32 s4, s3, s2
	s_getreg_b32 s2, hwreg(HW_REG_IB_STS2, 6, 4)
	s_add_co_i32 s5, s5, s4
	s_cmp_eq_u32 s2, 0
	s_cselect_b32 s24, s3, s5
	s_wait_kmcnt 0x0
	s_cmp_ge_u32 s24, s23
	s_cbranch_scc1 .LBB111_82
; %bb.1:
	s_clause 0x6
	s_load_b96 s[16:18], s[0:1], 0x28
	s_load_b96 s[20:22], s[0:1], 0x48
	s_load_b128 s[12:15], s[0:1], 0x0
	s_load_b32 s25, s[0:1], 0x10
	s_load_b32 s3, s[0:1], 0x68
	s_load_b128 s[4:7], s[0:1], 0x18
	s_load_b64 s[34:35], s[0:1], 0x58
	v_dual_lshlrev_b32 v4, 3, v0 :: v_dual_lshlrev_b32 v1, 9, v0
	v_mov_b64_e32 v[10:11], 1.0
	s_delay_alu instid0(VALU_DEP_2) | instskip(NEXT) | instid1(VALU_DEP_3)
	v_or_b32_e32 v18, 0x8000, v4
	v_add_nc_u32_e32 v20, v4, v1
	s_wait_kmcnt 0x0
	s_ashr_i32 s31, s18, 31
	s_ashr_i32 s19, s22, 31
	s_cmp_lg_u32 s12, 0x7a
	s_mov_b32 s30, s18
	s_cselect_b32 s28, -1, 0
	s_bfe_u32 s8, ttmp6, 0x4000c
	s_min_i32 s26, s25, 64
	s_add_co_i32 s8, s8, 1
	s_and_b32 s9, ttmp6, 15
	s_mul_i32 s8, ttmp9, s8
	s_add_co_i32 s3, s3, -1
	s_add_co_i32 s27, s26, -1
	s_add_co_i32 s29, s9, s8
	s_cmp_eq_u32 s2, 0
	s_load_b128 s[8:11], s[0:1], 0x38
	s_cselect_b32 s2, ttmp9, s29
	s_mov_b32 s18, s22
	s_wait_xcnt 0x0
	s_lshl_b32 s0, s2, 6
	s_delay_alu instid0(SALU_CYCLE_1)
	s_sub_co_i32 s0, s15, s0
	s_cmp_ge_u32 s2, s3
	s_cselect_b32 s0, s0, 64
	s_ashr_i32 s3, s2, 31
	v_cmp_gt_i32_e32 vcc_lo, s0, v0
	s_lshl_b64 s[36:37], s[2:3], 9
	s_cmp_eq_u32 s14, 0x84
	s_cselect_b32 s1, -1, 0
	s_cmp_gt_i32 s25, 0
	s_cselect_b32 s2, -1, 0
	s_cmp_lg_u32 s13, 0x6f
	s_cselect_b32 s3, -1, 0
	s_cmp_lg_u32 s12, 0x79
	s_cselect_b32 s0, -1, 0
	s_or_b32 s14, s28, s3
	s_or_b32 s15, s0, s3
	s_cmp_gt_i32 s25, 3
	v_cndmask_b32_e64 v19, 0, 1, s0
	s_cselect_b32 s22, -1, 0
	s_lshl_b64 s[16:17], s[16:17], 3
	s_lshl_b64 s[20:21], s[20:21], 3
	s_lshl_b32 s29, s26, 9
	v_mov_b32_e32 v5, 0
	s_add_nc_u64 s[6:7], s[6:7], s[16:17]
	s_add_nc_u64 s[16:17], s[36:37], s[20:21]
	v_cmp_gt_i32_e64 s0, s26, v0
	v_or_b32_e32 v0, s29, v4
	s_wait_kmcnt 0x0
	s_add_nc_u64 s[10:11], s[10:11], s[16:17]
	v_add_nc_u64_e32 v[6:7], s[6:7], v[4:5]
	v_add_nc_u64_e32 v[8:9], s[10:11], v[4:5]
	s_mul_i32 s17, s26, 0x208
	v_add_nc_u32_e32 v5, 0x7e00, v0
	s_lshl_b64 s[6:7], s[18:19], 3
	s_lshl_b32 s19, s26, 3
	s_and_b32 s28, vcc_lo, s2
	s_lshl_b64 s[2:3], s[8:9], 3
	s_lshl_b64 s[8:9], s[30:31], 3
	s_lshl_b64 s[12:13], s[34:35], 3
	s_add_co_i32 s10, s17, 0xfffffde0
	s_add_co_i32 s11, s29, 0xfffffe00
	;; [unrolled: 1-line block ×3, first 2 shown]
	s_addk_co_i32 s17, 0xf7f8
	s_add_co_i32 s18, s19, -8
	s_addk_co_i32 s19, 0xfdf8
	s_branch .LBB111_3
.LBB111_2:                              ;   in Loop: Header=BB111_3 Depth=1
	s_or_b32 exec_lo, exec_lo, s20
	s_add_co_i32 s24, s24, 0x10000
	s_delay_alu instid0(SALU_CYCLE_1)
	s_cmp_lt_u32 s24, s23
	s_cbranch_scc0 .LBB111_82
.LBB111_3:                              ; =>This Loop Header: Depth=1
                                        ;     Child Loop BB111_5 Depth 2
                                        ;     Child Loop BB111_10 Depth 2
	;; [unrolled: 1-line block ×3, first 2 shown]
                                        ;       Child Loop BB111_17 Depth 3
                                        ;     Child Loop BB111_23 Depth 2
                                        ;       Child Loop BB111_24 Depth 3
                                        ;     Child Loop BB111_28 Depth 2
	;; [unrolled: 2-line block ×3, first 2 shown]
                                        ;     Child Loop BB111_41 Depth 2
                                        ;       Child Loop BB111_42 Depth 3
                                        ;       Child Loop BB111_44 Depth 3
                                        ;     Child Loop BB111_48 Depth 2
                                        ;       Child Loop BB111_49 Depth 3
                                        ;     Child Loop BB111_57 Depth 2
                                        ;     Child Loop BB111_62 Depth 2
                                        ;       Child Loop BB111_63 Depth 3
                                        ;       Child Loop BB111_65 Depth 3
                                        ;     Child Loop BB111_70 Depth 2
                                        ;       Child Loop BB111_71 Depth 3
                                        ;     Child Loop BB111_77 Depth 2
                                        ;       Child Loop BB111_78 Depth 3
                                        ;     Child Loop BB111_81 Depth 2
	s_and_saveexec_b32 s20, s0
	s_cbranch_execz .LBB111_8
; %bb.4:                                ;   in Loop: Header=BB111_3 Depth=1
	v_mad_nc_u64_u32 v[0:1], s2, s24, v[6:7]
	v_mov_b32_e32 v2, v4
	s_mov_b32 s21, s26
	s_delay_alu instid0(VALU_DEP_2)
	v_mad_u32 v1, s3, s24, v1
.LBB111_5:                              ;   Parent Loop BB111_3 Depth=1
                                        ; =>  This Inner Loop Header: Depth=2
	global_load_b64 v[12:13], v[0:1], off
	s_wait_xcnt 0x0
	v_add_nc_u64_e32 v[0:1], s[8:9], v[0:1]
	s_add_co_i32 s21, s21, -1
	s_delay_alu instid0(SALU_CYCLE_1)
	s_cmp_eq_u32 s21, 0
	s_wait_loadcnt 0x0
	ds_store_b64 v2, v[12:13]
	v_add_nc_u32_e32 v2, 0x200, v2
	s_cbranch_scc0 .LBB111_5
; %bb.6:                                ;   in Loop: Header=BB111_3 Depth=1
	s_and_b32 vcc_lo, exec_lo, s1
	s_cbranch_vccz .LBB111_8
; %bb.7:                                ;   in Loop: Header=BB111_3 Depth=1
	ds_store_b64 v20, v[10:11]
.LBB111_8:                              ;   in Loop: Header=BB111_3 Depth=1
	s_or_b32 exec_lo, exec_lo, s20
	v_mad_nc_u64_u32 v[12:13], s12, s24, v[8:9]
	s_delay_alu instid0(VALU_DEP_1)
	v_mad_u32 v13, s13, s24, v13
	s_and_saveexec_b32 s20, s28
	s_cbranch_execz .LBB111_11
; %bb.9:                                ;   in Loop: Header=BB111_3 Depth=1
	s_delay_alu instid0(VALU_DEP_1)
	v_mov_b64_e32 v[0:1], v[12:13]
	v_mov_b32_e32 v2, v18
	s_mov_b32 s21, s25
.LBB111_10:                             ;   Parent Loop BB111_3 Depth=1
                                        ; =>  This Inner Loop Header: Depth=2
	global_load_b64 v[14:15], v[0:1], off
	s_wait_xcnt 0x0
	v_add_nc_u64_e32 v[0:1], s[6:7], v[0:1]
	s_add_co_i32 s21, s21, -1
	s_delay_alu instid0(SALU_CYCLE_1)
	s_cmp_lg_u32 s21, 0
	s_wait_loadcnt 0x0
	v_mul_f64_e32 v[14:15], s[4:5], v[14:15]
	ds_store_b64 v2, v[14:15]
	v_add_nc_u32_e32 v2, 0x200, v2
	s_cbranch_scc1 .LBB111_10
.LBB111_11:                             ;   in Loop: Header=BB111_3 Depth=1
	s_or_b32 exec_lo, exec_lo, s20
	s_delay_alu instid0(SALU_CYCLE_1)
	s_and_b32 vcc_lo, exec_lo, s15
	s_mov_b32 s20, -1
	s_wait_dscnt 0x0
	s_barrier_signal -1
	s_barrier_wait -1
	s_cbranch_vccz .LBB111_67
; %bb.12:                               ;   in Loop: Header=BB111_3 Depth=1
	s_and_b32 vcc_lo, exec_lo, s14
	s_cbranch_vccz .LBB111_46
; %bb.13:                               ;   in Loop: Header=BB111_3 Depth=1
	v_cmp_ne_u32_e32 vcc_lo, 1, v19
	s_cbranch_vccnz .LBB111_26
; %bb.14:                               ;   in Loop: Header=BB111_3 Depth=1
	s_and_not1_b32 vcc_lo, exec_lo, s22
	s_mov_b32 s29, 0
	s_cbranch_vccnz .LBB111_20
; %bb.15:                               ;   in Loop: Header=BB111_3 Depth=1
	s_mov_b32 s20, 0
	s_mov_b32 s21, 0
.LBB111_16:                             ;   Parent Loop BB111_3 Depth=1
                                        ; =>  This Loop Header: Depth=2
                                        ;       Child Loop BB111_17 Depth 3
	s_delay_alu instid0(SALU_CYCLE_1) | instskip(SKIP_2) | instid1(SALU_CYCLE_1)
	s_lshl_b32 s30, s21, 9
	s_or_b32 s29, s21, 1
	s_or_b32 s31, s30, 0x600
	v_dual_add_nc_u32 v21, s30, v18 :: v_dual_add_nc_u32 v22, s31, v18
	v_lshl_add_u32 v23, s29, 9, v18
	v_mov_b32_e32 v24, v18
	ds_load_2addr_stride64_b64 v[0:3], v21 offset1:2
	ds_load_b64 v[16:17], v23
	ds_load_b64 v[14:15], v22
	s_cmp_eq_u32 s21, 0
	s_mov_b32 s31, s20
	s_mov_b32 s33, s21
	s_cbranch_scc1 .LBB111_18
.LBB111_17:                             ;   Parent Loop BB111_3 Depth=1
                                        ;     Parent Loop BB111_16 Depth=2
                                        ; =>    This Inner Loop Header: Depth=3
	v_mov_b32_e32 v25, s31
	s_add_co_i32 s33, s33, -1
	s_addk_co_i32 s31, 0x200
	s_cmp_eq_u32 s33, 0
	ds_load_b64 v[34:35], v24
	ds_load_b128 v[26:29], v25
	ds_load_b128 v[30:33], v25 offset:16
	v_add_nc_u32_e32 v24, 0x200, v24
	s_wait_dscnt 0x1
	v_fma_f64 v[0:1], -v[34:35], v[26:27], v[0:1]
	v_fma_f64 v[16:17], -v[34:35], v[28:29], v[16:17]
	s_wait_dscnt 0x0
	v_fma_f64 v[2:3], -v[34:35], v[30:31], v[2:3]
	v_fma_f64 v[14:15], -v[34:35], v[32:33], v[14:15]
	s_cbranch_scc0 .LBB111_17
.LBB111_18:                             ;   in Loop: Header=BB111_16 Depth=2
	s_lshl_b32 s31, s21, 3
	s_lshl_b32 s29, s29, 3
	s_add_co_i32 s30, s31, s30
	s_delay_alu instid0(SALU_CYCLE_1)
	v_dual_mov_b32 v25, s30 :: v_dual_add_nc_u32 v24, 0x400, v21
	s_addk_co_i32 s30, 0x208
	s_add_co_i32 s20, s20, 32
	s_sub_co_i32 s29, s30, s29
	ds_load_b128 v[26:29], v25
	ds_load_b128 v[30:33], v25 offset:16
	s_add_co_i32 s29, s29, s31
	s_wait_dscnt 0x1
	v_div_scale_f64 v[34:35], null, v[26:27], v[26:27], v[0:1]
	v_div_scale_f64 v[40:41], vcc_lo, v[0:1], v[26:27], v[0:1]
	s_delay_alu instid0(VALU_DEP_2) | instskip(SKIP_1) | instid1(TRANS32_DEP_1)
	v_rcp_f64_e32 v[36:37], v[34:35]
	v_nop
	v_fma_f64 v[38:39], -v[34:35], v[36:37], 1.0
	s_delay_alu instid0(VALU_DEP_1) | instskip(NEXT) | instid1(VALU_DEP_1)
	v_fmac_f64_e32 v[36:37], v[36:37], v[38:39]
	v_fma_f64 v[38:39], -v[34:35], v[36:37], 1.0
	s_delay_alu instid0(VALU_DEP_1) | instskip(NEXT) | instid1(VALU_DEP_1)
	v_fmac_f64_e32 v[36:37], v[36:37], v[38:39]
	v_mul_f64_e32 v[38:39], v[40:41], v[36:37]
	s_delay_alu instid0(VALU_DEP_1) | instskip(NEXT) | instid1(VALU_DEP_1)
	v_fma_f64 v[34:35], -v[34:35], v[38:39], v[40:41]
	v_div_fmas_f64 v[34:35], v[34:35], v[36:37], v[38:39]
	s_delay_alu instid0(VALU_DEP_1) | instskip(NEXT) | instid1(VALU_DEP_1)
	v_div_fixup_f64 v[0:1], v[34:35], v[26:27], v[0:1]
	v_fma_f64 v[16:17], -v[0:1], v[28:29], v[16:17]
	ds_load_2addr_b64 v[26:29], v25 offset0:65 offset1:66
	ds_load_b128 v[34:37], v25 offset:1040
	s_wait_dscnt 0x2
	v_fma_f64 v[2:3], -v[0:1], v[30:31], v[2:3]
	v_fma_f64 v[14:15], -v[0:1], v[32:33], v[14:15]
	s_wait_dscnt 0x1
	v_div_scale_f64 v[38:39], null, v[26:27], v[26:27], v[16:17]
	v_div_scale_f64 v[44:45], vcc_lo, v[16:17], v[26:27], v[16:17]
	s_delay_alu instid0(VALU_DEP_2) | instskip(SKIP_1) | instid1(TRANS32_DEP_1)
	v_rcp_f64_e32 v[40:41], v[38:39]
	v_nop
	v_fma_f64 v[42:43], -v[38:39], v[40:41], 1.0
	s_delay_alu instid0(VALU_DEP_1) | instskip(NEXT) | instid1(VALU_DEP_1)
	v_fmac_f64_e32 v[40:41], v[40:41], v[42:43]
	v_fma_f64 v[42:43], -v[38:39], v[40:41], 1.0
	s_delay_alu instid0(VALU_DEP_1) | instskip(NEXT) | instid1(VALU_DEP_1)
	v_fmac_f64_e32 v[40:41], v[40:41], v[42:43]
	v_mul_f64_e32 v[42:43], v[44:45], v[40:41]
	s_delay_alu instid0(VALU_DEP_1) | instskip(NEXT) | instid1(VALU_DEP_1)
	v_fma_f64 v[38:39], -v[38:39], v[42:43], v[44:45]
	v_div_fmas_f64 v[38:39], v[38:39], v[40:41], v[42:43]
	s_delay_alu instid0(VALU_DEP_1) | instskip(NEXT) | instid1(VALU_DEP_1)
	v_div_fixup_f64 v[16:17], v[38:39], v[26:27], v[16:17]
	v_fma_f64 v[2:3], -v[16:17], v[28:29], v[2:3]
	s_wait_dscnt 0x0
	s_delay_alu instid0(VALU_DEP_1) | instskip(SKIP_1) | instid1(VALU_DEP_2)
	v_div_scale_f64 v[26:27], null, v[34:35], v[34:35], v[2:3]
	v_div_scale_f64 v[38:39], vcc_lo, v[2:3], v[34:35], v[2:3]
	v_rcp_f64_e32 v[28:29], v[26:27]
	v_nop
	s_delay_alu instid0(TRANS32_DEP_1) | instskip(NEXT) | instid1(VALU_DEP_1)
	v_fma_f64 v[30:31], -v[26:27], v[28:29], 1.0
	v_fmac_f64_e32 v[28:29], v[28:29], v[30:31]
	s_delay_alu instid0(VALU_DEP_1) | instskip(NEXT) | instid1(VALU_DEP_1)
	v_fma_f64 v[30:31], -v[26:27], v[28:29], 1.0
	v_fmac_f64_e32 v[28:29], v[28:29], v[30:31]
	s_delay_alu instid0(VALU_DEP_1) | instskip(NEXT) | instid1(VALU_DEP_1)
	v_mul_f64_e32 v[30:31], v[38:39], v[28:29]
	v_fma_f64 v[26:27], -v[26:27], v[30:31], v[38:39]
	s_delay_alu instid0(VALU_DEP_1)
	v_div_fmas_f64 v[26:27], v[26:27], v[28:29], v[30:31]
	v_mov_b32_e32 v28, s29
	s_add_co_i32 s29, s21, 4
	s_add_co_i32 s21, s21, 7
	ds_load_b64 v[28:29], v28 offset:24
	ds_load_b64 v[30:31], v25 offset:1560
	s_cmp_ge_i32 s21, s26
	s_wait_dscnt 0x1
	v_fma_f64 v[14:15], -v[16:17], v[28:29], v[14:15]
	v_div_fixup_f64 v[2:3], v[26:27], v[34:35], v[2:3]
	s_delay_alu instid0(VALU_DEP_1) | instskip(SKIP_1) | instid1(VALU_DEP_1)
	v_fma_f64 v[14:15], -v[2:3], v[36:37], v[14:15]
	s_wait_dscnt 0x0
	v_div_scale_f64 v[26:27], null, v[30:31], v[30:31], v[14:15]
	s_delay_alu instid0(VALU_DEP_1) | instskip(SKIP_1) | instid1(TRANS32_DEP_1)
	v_rcp_f64_e32 v[28:29], v[26:27]
	v_nop
	v_fma_f64 v[32:33], -v[26:27], v[28:29], 1.0
	s_delay_alu instid0(VALU_DEP_1) | instskip(NEXT) | instid1(VALU_DEP_1)
	v_fmac_f64_e32 v[28:29], v[28:29], v[32:33]
	v_fma_f64 v[32:33], -v[26:27], v[28:29], 1.0
	s_delay_alu instid0(VALU_DEP_1) | instskip(SKIP_1) | instid1(VALU_DEP_1)
	v_fmac_f64_e32 v[28:29], v[28:29], v[32:33]
	v_div_scale_f64 v[32:33], vcc_lo, v[14:15], v[30:31], v[14:15]
	v_mul_f64_e32 v[34:35], v[32:33], v[28:29]
	s_delay_alu instid0(VALU_DEP_1) | instskip(NEXT) | instid1(VALU_DEP_1)
	v_fma_f64 v[26:27], -v[26:27], v[34:35], v[32:33]
	v_div_fmas_f64 v[26:27], v[26:27], v[28:29], v[34:35]
	s_delay_alu instid0(VALU_DEP_1)
	v_div_fixup_f64 v[14:15], v[26:27], v[30:31], v[14:15]
	ds_store_b64 v21, v[0:1]
	ds_store_b64 v23, v[16:17]
	;; [unrolled: 1-line block ×4, first 2 shown]
	s_cbranch_scc1 .LBB111_20
; %bb.19:                               ;   in Loop: Header=BB111_16 Depth=2
	s_mov_b32 s21, s29
	s_branch .LBB111_16
.LBB111_20:                             ;   in Loop: Header=BB111_3 Depth=1
	s_cmp_ge_i32 s29, s26
	s_cbranch_scc1 .LBB111_25
; %bb.21:                               ;   in Loop: Header=BB111_3 Depth=1
	s_lshl_b32 s20, s29, 3
	s_branch .LBB111_23
.LBB111_22:                             ;   in Loop: Header=BB111_23 Depth=2
	s_lshl_b32 s30, s29, 3
	s_add_co_i32 s29, s29, 1
	s_add_co_i32 s21, s30, s21
	s_add_co_i32 s20, s20, 8
	v_mov_b32_e32 v3, s21
	s_cmp_ge_i32 s29, s26
	ds_load_b64 v[14:15], v3
	s_wait_dscnt 0x0
	v_div_scale_f64 v[16:17], null, v[14:15], v[14:15], v[0:1]
	s_delay_alu instid0(VALU_DEP_1) | instskip(SKIP_1) | instid1(TRANS32_DEP_1)
	v_rcp_f64_e32 v[22:23], v[16:17]
	v_nop
	v_fma_f64 v[24:25], -v[16:17], v[22:23], 1.0
	s_delay_alu instid0(VALU_DEP_1) | instskip(NEXT) | instid1(VALU_DEP_1)
	v_fmac_f64_e32 v[22:23], v[22:23], v[24:25]
	v_fma_f64 v[24:25], -v[16:17], v[22:23], 1.0
	s_delay_alu instid0(VALU_DEP_1) | instskip(SKIP_1) | instid1(VALU_DEP_1)
	v_fmac_f64_e32 v[22:23], v[22:23], v[24:25]
	v_div_scale_f64 v[24:25], vcc_lo, v[0:1], v[14:15], v[0:1]
	v_mul_f64_e32 v[26:27], v[24:25], v[22:23]
	s_delay_alu instid0(VALU_DEP_1) | instskip(NEXT) | instid1(VALU_DEP_1)
	v_fma_f64 v[16:17], -v[16:17], v[26:27], v[24:25]
	v_div_fmas_f64 v[16:17], v[16:17], v[22:23], v[26:27]
	s_delay_alu instid0(VALU_DEP_1)
	v_div_fixup_f64 v[0:1], v[16:17], v[14:15], v[0:1]
	ds_store_b64 v2, v[0:1]
	s_cbranch_scc1 .LBB111_25
.LBB111_23:                             ;   Parent Loop BB111_3 Depth=1
                                        ; =>  This Loop Header: Depth=2
                                        ;       Child Loop BB111_24 Depth 3
	s_lshl_b32 s21, s29, 9
	s_cmp_eq_u32 s29, 0
	v_dual_mov_b32 v3, v18 :: v_dual_add_nc_u32 v2, s21, v18
	s_mov_b32 s30, s20
	s_mov_b32 s31, s29
	ds_load_b64 v[0:1], v2
	s_cbranch_scc1 .LBB111_22
.LBB111_24:                             ;   Parent Loop BB111_3 Depth=1
                                        ;     Parent Loop BB111_23 Depth=2
                                        ; =>    This Inner Loop Header: Depth=3
	v_mov_b32_e32 v16, s30
	s_add_co_i32 s31, s31, -1
	s_addk_co_i32 s30, 0x200
	s_cmp_eq_u32 s31, 0
	ds_load_b64 v[14:15], v3
	ds_load_b64 v[16:17], v16
	v_add_nc_u32_e32 v3, 0x200, v3
	s_wait_dscnt 0x0
	v_fma_f64 v[0:1], -v[14:15], v[16:17], v[0:1]
	s_cbranch_scc0 .LBB111_24
	s_branch .LBB111_22
.LBB111_25:                             ;   in Loop: Header=BB111_3 Depth=1
	s_mov_b32 s20, 0
.LBB111_26:                             ;   in Loop: Header=BB111_3 Depth=1
	s_delay_alu instid0(SALU_CYCLE_1)
	s_and_b32 vcc_lo, exec_lo, s20
	s_cbranch_vccz .LBB111_45
; %bb.27:                               ;   in Loop: Header=BB111_3 Depth=1
	s_mov_b32 s29, s27
	s_and_not1_b32 vcc_lo, exec_lo, s22
	s_mov_b32 s20, s10
	s_mov_b32 s21, s27
	s_cbranch_vccnz .LBB111_32
.LBB111_28:                             ;   Parent Loop BB111_3 Depth=1
                                        ; =>  This Loop Header: Depth=2
                                        ;       Child Loop BB111_29 Depth 3
	s_add_co_i32 s31, s21, -1
	s_add_co_i32 s33, s21, -3
	v_lshl_add_u32 v21, s21, 9, v18
	s_add_co_i32 s30, s21, -2
	v_lshl_add_u32 v22, s31, 9, v18
	s_lshl_b32 s29, s33, 9
	v_lshl_add_u32 v23, s30, 9, v18
	v_dual_mov_b32 v25, v5 :: v_dual_add_nc_u32 v24, s29, v18
	ds_load_b64 v[16:17], v21
	ds_load_b64 v[14:15], v22
	;; [unrolled: 1-line block ×4, first 2 shown]
	s_cmp_le_i32 s27, s21
	s_mov_b32 s34, s20
	s_mov_b32 s35, s27
	s_cbranch_scc1 .LBB111_30
.LBB111_29:                             ;   Parent Loop BB111_3 Depth=1
                                        ;     Parent Loop BB111_28 Depth=2
                                        ; =>    This Inner Loop Header: Depth=3
	v_mov_b32_e32 v30, s34
	s_add_co_i32 s35, s35, -1
	s_addk_co_i32 s34, 0xfe00
	s_cmp_le_i32 s35, s21
	ds_load_b64 v[34:35], v25
	ds_load_2addr_b64 v[26:29], v30 offset0:2 offset1:3
	ds_load_2addr_b64 v[30:33], v30 offset1:1
	v_add_nc_u32_e32 v25, 0xfffffe00, v25
	s_wait_dscnt 0x1
	v_fma_f64 v[16:17], -v[34:35], v[28:29], v[16:17]
	v_fma_f64 v[14:15], -v[34:35], v[26:27], v[14:15]
	s_wait_dscnt 0x0
	v_fma_f64 v[2:3], -v[34:35], v[32:33], v[2:3]
	v_fma_f64 v[0:1], -v[34:35], v[30:31], v[0:1]
	s_cbranch_scc0 .LBB111_29
.LBB111_30:                             ;   in Loop: Header=BB111_28 Depth=2
	s_lshl_b32 s34, s21, 3
	s_lshl_b32 s35, s21, 9
	;; [unrolled: 1-line block ×3, first 2 shown]
	s_add_co_i32 s35, s34, s35
	s_sub_co_i32 s20, s20, 32
	s_add_co_i32 s36, s35, -8
	s_sub_co_i32 s35, s35, 24
	v_mov_b32_e32 v25, s36
	s_lshl_b32 s36, s31, 9
	s_lshl_b32 s31, s31, 3
	s_add_co_i32 s36, s34, s36
	ds_load_2addr_b64 v[26:29], v25 offset1:1
	s_add_co_i32 s36, s36, -8
	s_delay_alu instid0(SALU_CYCLE_1) | instskip(NEXT) | instid1(SALU_CYCLE_1)
	s_sub_co_i32 s31, s36, s31
	s_add_co_i32 s31, s31, s33
	s_wait_dscnt 0x0
	v_div_scale_f64 v[32:33], null, v[28:29], v[28:29], v[16:17]
	v_div_scale_f64 v[38:39], vcc_lo, v[16:17], v[28:29], v[16:17]
	s_delay_alu instid0(VALU_DEP_2) | instskip(SKIP_1) | instid1(TRANS32_DEP_1)
	v_rcp_f64_e32 v[34:35], v[32:33]
	v_nop
	v_fma_f64 v[36:37], -v[32:33], v[34:35], 1.0
	s_delay_alu instid0(VALU_DEP_1) | instskip(NEXT) | instid1(VALU_DEP_1)
	v_fmac_f64_e32 v[34:35], v[34:35], v[36:37]
	v_fma_f64 v[36:37], -v[32:33], v[34:35], 1.0
	s_delay_alu instid0(VALU_DEP_1) | instskip(NEXT) | instid1(VALU_DEP_1)
	v_fmac_f64_e32 v[34:35], v[34:35], v[36:37]
	v_dual_mul_f64 v[36:37], v[38:39], v[34:35] :: v_dual_mov_b32 v25, s36
	s_delay_alu instid0(VALU_DEP_1)
	v_fma_f64 v[32:33], -v[32:33], v[36:37], v[38:39]
	ds_load_b64 v[30:31], v25
	v_mov_b32_e32 v25, s31
	s_lshl_b32 s31, s30, 9
	s_lshl_b32 s30, s30, 3
	s_add_co_i32 s31, s34, s31
	s_add_co_i32 s34, s34, s29
	s_sub_co_i32 s30, s31, s30
	s_sub_co_i32 s29, s34, 24
	s_add_co_i32 s30, s30, s33
	s_delay_alu instid0(SALU_CYCLE_1) | instskip(SKIP_1) | instid1(VALU_DEP_1)
	s_add_co_i32 s30, s30, -16
	v_div_fmas_f64 v[32:33], v[32:33], v[34:35], v[36:37]
	v_div_fixup_f64 v[32:33], v[32:33], v[28:29], v[16:17]
	s_delay_alu instid0(VALU_DEP_1) | instskip(SKIP_1) | instid1(VALU_DEP_1)
	v_fma_f64 v[34:35], -v[32:33], v[26:27], v[14:15]
	s_wait_dscnt 0x0
	v_div_scale_f64 v[14:15], null, v[30:31], v[30:31], v[34:35]
	v_div_scale_f64 v[28:29], vcc_lo, v[34:35], v[30:31], v[34:35]
	s_delay_alu instid0(VALU_DEP_2) | instskip(SKIP_1) | instid1(TRANS32_DEP_1)
	v_rcp_f64_e32 v[16:17], v[14:15]
	v_nop
	v_fma_f64 v[26:27], -v[14:15], v[16:17], 1.0
	s_delay_alu instid0(VALU_DEP_1) | instskip(NEXT) | instid1(VALU_DEP_1)
	v_fmac_f64_e32 v[16:17], v[16:17], v[26:27]
	v_fma_f64 v[26:27], -v[14:15], v[16:17], 1.0
	s_delay_alu instid0(VALU_DEP_1) | instskip(NEXT) | instid1(VALU_DEP_1)
	v_fmac_f64_e32 v[16:17], v[16:17], v[26:27]
	v_mul_f64_e32 v[26:27], v[28:29], v[16:17]
	s_delay_alu instid0(VALU_DEP_1) | instskip(NEXT) | instid1(VALU_DEP_1)
	v_fma_f64 v[14:15], -v[14:15], v[26:27], v[28:29]
	v_div_fmas_f64 v[36:37], v[14:15], v[16:17], v[26:27]
	v_mov_b32_e32 v14, s35
	ds_load_2addr_b64 v[26:29], v25 offset1:1
	v_mov_b32_e32 v25, s30
	ds_load_2addr_b64 v[14:17], v14 offset1:1
	s_wait_dscnt 0x0
	v_fma_f64 v[2:3], -v[32:33], v[16:17], v[2:3]
	v_fma_f64 v[0:1], -v[32:33], v[14:15], v[0:1]
	v_div_fixup_f64 v[16:17], v[36:37], v[30:31], v[34:35]
	s_delay_alu instid0(VALU_DEP_1)
	v_fma_f64 v[2:3], -v[16:17], v[28:29], v[2:3]
	ds_load_2addr_b64 v[28:31], v25 offset1:1
	v_dual_fma_f64 v[0:1], -v[16:17], v[26:27], v[0:1] :: v_dual_mov_b32 v25, s29
	s_add_co_i32 s29, s21, -4
	s_cmp_lt_i32 s21, 7
	ds_load_b64 v[34:35], v25
	s_wait_dscnt 0x1
	v_div_scale_f64 v[36:37], null, v[30:31], v[30:31], v[2:3]
	v_div_scale_f64 v[42:43], vcc_lo, v[2:3], v[30:31], v[2:3]
	s_delay_alu instid0(VALU_DEP_2) | instskip(SKIP_1) | instid1(TRANS32_DEP_1)
	v_rcp_f64_e32 v[38:39], v[36:37]
	v_nop
	v_fma_f64 v[40:41], -v[36:37], v[38:39], 1.0
	s_delay_alu instid0(VALU_DEP_1) | instskip(NEXT) | instid1(VALU_DEP_1)
	v_fmac_f64_e32 v[38:39], v[38:39], v[40:41]
	v_fma_f64 v[40:41], -v[36:37], v[38:39], 1.0
	s_delay_alu instid0(VALU_DEP_1) | instskip(NEXT) | instid1(VALU_DEP_1)
	v_fmac_f64_e32 v[38:39], v[38:39], v[40:41]
	v_mul_f64_e32 v[40:41], v[42:43], v[38:39]
	s_delay_alu instid0(VALU_DEP_1) | instskip(NEXT) | instid1(VALU_DEP_1)
	v_fma_f64 v[36:37], -v[36:37], v[40:41], v[42:43]
	v_div_fmas_f64 v[14:15], v[36:37], v[38:39], v[40:41]
	s_delay_alu instid0(VALU_DEP_1) | instskip(NEXT) | instid1(VALU_DEP_1)
	v_div_fixup_f64 v[2:3], v[14:15], v[30:31], v[2:3]
	v_fma_f64 v[0:1], -v[2:3], v[28:29], v[0:1]
	s_wait_dscnt 0x0
	s_delay_alu instid0(VALU_DEP_1) | instskip(NEXT) | instid1(VALU_DEP_1)
	v_div_scale_f64 v[14:15], null, v[34:35], v[34:35], v[0:1]
	v_rcp_f64_e32 v[26:27], v[14:15]
	v_nop
	s_delay_alu instid0(TRANS32_DEP_1) | instskip(NEXT) | instid1(VALU_DEP_1)
	v_fma_f64 v[28:29], -v[14:15], v[26:27], 1.0
	v_fmac_f64_e32 v[26:27], v[26:27], v[28:29]
	s_delay_alu instid0(VALU_DEP_1) | instskip(NEXT) | instid1(VALU_DEP_1)
	v_fma_f64 v[28:29], -v[14:15], v[26:27], 1.0
	v_fmac_f64_e32 v[26:27], v[26:27], v[28:29]
	v_div_scale_f64 v[28:29], vcc_lo, v[0:1], v[34:35], v[0:1]
	s_delay_alu instid0(VALU_DEP_1) | instskip(NEXT) | instid1(VALU_DEP_1)
	v_mul_f64_e32 v[30:31], v[28:29], v[26:27]
	v_fma_f64 v[14:15], -v[14:15], v[30:31], v[28:29]
	s_delay_alu instid0(VALU_DEP_1) | instskip(NEXT) | instid1(VALU_DEP_1)
	v_div_fmas_f64 v[14:15], v[14:15], v[26:27], v[30:31]
	v_div_fixup_f64 v[0:1], v[14:15], v[34:35], v[0:1]
	ds_store_b64 v21, v[32:33]
	ds_store_b64 v22, v[16:17]
	;; [unrolled: 1-line block ×4, first 2 shown]
	s_cbranch_scc1 .LBB111_32
; %bb.31:                               ;   in Loop: Header=BB111_28 Depth=2
	s_mov_b32 s21, s29
	s_branch .LBB111_28
.LBB111_32:                             ;   in Loop: Header=BB111_3 Depth=1
	s_cmp_lt_i32 s29, 0
	s_cbranch_scc1 .LBB111_45
; %bb.33:                               ;   in Loop: Header=BB111_3 Depth=1
	s_bitcmp1_b32 s29, 0
	s_cselect_b32 s20, -1, 0
	s_delay_alu instid0(SALU_CYCLE_1)
	s_and_b32 vcc_lo, exec_lo, s20
	s_mov_b32 s20, s29
	s_cbranch_vccnz .LBB111_38
; %bb.34:                               ;   in Loop: Header=BB111_3 Depth=1
	s_lshl_b32 s20, s29, 9
	s_cmp_le_i32 s27, s29
	v_add_nc_u32_e32 v2, s20, v18
	ds_load_b64 v[0:1], v2
	s_cbranch_scc1 .LBB111_37
; %bb.35:                               ;   in Loop: Header=BB111_3 Depth=1
	v_mov_b32_e32 v3, v5
	s_lshl_b32 s21, s29, 3
	s_mov_b32 s30, s27
	s_add_co_i32 s21, s11, s21
.LBB111_36:                             ;   Parent Loop BB111_3 Depth=1
                                        ; =>  This Inner Loop Header: Depth=2
	s_delay_alu instid0(SALU_CYCLE_1)
	v_mov_b32_e32 v16, s21
	s_add_co_i32 s30, s30, -1
	s_addk_co_i32 s21, 0xfe00
	s_cmp_gt_i32 s30, s29
	ds_load_b64 v[14:15], v3
	ds_load_b64 v[16:17], v16
	v_add_nc_u32_e32 v3, 0xfffffe00, v3
	s_wait_dscnt 0x0
	v_fma_f64 v[0:1], -v[14:15], v[16:17], v[0:1]
	s_cbranch_scc1 .LBB111_36
.LBB111_37:                             ;   in Loop: Header=BB111_3 Depth=1
	s_lshl_b32 s21, s29, 3
	s_delay_alu instid0(SALU_CYCLE_1) | instskip(NEXT) | instid1(SALU_CYCLE_1)
	s_add_co_i32 s20, s21, s20
	v_mov_b32_e32 v3, s20
	s_add_co_i32 s20, s29, -1
	ds_load_b64 v[14:15], v3
	s_wait_dscnt 0x0
	v_div_scale_f64 v[16:17], null, v[14:15], v[14:15], v[0:1]
	s_delay_alu instid0(VALU_DEP_1) | instskip(SKIP_1) | instid1(TRANS32_DEP_1)
	v_rcp_f64_e32 v[22:23], v[16:17]
	v_nop
	v_fma_f64 v[24:25], -v[16:17], v[22:23], 1.0
	s_delay_alu instid0(VALU_DEP_1) | instskip(NEXT) | instid1(VALU_DEP_1)
	v_fmac_f64_e32 v[22:23], v[22:23], v[24:25]
	v_fma_f64 v[24:25], -v[16:17], v[22:23], 1.0
	s_delay_alu instid0(VALU_DEP_1) | instskip(SKIP_1) | instid1(VALU_DEP_1)
	v_fmac_f64_e32 v[22:23], v[22:23], v[24:25]
	v_div_scale_f64 v[24:25], vcc_lo, v[0:1], v[14:15], v[0:1]
	v_mul_f64_e32 v[26:27], v[24:25], v[22:23]
	s_delay_alu instid0(VALU_DEP_1) | instskip(NEXT) | instid1(VALU_DEP_1)
	v_fma_f64 v[16:17], -v[16:17], v[26:27], v[24:25]
	v_div_fmas_f64 v[16:17], v[16:17], v[22:23], v[26:27]
	s_delay_alu instid0(VALU_DEP_1)
	v_div_fixup_f64 v[0:1], v[16:17], v[14:15], v[0:1]
	ds_store_b64 v2, v[0:1]
.LBB111_38:                             ;   in Loop: Header=BB111_3 Depth=1
	s_cmp_eq_u32 s29, 0
	s_cbranch_scc1 .LBB111_45
; %bb.39:                               ;   in Loop: Header=BB111_3 Depth=1
	s_lshl_b32 s29, s20, 3
	s_delay_alu instid0(SALU_CYCLE_1)
	s_add_co_i32 s21, s11, s29
	s_add_co_i32 s29, s16, s29
	s_branch .LBB111_41
.LBB111_40:                             ;   in Loop: Header=BB111_41 Depth=2
	s_add_co_i32 s30, s30, s31
	s_add_co_i32 s21, s21, -16
	s_add_co_i32 s30, s30, -8
	;; [unrolled: 1-line block ×3, first 2 shown]
	v_mov_b32_e32 v0, s30
	s_add_co_i32 s30, s20, -2
	s_cmp_lt_i32 s20, 2
	s_mov_b32 s20, s30
	ds_load_b64 v[0:1], v0
	s_wait_dscnt 0x0
	v_div_scale_f64 v[16:17], null, v[0:1], v[0:1], v[2:3]
	s_delay_alu instid0(VALU_DEP_1) | instskip(SKIP_1) | instid1(TRANS32_DEP_1)
	v_rcp_f64_e32 v[22:23], v[16:17]
	v_nop
	v_fma_f64 v[24:25], -v[16:17], v[22:23], 1.0
	s_delay_alu instid0(VALU_DEP_1) | instskip(NEXT) | instid1(VALU_DEP_1)
	v_fmac_f64_e32 v[22:23], v[22:23], v[24:25]
	v_fma_f64 v[24:25], -v[16:17], v[22:23], 1.0
	s_delay_alu instid0(VALU_DEP_1) | instskip(SKIP_1) | instid1(VALU_DEP_1)
	v_fmac_f64_e32 v[22:23], v[22:23], v[24:25]
	v_div_scale_f64 v[24:25], vcc_lo, v[2:3], v[0:1], v[2:3]
	v_mul_f64_e32 v[26:27], v[24:25], v[22:23]
	s_delay_alu instid0(VALU_DEP_1) | instskip(NEXT) | instid1(VALU_DEP_1)
	v_fma_f64 v[16:17], -v[16:17], v[26:27], v[24:25]
	v_div_fmas_f64 v[16:17], v[16:17], v[22:23], v[26:27]
	s_delay_alu instid0(VALU_DEP_1)
	v_div_fixup_f64 v[0:1], v[16:17], v[0:1], v[2:3]
	ds_store_b64 v15, v[0:1]
	s_cbranch_scc1 .LBB111_45
.LBB111_41:                             ;   Parent Loop BB111_3 Depth=1
                                        ; =>  This Loop Header: Depth=2
                                        ;       Child Loop BB111_42 Depth 3
                                        ;       Child Loop BB111_44 Depth 3
	s_lshl_b32 s31, s20, 9
	s_cmp_le_i32 s27, s20
	v_dual_add_nc_u32 v14, s31, v18 :: v_dual_mov_b32 v2, v5
	s_mov_b32 s30, s21
	s_mov_b32 s33, s27
	ds_load_b64 v[0:1], v14
	s_cbranch_scc1 .LBB111_43
.LBB111_42:                             ;   Parent Loop BB111_3 Depth=1
                                        ;     Parent Loop BB111_41 Depth=2
                                        ; =>    This Inner Loop Header: Depth=3
	v_mov_b32_e32 v3, s30
	s_add_co_i32 s33, s33, -1
	s_addk_co_i32 s30, 0xfe00
	s_cmp_le_i32 s33, s20
	ds_load_b64 v[16:17], v2
	ds_load_b64 v[22:23], v3
	v_add_nc_u32_e32 v2, 0xfffffe00, v2
	s_wait_dscnt 0x0
	v_fma_f64 v[0:1], -v[16:17], v[22:23], v[0:1]
	s_cbranch_scc0 .LBB111_42
.LBB111_43:                             ;   in Loop: Header=BB111_41 Depth=2
	s_lshl_b32 s30, s20, 3
	s_mov_b32 s34, s26
	s_add_co_i32 s33, s30, s31
	s_addk_co_i32 s31, 0xfe00
	s_delay_alu instid0(SALU_CYCLE_1)
	v_dual_mov_b32 v2, s33 :: v_dual_add_nc_u32 v15, s31, v18
	s_cmp_le_i32 s26, s20
	s_mov_b32 s33, s29
	ds_load_b64 v[16:17], v2
	ds_load_b64 v[2:3], v15
	s_wait_dscnt 0x1
	v_div_scale_f64 v[22:23], null, v[16:17], v[16:17], v[0:1]
	s_delay_alu instid0(VALU_DEP_1) | instskip(SKIP_1) | instid1(TRANS32_DEP_1)
	v_rcp_f64_e32 v[24:25], v[22:23]
	v_nop
	v_fma_f64 v[26:27], -v[22:23], v[24:25], 1.0
	s_delay_alu instid0(VALU_DEP_1) | instskip(NEXT) | instid1(VALU_DEP_1)
	v_fmac_f64_e32 v[24:25], v[24:25], v[26:27]
	v_fma_f64 v[26:27], -v[22:23], v[24:25], 1.0
	s_delay_alu instid0(VALU_DEP_1) | instskip(SKIP_1) | instid1(VALU_DEP_1)
	v_fmac_f64_e32 v[24:25], v[24:25], v[26:27]
	v_div_scale_f64 v[26:27], vcc_lo, v[0:1], v[16:17], v[0:1]
	v_mul_f64_e32 v[28:29], v[26:27], v[24:25]
	s_delay_alu instid0(VALU_DEP_1) | instskip(NEXT) | instid1(VALU_DEP_1)
	v_fma_f64 v[22:23], -v[22:23], v[28:29], v[26:27]
	v_div_fmas_f64 v[22:23], v[22:23], v[24:25], v[28:29]
	s_delay_alu instid0(VALU_DEP_1)
	v_div_fixup_f64 v[16:17], v[22:23], v[16:17], v[0:1]
	v_mov_b32_e32 v0, v5
	ds_store_b64 v14, v[16:17]
	s_cbranch_scc1 .LBB111_40
.LBB111_44:                             ;   Parent Loop BB111_3 Depth=1
                                        ;     Parent Loop BB111_41 Depth=2
                                        ; =>    This Inner Loop Header: Depth=3
	v_mov_b32_e32 v1, s33
	s_add_co_i32 s34, s34, -1
	s_addk_co_i32 s33, 0xfe00
	s_cmp_gt_i32 s34, s20
	ds_load_b64 v[16:17], v0
	ds_load_b64 v[22:23], v1
	v_add_nc_u32_e32 v0, 0xfffffe00, v0
	s_wait_dscnt 0x0
	v_fma_f64 v[2:3], -v[16:17], v[22:23], v[2:3]
	s_cbranch_scc1 .LBB111_44
	s_branch .LBB111_40
.LBB111_45:                             ;   in Loop: Header=BB111_3 Depth=1
	s_mov_b32 s20, 0
.LBB111_46:                             ;   in Loop: Header=BB111_3 Depth=1
	s_delay_alu instid0(SALU_CYCLE_1)
	s_and_not1_b32 vcc_lo, exec_lo, s20
	s_cbranch_vccnz .LBB111_66
; %bb.47:                               ;   in Loop: Header=BB111_3 Depth=1
	s_mov_b32 s29, s27
	s_and_not1_b32 vcc_lo, exec_lo, s22
	s_mov_b32 s20, s17
	s_mov_b32 s21, s27
	s_cbranch_vccnz .LBB111_53
.LBB111_48:                             ;   Parent Loop BB111_3 Depth=1
                                        ; =>  This Loop Header: Depth=2
                                        ;       Child Loop BB111_49 Depth 3
	s_add_co_i32 s31, s21, -1
	v_lshl_add_u32 v21, s21, 9, v18
	s_add_co_i32 s30, s21, -2
	v_lshl_add_u32 v22, s31, 9, v18
	;; [unrolled: 2-line block ×3, first 2 shown]
	v_lshl_add_u32 v24, s29, 9, v18
	ds_load_b64 v[16:17], v21
	ds_load_b64 v[14:15], v22
	ds_load_b64 v[2:3], v23
	ds_load_b64 v[0:1], v24
	v_mov_b32_e32 v25, v5
	s_cmp_le_i32 s27, s21
	s_mov_b32 s33, s20
	s_mov_b32 s34, s27
	s_cbranch_scc1 .LBB111_50
.LBB111_49:                             ;   Parent Loop BB111_3 Depth=1
                                        ;     Parent Loop BB111_48 Depth=2
                                        ; =>    This Inner Loop Header: Depth=3
	v_mov_b32_e32 v30, s33
	s_add_co_i32 s34, s34, -1
	s_add_co_i32 s33, s33, -8
	s_cmp_le_i32 s34, s21
	ds_load_b64 v[34:35], v25
	ds_load_2addr_stride64_b64 v[26:29], v30 offset0:2 offset1:3
	ds_load_2addr_stride64_b64 v[30:33], v30 offset1:1
	v_add_nc_u32_e32 v25, 0xfffffe00, v25
	s_wait_dscnt 0x1
	v_fma_f64 v[16:17], -v[34:35], v[28:29], v[16:17]
	v_fma_f64 v[14:15], -v[34:35], v[26:27], v[14:15]
	s_wait_dscnt 0x0
	v_fma_f64 v[2:3], -v[34:35], v[32:33], v[2:3]
	v_fma_f64 v[0:1], -v[34:35], v[30:31], v[0:1]
	s_cbranch_scc0 .LBB111_49
.LBB111_50:                             ;   in Loop: Header=BB111_48 Depth=2
	s_lshl_b32 s35, s31, 6
	s_lshl_b32 s34, s30, 6
	;; [unrolled: 1-line block ×3, first 2 shown]
; %bb.51:                               ;   in Loop: Header=BB111_48 Depth=2
	s_mul_i32 s36, s21, 0x208
	s_lshl_b32 s35, s35, 3
	v_mov_b32_e32 v25, s36
	s_lshl_b32 s31, s31, 3
	s_lshl_b32 s30, s30, 3
	s_add_co_i32 s31, s35, s31
	s_lshl_b32 s29, s29, 3
	ds_load_b64 v[30:31], v25
	s_addk_co_i32 s20, 0xf800
	s_wait_dscnt 0x0
	v_div_scale_f64 v[32:33], null, v[30:31], v[30:31], v[16:17]
	v_div_scale_f64 v[38:39], vcc_lo, v[16:17], v[30:31], v[16:17]
	s_delay_alu instid0(VALU_DEP_2) | instskip(SKIP_1) | instid1(TRANS32_DEP_1)
	v_rcp_f64_e32 v[34:35], v[32:33]
	v_nop
	v_fma_f64 v[36:37], -v[32:33], v[34:35], 1.0
	s_delay_alu instid0(VALU_DEP_1) | instskip(NEXT) | instid1(VALU_DEP_1)
	v_fmac_f64_e32 v[34:35], v[34:35], v[36:37]
	v_fma_f64 v[36:37], -v[32:33], v[34:35], 1.0
	s_delay_alu instid0(VALU_DEP_1) | instskip(NEXT) | instid1(VALU_DEP_1)
	v_fmac_f64_e32 v[34:35], v[34:35], v[36:37]
	v_dual_mul_f64 v[36:37], v[38:39], v[34:35] :: v_dual_mov_b32 v25, s31
	s_lshl_b32 s31, s34, 3
	s_lshl_b32 s34, s21, 3
	s_add_co_i32 s30, s31, s30
	s_add_co_i32 s35, s31, s34
	s_delay_alu instid0(VALU_DEP_1) | instskip(SKIP_2) | instid1(VALU_DEP_1)
	v_fma_f64 v[32:33], -v[32:33], v[36:37], v[38:39]
	ds_load_2addr_b64 v[26:29], v25 offset1:1
	v_div_fmas_f64 v[32:33], v[32:33], v[34:35], v[36:37]
	v_div_fixup_f64 v[34:35], v[32:33], v[30:31], v[16:17]
	s_wait_dscnt 0x0
	s_delay_alu instid0(VALU_DEP_1) | instskip(NEXT) | instid1(VALU_DEP_1)
	v_fma_f64 v[28:29], -v[34:35], v[28:29], v[14:15]
	v_div_scale_f64 v[14:15], null, v[26:27], v[26:27], v[28:29]
	v_div_scale_f64 v[32:33], vcc_lo, v[28:29], v[26:27], v[28:29]
	s_delay_alu instid0(VALU_DEP_2) | instskip(SKIP_1) | instid1(TRANS32_DEP_1)
	v_rcp_f64_e32 v[16:17], v[14:15]
	v_nop
	v_fma_f64 v[30:31], -v[14:15], v[16:17], 1.0
	s_delay_alu instid0(VALU_DEP_1) | instskip(NEXT) | instid1(VALU_DEP_1)
	v_fmac_f64_e32 v[16:17], v[16:17], v[30:31]
	v_fma_f64 v[30:31], -v[14:15], v[16:17], 1.0
	s_delay_alu instid0(VALU_DEP_1) | instskip(NEXT) | instid1(VALU_DEP_1)
	v_fmac_f64_e32 v[16:17], v[16:17], v[30:31]
	v_mul_f64_e32 v[30:31], v[32:33], v[16:17]
	s_delay_alu instid0(VALU_DEP_1) | instskip(NEXT) | instid1(VALU_DEP_1)
	v_fma_f64 v[14:15], -v[14:15], v[30:31], v[32:33]
	v_div_fmas_f64 v[30:31], v[14:15], v[16:17], v[30:31]
	v_mov_b32_e32 v14, s35
	ds_load_b64 v[32:33], v14
	v_mov_b32_e32 v14, s30
	s_lshl_b32 s30, s33, 3
	s_delay_alu instid0(SALU_CYCLE_1)
	s_add_co_i32 s29, s30, s29
	s_add_co_i32 s31, s30, s34
	ds_load_2addr_b64 v[14:17], v14 offset1:1
	s_add_co_i32 s31, s31, -8
	s_wait_dscnt 0x1
	v_dual_fma_f64 v[2:3], -v[34:35], v[32:33], v[2:3] :: v_dual_mov_b32 v25, s31
	v_div_fixup_f64 v[36:37], v[30:31], v[26:27], v[28:29]
	s_wait_dscnt 0x0
	s_delay_alu instid0(VALU_DEP_1) | instskip(NEXT) | instid1(VALU_DEP_1)
	v_fma_f64 v[2:3], -v[36:37], v[16:17], v[2:3]
	v_div_scale_f64 v[16:17], null, v[14:15], v[14:15], v[2:3]
	v_div_scale_f64 v[28:29], vcc_lo, v[2:3], v[14:15], v[2:3]
	s_delay_alu instid0(VALU_DEP_2) | instskip(SKIP_1) | instid1(TRANS32_DEP_1)
	v_rcp_f64_e32 v[38:39], v[16:17]
	v_nop
	v_fma_f64 v[26:27], -v[16:17], v[38:39], 1.0
	s_delay_alu instid0(VALU_DEP_1) | instskip(NEXT) | instid1(VALU_DEP_1)
	v_fmac_f64_e32 v[38:39], v[38:39], v[26:27]
	v_fma_f64 v[26:27], -v[16:17], v[38:39], 1.0
	s_delay_alu instid0(VALU_DEP_1) | instskip(NEXT) | instid1(VALU_DEP_1)
	v_fmac_f64_e32 v[38:39], v[38:39], v[26:27]
	v_mul_f64_e32 v[40:41], v[28:29], v[38:39]
	s_delay_alu instid0(VALU_DEP_1)
	v_fma_f64 v[16:17], -v[16:17], v[40:41], v[28:29]
	ds_load_2addr_b64 v[26:29], v25 offset1:1
	v_mov_b32_e32 v25, s29
	s_add_co_i32 s29, s21, -4
	s_cmp_lt_i32 s21, 7
	ds_load_2addr_b64 v[30:33], v25 offset1:1
	s_wait_dscnt 0x1
	v_fma_f64 v[0:1], -v[34:35], v[28:29], v[0:1]
	v_div_fmas_f64 v[16:17], v[16:17], v[38:39], v[40:41]
	s_delay_alu instid0(VALU_DEP_2) | instskip(NEXT) | instid1(VALU_DEP_2)
	v_fma_f64 v[0:1], -v[36:37], v[26:27], v[0:1]
	v_div_fixup_f64 v[2:3], v[16:17], v[14:15], v[2:3]
	s_wait_dscnt 0x0
	s_delay_alu instid0(VALU_DEP_1) | instskip(NEXT) | instid1(VALU_DEP_1)
	v_fma_f64 v[0:1], -v[2:3], v[32:33], v[0:1]
	v_div_scale_f64 v[14:15], null, v[30:31], v[30:31], v[0:1]
	s_delay_alu instid0(VALU_DEP_1) | instskip(SKIP_1) | instid1(TRANS32_DEP_1)
	v_rcp_f64_e32 v[16:17], v[14:15]
	v_nop
	v_fma_f64 v[26:27], -v[14:15], v[16:17], 1.0
	s_delay_alu instid0(VALU_DEP_1) | instskip(NEXT) | instid1(VALU_DEP_1)
	v_fmac_f64_e32 v[16:17], v[16:17], v[26:27]
	v_fma_f64 v[26:27], -v[14:15], v[16:17], 1.0
	s_delay_alu instid0(VALU_DEP_1) | instskip(SKIP_1) | instid1(VALU_DEP_1)
	v_fmac_f64_e32 v[16:17], v[16:17], v[26:27]
	v_div_scale_f64 v[26:27], vcc_lo, v[0:1], v[30:31], v[0:1]
	v_mul_f64_e32 v[28:29], v[26:27], v[16:17]
	s_delay_alu instid0(VALU_DEP_1) | instskip(NEXT) | instid1(VALU_DEP_1)
	v_fma_f64 v[14:15], -v[14:15], v[28:29], v[26:27]
	v_div_fmas_f64 v[14:15], v[14:15], v[16:17], v[28:29]
	s_delay_alu instid0(VALU_DEP_1)
	v_div_fixup_f64 v[0:1], v[14:15], v[30:31], v[0:1]
	ds_store_b64 v21, v[34:35]
	ds_store_b64 v22, v[36:37]
	;; [unrolled: 1-line block ×4, first 2 shown]
	s_cbranch_scc1 .LBB111_53
; %bb.52:                               ;   in Loop: Header=BB111_48 Depth=2
	s_mov_b32 s21, s29
	s_branch .LBB111_48
.LBB111_53:                             ;   in Loop: Header=BB111_3 Depth=1
	s_cmp_lt_i32 s29, 0
	s_cbranch_scc1 .LBB111_66
; %bb.54:                               ;   in Loop: Header=BB111_3 Depth=1
	s_bitcmp1_b32 s29, 0
	s_cselect_b32 s20, -1, 0
	s_delay_alu instid0(SALU_CYCLE_1)
	s_and_b32 vcc_lo, exec_lo, s20
	s_mov_b32 s20, s29
	s_cbranch_vccnz .LBB111_59
; %bb.55:                               ;   in Loop: Header=BB111_3 Depth=1
	v_lshl_add_u32 v2, s29, 9, v18
	s_cmp_le_i32 s27, s29
	ds_load_b64 v[0:1], v2
	s_cbranch_scc1 .LBB111_58
; %bb.56:                               ;   in Loop: Header=BB111_3 Depth=1
	v_mov_b32_e32 v3, v5
	s_lshl_b32 s20, s29, 9
	s_mov_b32 s21, s27
	s_add_co_i32 s20, s18, s20
.LBB111_57:                             ;   Parent Loop BB111_3 Depth=1
                                        ; =>  This Inner Loop Header: Depth=2
	s_delay_alu instid0(SALU_CYCLE_1)
	v_mov_b32_e32 v16, s20
	s_add_co_i32 s21, s21, -1
	s_add_co_i32 s20, s20, -8
	s_cmp_gt_u32 s21, s29
	ds_load_b64 v[14:15], v3
	ds_load_b64 v[16:17], v16
	v_add_nc_u32_e32 v3, 0xfffffe00, v3
	s_wait_dscnt 0x0
	v_fma_f64 v[0:1], -v[14:15], v[16:17], v[0:1]
	s_cbranch_scc1 .LBB111_57
.LBB111_58:                             ;   in Loop: Header=BB111_3 Depth=1
	s_mul_i32 s20, s29, 0x208
	s_delay_alu instid0(SALU_CYCLE_1) | instskip(SKIP_4) | instid1(VALU_DEP_1)
	v_mov_b32_e32 v3, s20
	s_add_co_i32 s20, s29, -1
	ds_load_b64 v[14:15], v3
	s_wait_dscnt 0x0
	v_div_scale_f64 v[16:17], null, v[14:15], v[14:15], v[0:1]
	v_rcp_f64_e32 v[22:23], v[16:17]
	v_nop
	s_delay_alu instid0(TRANS32_DEP_1) | instskip(NEXT) | instid1(VALU_DEP_1)
	v_fma_f64 v[24:25], -v[16:17], v[22:23], 1.0
	v_fmac_f64_e32 v[22:23], v[22:23], v[24:25]
	s_delay_alu instid0(VALU_DEP_1) | instskip(NEXT) | instid1(VALU_DEP_1)
	v_fma_f64 v[24:25], -v[16:17], v[22:23], 1.0
	v_fmac_f64_e32 v[22:23], v[22:23], v[24:25]
	v_div_scale_f64 v[24:25], vcc_lo, v[0:1], v[14:15], v[0:1]
	s_delay_alu instid0(VALU_DEP_1) | instskip(NEXT) | instid1(VALU_DEP_1)
	v_mul_f64_e32 v[26:27], v[24:25], v[22:23]
	v_fma_f64 v[16:17], -v[16:17], v[26:27], v[24:25]
	s_delay_alu instid0(VALU_DEP_1) | instskip(NEXT) | instid1(VALU_DEP_1)
	v_div_fmas_f64 v[16:17], v[16:17], v[22:23], v[26:27]
	v_div_fixup_f64 v[0:1], v[16:17], v[14:15], v[0:1]
	ds_store_b64 v2, v[0:1]
.LBB111_59:                             ;   in Loop: Header=BB111_3 Depth=1
	s_cmp_eq_u32 s29, 0
	s_cbranch_scc1 .LBB111_66
; %bb.60:                               ;   in Loop: Header=BB111_3 Depth=1
	s_lshl_b32 s29, s20, 9
	s_delay_alu instid0(SALU_CYCLE_1)
	s_add_co_i32 s21, s18, s29
	s_add_co_i32 s29, s19, s29
	s_branch .LBB111_62
.LBB111_61:                             ;   in Loop: Header=BB111_62 Depth=2
	s_addk_co_i32 s31, 0xfdf8
	s_add_co_i32 s20, s20, -2
	v_mov_b32_e32 v0, s31
	s_addk_co_i32 s21, 0xfc00
	s_addk_co_i32 s29, 0xfc00
	s_cmp_eq_u32 s30, 0
	ds_load_b64 v[0:1], v0
	s_wait_dscnt 0x0
	v_div_scale_f64 v[16:17], null, v[0:1], v[0:1], v[2:3]
	s_delay_alu instid0(VALU_DEP_1) | instskip(SKIP_1) | instid1(TRANS32_DEP_1)
	v_rcp_f64_e32 v[22:23], v[16:17]
	v_nop
	v_fma_f64 v[24:25], -v[16:17], v[22:23], 1.0
	s_delay_alu instid0(VALU_DEP_1) | instskip(NEXT) | instid1(VALU_DEP_1)
	v_fmac_f64_e32 v[22:23], v[22:23], v[24:25]
	v_fma_f64 v[24:25], -v[16:17], v[22:23], 1.0
	s_delay_alu instid0(VALU_DEP_1) | instskip(SKIP_1) | instid1(VALU_DEP_1)
	v_fmac_f64_e32 v[22:23], v[22:23], v[24:25]
	v_div_scale_f64 v[24:25], vcc_lo, v[2:3], v[0:1], v[2:3]
	v_mul_f64_e32 v[26:27], v[24:25], v[22:23]
	s_delay_alu instid0(VALU_DEP_1) | instskip(NEXT) | instid1(VALU_DEP_1)
	v_fma_f64 v[16:17], -v[16:17], v[26:27], v[24:25]
	v_div_fmas_f64 v[16:17], v[16:17], v[22:23], v[26:27]
	s_delay_alu instid0(VALU_DEP_1)
	v_div_fixup_f64 v[0:1], v[16:17], v[0:1], v[2:3]
	ds_store_b64 v15, v[0:1]
	s_cbranch_scc1 .LBB111_66
.LBB111_62:                             ;   Parent Loop BB111_3 Depth=1
                                        ; =>  This Loop Header: Depth=2
                                        ;       Child Loop BB111_63 Depth 3
                                        ;       Child Loop BB111_65 Depth 3
	v_lshl_add_u32 v14, s20, 9, v18
	v_mov_b32_e32 v2, v5
	s_cmp_le_i32 s27, s20
	s_mov_b32 s30, s21
	s_mov_b32 s31, s27
	ds_load_b64 v[0:1], v14
	s_cbranch_scc1 .LBB111_64
.LBB111_63:                             ;   Parent Loop BB111_3 Depth=1
                                        ;     Parent Loop BB111_62 Depth=2
                                        ; =>    This Inner Loop Header: Depth=3
	v_mov_b32_e32 v3, s30
	s_add_co_i32 s31, s31, -1
	s_add_co_i32 s30, s30, -8
	s_cmp_le_u32 s31, s20
	ds_load_b64 v[16:17], v2
	ds_load_b64 v[22:23], v3
	v_add_nc_u32_e32 v2, 0xfffffe00, v2
	s_wait_dscnt 0x0
	v_fma_f64 v[0:1], -v[16:17], v[22:23], v[0:1]
	s_cbranch_scc0 .LBB111_63
.LBB111_64:                             ;   in Loop: Header=BB111_62 Depth=2
	s_mul_i32 s31, s20, 0x208
	s_add_co_i32 s30, s20, -1
	v_mov_b32_e32 v2, s31
	v_lshl_add_u32 v15, s30, 9, v18
	s_cmp_le_i32 s26, s20
	s_mov_b32 s33, s29
	s_mov_b32 s34, s27
	ds_load_b64 v[16:17], v2
	ds_load_b64 v[2:3], v15
	s_wait_dscnt 0x1
	v_div_scale_f64 v[22:23], null, v[16:17], v[16:17], v[0:1]
	s_delay_alu instid0(VALU_DEP_1) | instskip(SKIP_1) | instid1(TRANS32_DEP_1)
	v_rcp_f64_e32 v[24:25], v[22:23]
	v_nop
	v_fma_f64 v[26:27], -v[22:23], v[24:25], 1.0
	s_delay_alu instid0(VALU_DEP_1) | instskip(NEXT) | instid1(VALU_DEP_1)
	v_fmac_f64_e32 v[24:25], v[24:25], v[26:27]
	v_fma_f64 v[26:27], -v[22:23], v[24:25], 1.0
	s_delay_alu instid0(VALU_DEP_1) | instskip(SKIP_1) | instid1(VALU_DEP_1)
	v_fmac_f64_e32 v[24:25], v[24:25], v[26:27]
	v_div_scale_f64 v[26:27], vcc_lo, v[0:1], v[16:17], v[0:1]
	v_mul_f64_e32 v[28:29], v[26:27], v[24:25]
	s_delay_alu instid0(VALU_DEP_1) | instskip(NEXT) | instid1(VALU_DEP_1)
	v_fma_f64 v[22:23], -v[22:23], v[28:29], v[26:27]
	v_div_fmas_f64 v[22:23], v[22:23], v[24:25], v[28:29]
	s_delay_alu instid0(VALU_DEP_1)
	v_div_fixup_f64 v[16:17], v[22:23], v[16:17], v[0:1]
	v_mov_b32_e32 v0, v5
	ds_store_b64 v14, v[16:17]
	s_cbranch_scc1 .LBB111_61
.LBB111_65:                             ;   Parent Loop BB111_3 Depth=1
                                        ;     Parent Loop BB111_62 Depth=2
                                        ; =>    This Inner Loop Header: Depth=3
	v_mov_b32_e32 v1, s33
	s_add_co_i32 s34, s34, -1
	s_add_co_i32 s33, s33, -8
	s_cmp_gt_u32 s34, s30
	ds_load_b64 v[16:17], v0
	ds_load_b64 v[22:23], v1
	v_add_nc_u32_e32 v0, 0xfffffe00, v0
	s_wait_dscnt 0x0
	v_fma_f64 v[2:3], -v[16:17], v[22:23], v[2:3]
	s_cbranch_scc1 .LBB111_65
	s_branch .LBB111_61
.LBB111_66:                             ;   in Loop: Header=BB111_3 Depth=1
	s_mov_b32 s20, 0
.LBB111_67:                             ;   in Loop: Header=BB111_3 Depth=1
	s_delay_alu instid0(SALU_CYCLE_1)
	s_and_not1_b32 vcc_lo, exec_lo, s20
	s_cbranch_vccnz .LBB111_79
; %bb.68:                               ;   in Loop: Header=BB111_3 Depth=1
	s_and_not1_b32 vcc_lo, exec_lo, s22
	s_mov_b32 s29, 0
	s_cbranch_vccnz .LBB111_74
; %bb.69:                               ;   in Loop: Header=BB111_3 Depth=1
	s_mov_b32 s20, 0
	s_mov_b32 s21, 0
.LBB111_70:                             ;   Parent Loop BB111_3 Depth=1
                                        ; =>  This Loop Header: Depth=2
                                        ;       Child Loop BB111_71 Depth 3
	s_delay_alu instid0(SALU_CYCLE_1)
	s_or_b32 s31, s21, 1
	v_lshl_add_u32 v21, s21, 9, v18
	s_or_b32 s29, s21, 2
	s_or_b32 s30, s21, 3
	v_lshl_add_u32 v22, s31, 9, v18
	v_lshl_add_u32 v23, s29, 9, v18
	;; [unrolled: 1-line block ×3, first 2 shown]
	ds_load_b64 v[16:17], v21
	ds_load_b64 v[14:15], v22
	;; [unrolled: 1-line block ×4, first 2 shown]
	v_mov_b32_e32 v25, v18
	s_cmp_eq_u32 s21, 0
	s_mov_b32 s33, s20
	s_mov_b32 s34, s21
	s_cbranch_scc1 .LBB111_72
.LBB111_71:                             ;   Parent Loop BB111_3 Depth=1
                                        ;     Parent Loop BB111_70 Depth=2
                                        ; =>    This Inner Loop Header: Depth=3
	v_mov_b32_e32 v30, s33
	s_add_co_i32 s34, s34, -1
	s_add_co_i32 s33, s33, 8
	s_cmp_eq_u32 s34, 0
	ds_load_b64 v[34:35], v25
	ds_load_2addr_stride64_b64 v[26:29], v30 offset1:1
	ds_load_2addr_stride64_b64 v[30:33], v30 offset0:2 offset1:3
	v_add_nc_u32_e32 v25, 0x200, v25
	s_wait_dscnt 0x1
	v_fma_f64 v[16:17], -v[34:35], v[26:27], v[16:17]
	v_fma_f64 v[14:15], -v[34:35], v[28:29], v[14:15]
	s_wait_dscnt 0x0
	v_fma_f64 v[2:3], -v[34:35], v[30:31], v[2:3]
	v_fma_f64 v[0:1], -v[34:35], v[32:33], v[0:1]
	s_cbranch_scc0 .LBB111_71
.LBB111_72:                             ;   in Loop: Header=BB111_70 Depth=2
	s_mul_i32 s34, s21, 0x208
	s_lshl_b32 s33, s31, 6
	v_mov_b32_e32 v25, s34
	s_lshl_b32 s33, s33, 3
	s_lshl_b32 s34, s21, 3
	s_lshl_b32 s31, s29, 6
	s_add_co_i32 s33, s33, s34
	ds_load_b64 v[30:31], v25
	s_lshl_b32 s31, s31, 3
	s_lshl_b32 s29, s29, 3
	;; [unrolled: 1-line block ×3, first 2 shown]
	s_add_co_i32 s29, s31, s29
	s_addk_co_i32 s20, 0x800
	s_wait_dscnt 0x0
	v_div_scale_f64 v[32:33], null, v[30:31], v[30:31], v[16:17]
	v_div_scale_f64 v[38:39], vcc_lo, v[16:17], v[30:31], v[16:17]
	s_delay_alu instid0(VALU_DEP_2) | instskip(SKIP_1) | instid1(TRANS32_DEP_1)
	v_rcp_f64_e32 v[34:35], v[32:33]
	v_nop
	v_fma_f64 v[36:37], -v[32:33], v[34:35], 1.0
	s_delay_alu instid0(VALU_DEP_1) | instskip(NEXT) | instid1(VALU_DEP_1)
	v_fmac_f64_e32 v[34:35], v[34:35], v[36:37]
	v_fma_f64 v[36:37], -v[32:33], v[34:35], 1.0
	s_delay_alu instid0(VALU_DEP_1) | instskip(NEXT) | instid1(VALU_DEP_1)
	v_fmac_f64_e32 v[34:35], v[34:35], v[36:37]
	v_dual_mul_f64 v[36:37], v[38:39], v[34:35] :: v_dual_mov_b32 v25, s33
	s_add_co_i32 s33, s31, s34
	s_delay_alu instid0(VALU_DEP_1) | instskip(SKIP_3) | instid1(SALU_CYCLE_1)
	v_fma_f64 v[32:33], -v[32:33], v[36:37], v[38:39]
	ds_load_b128 v[26:29], v25
	v_mov_b32_e32 v25, s29
	s_lshl_b32 s29, s30, 3
	s_add_co_i32 s29, s29, s34
	v_div_fmas_f64 v[32:33], v[32:33], v[34:35], v[36:37]
	s_delay_alu instid0(VALU_DEP_1) | instskip(SKIP_1) | instid1(VALU_DEP_1)
	v_div_fixup_f64 v[30:31], v[32:33], v[30:31], v[16:17]
	s_wait_dscnt 0x0
	v_fma_f64 v[26:27], -v[30:31], v[26:27], v[14:15]
	s_delay_alu instid0(VALU_DEP_1) | instskip(SKIP_1) | instid1(VALU_DEP_2)
	v_div_scale_f64 v[14:15], null, v[28:29], v[28:29], v[26:27]
	v_div_scale_f64 v[34:35], vcc_lo, v[26:27], v[28:29], v[26:27]
	v_rcp_f64_e32 v[16:17], v[14:15]
	v_nop
	s_delay_alu instid0(TRANS32_DEP_1) | instskip(NEXT) | instid1(VALU_DEP_1)
	v_fma_f64 v[32:33], -v[14:15], v[16:17], 1.0
	v_fmac_f64_e32 v[16:17], v[16:17], v[32:33]
	s_delay_alu instid0(VALU_DEP_1) | instskip(NEXT) | instid1(VALU_DEP_1)
	v_fma_f64 v[32:33], -v[14:15], v[16:17], 1.0
	v_fmac_f64_e32 v[16:17], v[16:17], v[32:33]
	s_delay_alu instid0(VALU_DEP_1) | instskip(NEXT) | instid1(VALU_DEP_1)
	v_mul_f64_e32 v[32:33], v[34:35], v[16:17]
	v_fma_f64 v[14:15], -v[14:15], v[32:33], v[34:35]
	ds_load_b64 v[34:35], v25
	v_mov_b32_e32 v25, s29
	s_add_co_i32 s29, s21, 4
	s_add_co_i32 s21, s21, 7
	s_delay_alu instid0(SALU_CYCLE_1)
	s_cmp_ge_i32 s21, s26
	v_div_fmas_f64 v[32:33], v[14:15], v[16:17], v[32:33]
	v_mov_b32_e32 v14, s33
	ds_load_b128 v[14:17], v14
	s_wait_dscnt 0x0
	v_fma_f64 v[2:3], -v[30:31], v[14:15], v[2:3]
	v_div_fixup_f64 v[32:33], v[32:33], v[28:29], v[26:27]
	s_delay_alu instid0(VALU_DEP_1) | instskip(NEXT) | instid1(VALU_DEP_1)
	v_fma_f64 v[2:3], -v[32:33], v[16:17], v[2:3]
	v_div_scale_f64 v[14:15], null, v[34:35], v[34:35], v[2:3]
	v_div_scale_f64 v[26:27], vcc_lo, v[2:3], v[34:35], v[2:3]
	s_delay_alu instid0(VALU_DEP_2) | instskip(SKIP_1) | instid1(TRANS32_DEP_1)
	v_rcp_f64_e32 v[36:37], v[14:15]
	v_nop
	v_fma_f64 v[16:17], -v[14:15], v[36:37], 1.0
	s_delay_alu instid0(VALU_DEP_1) | instskip(NEXT) | instid1(VALU_DEP_1)
	v_fmac_f64_e32 v[36:37], v[36:37], v[16:17]
	v_fma_f64 v[16:17], -v[14:15], v[36:37], 1.0
	s_delay_alu instid0(VALU_DEP_1) | instskip(NEXT) | instid1(VALU_DEP_1)
	v_fmac_f64_e32 v[36:37], v[36:37], v[16:17]
	v_mul_f64_e32 v[38:39], v[26:27], v[36:37]
	s_delay_alu instid0(VALU_DEP_1)
	v_fma_f64 v[40:41], -v[14:15], v[38:39], v[26:27]
	ds_load_b128 v[14:17], v25
	ds_load_b128 v[26:29], v25 offset:16
	s_wait_dscnt 0x1
	v_fma_f64 v[0:1], -v[30:31], v[14:15], v[0:1]
	v_div_fmas_f64 v[14:15], v[40:41], v[36:37], v[38:39]
	s_delay_alu instid0(VALU_DEP_2) | instskip(NEXT) | instid1(VALU_DEP_2)
	v_fma_f64 v[0:1], -v[32:33], v[16:17], v[0:1]
	v_div_fixup_f64 v[2:3], v[14:15], v[34:35], v[2:3]
	s_wait_dscnt 0x0
	s_delay_alu instid0(VALU_DEP_1) | instskip(NEXT) | instid1(VALU_DEP_1)
	v_fma_f64 v[0:1], -v[2:3], v[26:27], v[0:1]
	v_div_scale_f64 v[14:15], null, v[28:29], v[28:29], v[0:1]
	s_delay_alu instid0(VALU_DEP_1) | instskip(SKIP_1) | instid1(TRANS32_DEP_1)
	v_rcp_f64_e32 v[16:17], v[14:15]
	v_nop
	v_fma_f64 v[26:27], -v[14:15], v[16:17], 1.0
	s_delay_alu instid0(VALU_DEP_1) | instskip(NEXT) | instid1(VALU_DEP_1)
	v_fmac_f64_e32 v[16:17], v[16:17], v[26:27]
	v_fma_f64 v[26:27], -v[14:15], v[16:17], 1.0
	s_delay_alu instid0(VALU_DEP_1) | instskip(SKIP_1) | instid1(VALU_DEP_1)
	v_fmac_f64_e32 v[16:17], v[16:17], v[26:27]
	v_div_scale_f64 v[26:27], vcc_lo, v[0:1], v[28:29], v[0:1]
	v_mul_f64_e32 v[34:35], v[26:27], v[16:17]
	s_delay_alu instid0(VALU_DEP_1) | instskip(NEXT) | instid1(VALU_DEP_1)
	v_fma_f64 v[14:15], -v[14:15], v[34:35], v[26:27]
	v_div_fmas_f64 v[14:15], v[14:15], v[16:17], v[34:35]
	s_delay_alu instid0(VALU_DEP_1)
	v_div_fixup_f64 v[0:1], v[14:15], v[28:29], v[0:1]
	ds_store_b64 v21, v[30:31]
	ds_store_b64 v22, v[32:33]
	;; [unrolled: 1-line block ×4, first 2 shown]
	s_cbranch_scc1 .LBB111_74
; %bb.73:                               ;   in Loop: Header=BB111_70 Depth=2
	s_mov_b32 s21, s29
	s_branch .LBB111_70
.LBB111_74:                             ;   in Loop: Header=BB111_3 Depth=1
	s_cmp_ge_i32 s29, s26
	s_cbranch_scc1 .LBB111_79
; %bb.75:                               ;   in Loop: Header=BB111_3 Depth=1
	s_lshl_b32 s20, s29, 9
	s_branch .LBB111_77
.LBB111_76:                             ;   in Loop: Header=BB111_77 Depth=2
	s_mul_i32 s21, s29, 0x208
	s_add_co_i32 s29, s29, 1
	v_mov_b32_e32 v3, s21
	s_addk_co_i32 s20, 0x200
	s_cmp_ge_i32 s29, s26
	ds_load_b64 v[14:15], v3
	s_wait_dscnt 0x0
	v_div_scale_f64 v[16:17], null, v[14:15], v[14:15], v[0:1]
	s_delay_alu instid0(VALU_DEP_1) | instskip(SKIP_1) | instid1(TRANS32_DEP_1)
	v_rcp_f64_e32 v[22:23], v[16:17]
	v_nop
	v_fma_f64 v[24:25], -v[16:17], v[22:23], 1.0
	s_delay_alu instid0(VALU_DEP_1) | instskip(NEXT) | instid1(VALU_DEP_1)
	v_fmac_f64_e32 v[22:23], v[22:23], v[24:25]
	v_fma_f64 v[24:25], -v[16:17], v[22:23], 1.0
	s_delay_alu instid0(VALU_DEP_1) | instskip(SKIP_1) | instid1(VALU_DEP_1)
	v_fmac_f64_e32 v[22:23], v[22:23], v[24:25]
	v_div_scale_f64 v[24:25], vcc_lo, v[0:1], v[14:15], v[0:1]
	v_mul_f64_e32 v[26:27], v[24:25], v[22:23]
	s_delay_alu instid0(VALU_DEP_1) | instskip(NEXT) | instid1(VALU_DEP_1)
	v_fma_f64 v[16:17], -v[16:17], v[26:27], v[24:25]
	v_div_fmas_f64 v[16:17], v[16:17], v[22:23], v[26:27]
	s_delay_alu instid0(VALU_DEP_1)
	v_div_fixup_f64 v[0:1], v[16:17], v[14:15], v[0:1]
	ds_store_b64 v2, v[0:1]
	s_cbranch_scc1 .LBB111_79
.LBB111_77:                             ;   Parent Loop BB111_3 Depth=1
                                        ; =>  This Loop Header: Depth=2
                                        ;       Child Loop BB111_78 Depth 3
	v_lshl_add_u32 v2, s29, 9, v18
	v_mov_b32_e32 v3, v18
	s_cmp_eq_u32 s29, 0
	s_mov_b32 s21, s20
	s_mov_b32 s30, s29
	ds_load_b64 v[0:1], v2
	s_cbranch_scc1 .LBB111_76
.LBB111_78:                             ;   Parent Loop BB111_3 Depth=1
                                        ;     Parent Loop BB111_77 Depth=2
                                        ; =>    This Inner Loop Header: Depth=3
	v_mov_b32_e32 v16, s21
	s_add_co_i32 s30, s30, -1
	s_add_co_i32 s21, s21, 8
	s_cmp_eq_u32 s30, 0
	ds_load_b64 v[14:15], v3
	ds_load_b64 v[16:17], v16
	v_add_nc_u32_e32 v3, 0x200, v3
	s_wait_dscnt 0x0
	v_fma_f64 v[0:1], -v[14:15], v[16:17], v[0:1]
	s_cbranch_scc0 .LBB111_78
	s_branch .LBB111_76
.LBB111_79:                             ;   in Loop: Header=BB111_3 Depth=1
	s_and_saveexec_b32 s20, s28
	s_cbranch_execz .LBB111_2
; %bb.80:                               ;   in Loop: Header=BB111_3 Depth=1
	v_mov_b32_e32 v0, v18
	s_mov_b32 s21, s25
.LBB111_81:                             ;   Parent Loop BB111_3 Depth=1
                                        ; =>  This Inner Loop Header: Depth=2
	ds_load_b64 v[2:3], v0
	v_add_nc_u32_e32 v0, 0x200, v0
	s_add_co_i32 s21, s21, -1
	s_delay_alu instid0(SALU_CYCLE_1)
	s_cmp_lg_u32 s21, 0
	s_wait_dscnt 0x0
	global_store_b64 v[12:13], v[2:3], off
	s_wait_xcnt 0x0
	v_add_nc_u64_e32 v[12:13], s[6:7], v[12:13]
	s_cbranch_scc1 .LBB111_81
	s_branch .LBB111_2
.LBB111_82:
	s_endpgm
	.section	.rodata,"a",@progbits
	.p2align	6, 0x0
	.amdhsa_kernel _ZL31rocblas_trsm_small_right_deviceIddPKdPdLi64EEv13rocblas_fill_18rocblas_operation_17rocblas_diagonal_iiT0_T1_lilT2_lili
		.amdhsa_group_segment_fixed_size 65536
		.amdhsa_private_segment_fixed_size 0
		.amdhsa_kernarg_size 360
		.amdhsa_user_sgpr_count 2
		.amdhsa_user_sgpr_dispatch_ptr 0
		.amdhsa_user_sgpr_queue_ptr 0
		.amdhsa_user_sgpr_kernarg_segment_ptr 1
		.amdhsa_user_sgpr_dispatch_id 0
		.amdhsa_user_sgpr_kernarg_preload_length 0
		.amdhsa_user_sgpr_kernarg_preload_offset 0
		.amdhsa_user_sgpr_private_segment_size 0
		.amdhsa_wavefront_size32 1
		.amdhsa_uses_dynamic_stack 0
		.amdhsa_enable_private_segment 0
		.amdhsa_system_sgpr_workgroup_id_x 1
		.amdhsa_system_sgpr_workgroup_id_y 0
		.amdhsa_system_sgpr_workgroup_id_z 1
		.amdhsa_system_sgpr_workgroup_info 0
		.amdhsa_system_vgpr_workitem_id 0
		.amdhsa_next_free_vgpr 257
		.amdhsa_next_free_sgpr 38
		.amdhsa_named_barrier_count 0
		.amdhsa_reserve_vcc 1
		.amdhsa_float_round_mode_32 0
		.amdhsa_float_round_mode_16_64 0
		.amdhsa_float_denorm_mode_32 3
		.amdhsa_float_denorm_mode_16_64 3
		.amdhsa_fp16_overflow 0
		.amdhsa_memory_ordered 1
		.amdhsa_forward_progress 1
		.amdhsa_inst_pref_size 50
		.amdhsa_round_robin_scheduling 0
		.amdhsa_exception_fp_ieee_invalid_op 0
		.amdhsa_exception_fp_denorm_src 0
		.amdhsa_exception_fp_ieee_div_zero 0
		.amdhsa_exception_fp_ieee_overflow 0
		.amdhsa_exception_fp_ieee_underflow 0
		.amdhsa_exception_fp_ieee_inexact 0
		.amdhsa_exception_int_div_zero 0
	.end_amdhsa_kernel
	.section	.text._ZL31rocblas_trsm_small_right_deviceIddPKdPdLi64EEv13rocblas_fill_18rocblas_operation_17rocblas_diagonal_iiT0_T1_lilT2_lili,"axG",@progbits,_ZL31rocblas_trsm_small_right_deviceIddPKdPdLi64EEv13rocblas_fill_18rocblas_operation_17rocblas_diagonal_iiT0_T1_lilT2_lili,comdat
.Lfunc_end111:
	.size	_ZL31rocblas_trsm_small_right_deviceIddPKdPdLi64EEv13rocblas_fill_18rocblas_operation_17rocblas_diagonal_iiT0_T1_lilT2_lili, .Lfunc_end111-_ZL31rocblas_trsm_small_right_deviceIddPKdPdLi64EEv13rocblas_fill_18rocblas_operation_17rocblas_diagonal_iiT0_T1_lilT2_lili
                                        ; -- End function
	.set _ZL31rocblas_trsm_small_right_deviceIddPKdPdLi64EEv13rocblas_fill_18rocblas_operation_17rocblas_diagonal_iiT0_T1_lilT2_lili.num_vgpr, 46
	.set _ZL31rocblas_trsm_small_right_deviceIddPKdPdLi64EEv13rocblas_fill_18rocblas_operation_17rocblas_diagonal_iiT0_T1_lilT2_lili.num_agpr, 0
	.set _ZL31rocblas_trsm_small_right_deviceIddPKdPdLi64EEv13rocblas_fill_18rocblas_operation_17rocblas_diagonal_iiT0_T1_lilT2_lili.numbered_sgpr, 38
	.set _ZL31rocblas_trsm_small_right_deviceIddPKdPdLi64EEv13rocblas_fill_18rocblas_operation_17rocblas_diagonal_iiT0_T1_lilT2_lili.num_named_barrier, 0
	.set _ZL31rocblas_trsm_small_right_deviceIddPKdPdLi64EEv13rocblas_fill_18rocblas_operation_17rocblas_diagonal_iiT0_T1_lilT2_lili.private_seg_size, 0
	.set _ZL31rocblas_trsm_small_right_deviceIddPKdPdLi64EEv13rocblas_fill_18rocblas_operation_17rocblas_diagonal_iiT0_T1_lilT2_lili.uses_vcc, 1
	.set _ZL31rocblas_trsm_small_right_deviceIddPKdPdLi64EEv13rocblas_fill_18rocblas_operation_17rocblas_diagonal_iiT0_T1_lilT2_lili.uses_flat_scratch, 0
	.set _ZL31rocblas_trsm_small_right_deviceIddPKdPdLi64EEv13rocblas_fill_18rocblas_operation_17rocblas_diagonal_iiT0_T1_lilT2_lili.has_dyn_sized_stack, 0
	.set _ZL31rocblas_trsm_small_right_deviceIddPKdPdLi64EEv13rocblas_fill_18rocblas_operation_17rocblas_diagonal_iiT0_T1_lilT2_lili.has_recursion, 0
	.set _ZL31rocblas_trsm_small_right_deviceIddPKdPdLi64EEv13rocblas_fill_18rocblas_operation_17rocblas_diagonal_iiT0_T1_lilT2_lili.has_indirect_call, 0
	.section	.AMDGPU.csdata,"",@progbits
; Kernel info:
; codeLenInByte = 6356
; TotalNumSgprs: 40
; NumVgprs: 46
; ScratchSize: 0
; MemoryBound: 0
; FloatMode: 240
; IeeeMode: 1
; LDSByteSize: 65536 bytes/workgroup (compile time only)
; SGPRBlocks: 0
; VGPRBlocks: 16
; NumSGPRsForWavesPerEU: 40
; NumVGPRsForWavesPerEU: 257
; NamedBarCnt: 0
; Occupancy: 3
; WaveLimiterHint : 0
; COMPUTE_PGM_RSRC2:SCRATCH_EN: 0
; COMPUTE_PGM_RSRC2:USER_SGPR: 2
; COMPUTE_PGM_RSRC2:TRAP_HANDLER: 0
; COMPUTE_PGM_RSRC2:TGID_X_EN: 1
; COMPUTE_PGM_RSRC2:TGID_Y_EN: 0
; COMPUTE_PGM_RSRC2:TGID_Z_EN: 1
; COMPUTE_PGM_RSRC2:TIDIG_COMP_CNT: 0
	.section	.text._ZL39rocblas_trsm_block_forward_substitutionIddPKdPdLb0ELb0ELb0EEv18rocblas_operation_llT0_T1_lllT2_lllib,"axG",@progbits,_ZL39rocblas_trsm_block_forward_substitutionIddPKdPdLb0ELb0ELb0EEv18rocblas_operation_llT0_T1_lllT2_lllib,comdat
	.globl	_ZL39rocblas_trsm_block_forward_substitutionIddPKdPdLb0ELb0ELb0EEv18rocblas_operation_llT0_T1_lllT2_lllib ; -- Begin function _ZL39rocblas_trsm_block_forward_substitutionIddPKdPdLb0ELb0ELb0EEv18rocblas_operation_llT0_T1_lllT2_lllib
	.p2align	8
	.type	_ZL39rocblas_trsm_block_forward_substitutionIddPKdPdLb0ELb0ELb0EEv18rocblas_operation_llT0_T1_lllT2_lllib,@function
_ZL39rocblas_trsm_block_forward_substitutionIddPKdPdLb0ELb0ELb0EEv18rocblas_operation_llT0_T1_lllT2_lllib: ; @_ZL39rocblas_trsm_block_forward_substitutionIddPKdPdLb0ELb0ELb0EEv18rocblas_operation_llT0_T1_lllT2_lllib
; %bb.0:
	s_load_b64 s[20:21], s[0:1], 0x60
	s_bfe_u32 s2, ttmp6, 0x40014
	s_lshr_b32 s4, ttmp7, 16
	s_add_co_i32 s2, s2, 1
	s_bfe_u32 s5, ttmp6, 0x40008
	s_mul_i32 s2, s4, s2
	s_getreg_b32 s3, hwreg(HW_REG_IB_STS2, 6, 4)
	s_add_co_i32 s5, s5, s2
	s_cmp_eq_u32 s3, 0
	s_mov_b32 s23, 0
	s_cselect_b32 s22, s4, s5
	s_wait_kmcnt 0x0
	s_cmp_ge_u32 s22, s20
	s_cbranch_scc1 .LBB112_27
; %bb.1:
	s_clause 0x2
	s_load_b512 s[4:19], s[0:1], 0x8
	s_load_b128 s[24:27], s[0:1], 0x48
	s_load_u16 s33, s[0:1], 0x76
	s_bitcmp1_b32 s21, 0
	s_mov_b64 s[28:29], src_shared_base
	s_cselect_b32 s2, -1, 0
	s_bfe_u32 s21, ttmp6, 0x40010
	s_and_b32 s28, ttmp7, 0xffff
	s_add_co_i32 s21, s21, 1
	s_bfe_u32 s30, ttmp6, 0x40004
	s_mul_i32 s21, s28, s21
	v_bfe_u32 v14, v0, 10, 10
	s_add_co_i32 s21, s30, s21
	v_and_b32_e32 v0, 0x3ff, v0
	v_mov_b32_e32 v3, 0
	s_delay_alu instid0(VALU_DEP_3)
	v_lshl_add_u32 v15, v14, 3, 0
	s_wait_kmcnt 0x0
	s_lshl_b64 s[30:31], s[12:13], 3
	s_lshl_b64 s[36:37], s[24:25], 3
	s_cmp_eq_u32 s3, 0
	s_load_b64 s[12:13], s[0:1], 0x58
	s_cselect_b32 s3, s28, s21
	s_add_nc_u64 s[18:19], s[18:19], s[36:37]
	v_mad_u32 v2, s3, s33, v14
	s_add_nc_u64 s[24:25], s[0:1], 0x68
	s_wait_xcnt 0x0
	s_lshl_b32 s0, s33, 3
	v_cmp_gt_i64_e64 s21, s[4:5], 0
	v_cmp_gt_i64_e64 s34, s[4:5], 1
	s_add_nc_u64 s[10:11], s[10:11], s[30:31]
	v_mul_u64_e32 v[4:5], s[26:27], v[2:3]
	v_cmp_gt_i64_e64 s3, s[6:7], v[2:3]
	v_dual_mov_b32 v1, v3 :: v_dual_lshlrev_b32 v2, 3, v0
	s_add_nc_u64 s[26:27], s[4:5], -1
	s_add_co_i32 s6, s0, 0
	s_mov_b32 s7, s29
	v_lshl_add_u32 v16, v0, 3, s6
	v_cmp_le_i64_e32 vcc_lo, s[4:5], v[0:1]
	v_cmp_gt_i64_e64 s1, s[4:5], v[0:1]
	v_cmp_eq_u64_e64 s0, s[26:27], v[0:1]
	s_and_b32 s1, s3, s1
	s_xor_b32 s3, vcc_lo, -1
	v_lshl_add_u64 v[4:5], v[4:5], 3, s[18:19]
	s_delay_alu instid0(VALU_DEP_1)
	v_lshl_add_u64 v[4:5], v[0:1], 3, v[4:5]
	s_branch .LBB112_4
.LBB112_2:                              ;   in Loop: Header=BB112_4 Depth=1
	s_or_b32 exec_lo, exec_lo, s28
	global_store_b64 v[6:7], v[8:9], off
.LBB112_3:                              ;   in Loop: Header=BB112_4 Depth=1
	s_wait_xcnt 0x0
	s_or_b32 exec_lo, exec_lo, s35
	s_add_co_i32 s22, s22, 0x10000
	s_delay_alu instid0(SALU_CYCLE_1)
	s_cmp_lt_u32 s22, s20
	s_cbranch_scc0 .LBB112_27
.LBB112_4:                              ; =>This Loop Header: Depth=1
                                        ;     Child Loop BB112_9 Depth 2
                                        ;     Child Loop BB112_21 Depth 2
	s_mul_u64 s[18:19], s[16:17], s[22:23]
	s_and_not1_b32 vcc_lo, exec_lo, s2
	s_lshl_b64 s[18:19], s[18:19], 3
	s_delay_alu instid0(SALU_CYCLE_1)
	s_add_nc_u64 s[18:19], s[10:11], s[18:19]
	s_cbranch_vccz .LBB112_6
; %bb.5:                                ;   in Loop: Header=BB112_4 Depth=1
	s_and_saveexec_b32 s35, s1
	s_cbranch_execz .LBB112_3
	s_branch .LBB112_18
.LBB112_6:                              ;   in Loop: Header=BB112_4 Depth=1
	s_and_not1_b32 vcc_lo, exec_lo, s21
	s_cbranch_vccnz .LBB112_17
; %bb.7:                                ;   in Loop: Header=BB112_4 Depth=1
	v_mul_u64_e32 v[8:9], s[14:15], v[0:1]
	v_add_nc_u64_e32 v[6:7], s[18:19], v[2:3]
	v_mov_b32_e32 v10, v14
	s_mov_b32 s18, s33
	s_delay_alu instid0(VALU_DEP_2)
	v_lshl_add_u64 v[8:9], v[8:9], 3, v[6:7]
	s_branch .LBB112_9
.LBB112_8:                              ;   in Loop: Header=BB112_9 Depth=2
	s_or_b32 exec_lo, exec_lo, s28
	s_ashr_i32 s19, s18, 31
	v_add_nc_u32_e32 v10, s33, v10
	v_cmp_le_i64_e64 s19, s[4:5], s[18:19]
	s_add_co_i32 s18, s18, s33
	s_and_b32 vcc_lo, exec_lo, s19
	s_cbranch_vccnz .LBB112_17
.LBB112_9:                              ;   Parent Loop BB112_4 Depth=1
                                        ; =>  This Inner Loop Header: Depth=2
	s_delay_alu instid0(VALU_DEP_2) | instskip(SKIP_2) | instid1(SALU_CYCLE_1)
	v_cmp_gt_i32_e32 vcc_lo, v0, v10
	s_mov_b32 s19, 0
                                        ; implicit-def: $vgpr12_vgpr13
	s_and_b32 s28, s3, vcc_lo
	s_and_saveexec_b32 s29, s28
	s_delay_alu instid0(SALU_CYCLE_1)
	s_xor_b32 s28, exec_lo, s29
	s_cbranch_execnz .LBB112_12
; %bb.10:                               ;   in Loop: Header=BB112_9 Depth=2
	s_or_saveexec_b32 s28, s28
	v_mov_b32_e32 v11, v10
	s_xor_b32 exec_lo, exec_lo, s28
	s_cbranch_execnz .LBB112_13
.LBB112_11:                             ;   in Loop: Header=BB112_9 Depth=2
	s_or_b32 exec_lo, exec_lo, s28
	s_and_saveexec_b32 s28, s19
	s_cbranch_execz .LBB112_8
	s_branch .LBB112_16
.LBB112_12:                             ;   in Loop: Header=BB112_9 Depth=2
	v_ashrrev_i32_e32 v11, 31, v10
	s_mov_b32 s19, exec_lo
	s_wait_loadcnt 0x0
	s_delay_alu instid0(VALU_DEP_1) | instskip(NEXT) | instid1(VALU_DEP_1)
	v_mul_u64_e32 v[12:13], s[14:15], v[10:11]
	v_lshl_add_u64 v[12:13], v[12:13], 3, v[6:7]
	global_load_b64 v[12:13], v[12:13], off
	s_wait_xcnt 0x0
	s_or_saveexec_b32 s28, s28
	v_mov_b32_e32 v11, v10
	s_xor_b32 exec_lo, exec_lo, s28
	s_cbranch_execz .LBB112_11
.LBB112_13:                             ;   in Loop: Header=BB112_9 Depth=2
	v_cmp_eq_u32_e32 vcc_lo, v0, v10
	s_mov_b32 s30, s19
                                        ; implicit-def: $vgpr12_vgpr13
	s_and_b32 s31, s3, vcc_lo
	s_delay_alu instid0(SALU_CYCLE_1)
	s_and_saveexec_b32 s29, s31
	s_cbranch_execz .LBB112_15
; %bb.14:                               ;   in Loop: Header=BB112_9 Depth=2
	s_wait_loadcnt 0x0
	global_load_b64 v[12:13], v[8:9], off
	s_or_b32 s30, s19, exec_lo
	s_wait_loadcnt 0x0
	v_div_scale_f64 v[18:19], null, v[12:13], v[12:13], 1.0
	s_delay_alu instid0(VALU_DEP_1) | instskip(SKIP_1) | instid1(TRANS32_DEP_1)
	v_rcp_f64_e32 v[20:21], v[18:19]
	v_nop
	v_fma_f64 v[22:23], -v[18:19], v[20:21], 1.0
	s_delay_alu instid0(VALU_DEP_1) | instskip(NEXT) | instid1(VALU_DEP_1)
	v_fmac_f64_e32 v[20:21], v[20:21], v[22:23]
	v_fma_f64 v[22:23], -v[18:19], v[20:21], 1.0
	s_delay_alu instid0(VALU_DEP_1) | instskip(SKIP_1) | instid1(VALU_DEP_1)
	v_fmac_f64_e32 v[20:21], v[20:21], v[22:23]
	v_div_scale_f64 v[22:23], vcc_lo, 1.0, v[12:13], 1.0
	v_mul_f64_e32 v[24:25], v[22:23], v[20:21]
	s_delay_alu instid0(VALU_DEP_1) | instskip(NEXT) | instid1(VALU_DEP_1)
	v_fma_f64 v[18:19], -v[18:19], v[24:25], v[22:23]
	v_div_fmas_f64 v[18:19], v[18:19], v[20:21], v[24:25]
	s_delay_alu instid0(VALU_DEP_1)
	v_div_fixup_f64 v[12:13], v[18:19], v[12:13], 1.0
.LBB112_15:                             ;   in Loop: Header=BB112_9 Depth=2
	s_wait_xcnt 0x0
	s_or_b32 exec_lo, exec_lo, s29
	v_mov_b32_e32 v11, v0
	s_and_not1_b32 s19, s19, exec_lo
	s_and_b32 s29, s30, exec_lo
	s_delay_alu instid0(SALU_CYCLE_1)
	s_or_b32 s19, s19, s29
	s_or_b32 exec_lo, exec_lo, s28
	s_and_saveexec_b32 s28, s19
	s_cbranch_execz .LBB112_8
.LBB112_16:                             ;   in Loop: Header=BB112_9 Depth=2
	s_load_b32 s19, s[24:25], 0xc
	s_wait_kmcnt 0x0
	s_and_b32 s19, s19, 0xffff
	s_delay_alu instid0(SALU_CYCLE_1) | instskip(NEXT) | instid1(VALU_DEP_1)
	v_mul_lo_u32 v11, v11, s19
	v_lshl_add_u32 v11, v11, 3, v16
	s_wait_loadcnt 0x0
	ds_store_b64 v11, v[12:13]
	s_branch .LBB112_8
.LBB112_17:                             ;   in Loop: Header=BB112_4 Depth=1
	s_load_b32 s14, s[24:25], 0xc
	s_mov_b32 s15, s23
	s_mov_b64 s[18:19], s[6:7]
	s_wait_kmcnt 0x0
	s_and_b32 s14, s14, 0xffff
	s_and_saveexec_b32 s35, s1
	s_cbranch_execz .LBB112_3
.LBB112_18:                             ;   in Loop: Header=BB112_4 Depth=1
	s_wait_kmcnt 0x0
	s_mul_u64 s[28:29], s[12:13], s[22:23]
	s_and_not1_b32 vcc_lo, exec_lo, s34
	v_lshl_add_u64 v[6:7], s[28:29], 3, v[4:5]
	global_load_b64 v[8:9], v[6:7], off
	s_wait_loadcnt 0x0
	v_mul_f64_e32 v[8:9], s[8:9], v[8:9]
	s_cbranch_vccnz .LBB112_25
; %bb.19:                               ;   in Loop: Header=BB112_4 Depth=1
	v_mad_nc_u64_u32 v[12:13], v0, s14, v[0:1]
	v_add_nc_u64_e32 v[10:11], s[18:19], v[2:3]
	s_lshl_b64 s[28:29], s[14:15], 3
	s_mov_b64 s[30:31], 0
	s_delay_alu instid0(VALU_DEP_2) | instskip(NEXT) | instid1(VALU_DEP_1)
	v_mad_u32 v13, v0, s15, v13
	v_lshl_add_u64 v[12:13], v[12:13], 3, s[18:19]
	s_branch .LBB112_21
.LBB112_20:                             ;   in Loop: Header=BB112_21 Depth=2
	s_wait_xcnt 0x0
	s_or_b32 exec_lo, exec_lo, s36
	v_add_nc_u64_e32 v[10:11], s[28:29], v[10:11]
	s_add_nc_u64 s[30:31], s[30:31], 1
	s_delay_alu instid0(SALU_CYCLE_1)
	s_cmp_eq_u64 s[26:27], s[30:31]
	s_cbranch_scc1 .LBB112_25
.LBB112_21:                             ;   Parent Loop BB112_4 Depth=1
                                        ; =>  This Inner Loop Header: Depth=2
	s_mov_b32 s36, exec_lo
	s_wait_dscnt 0x0
	s_barrier_signal -1
	s_barrier_wait -1
	s_wait_xcnt 0x0
	v_cmpx_eq_u64_e64 s[30:31], v[0:1]
	s_cbranch_execz .LBB112_23
; %bb.22:                               ;   in Loop: Header=BB112_21 Depth=2
	flat_load_b64 v[18:19], v[12:13]
	s_wait_loadcnt_dscnt 0x0
	v_div_scale_f64 v[20:21], null, v[18:19], v[18:19], 1.0
	v_div_scale_f64 v[26:27], vcc_lo, 1.0, v[18:19], 1.0
	s_delay_alu instid0(VALU_DEP_2) | instskip(SKIP_1) | instid1(TRANS32_DEP_1)
	v_rcp_f64_e32 v[22:23], v[20:21]
	v_nop
	v_fma_f64 v[24:25], -v[20:21], v[22:23], 1.0
	s_delay_alu instid0(VALU_DEP_1) | instskip(NEXT) | instid1(VALU_DEP_1)
	v_fmac_f64_e32 v[22:23], v[22:23], v[24:25]
	v_fma_f64 v[24:25], -v[20:21], v[22:23], 1.0
	s_delay_alu instid0(VALU_DEP_1) | instskip(NEXT) | instid1(VALU_DEP_1)
	v_fmac_f64_e32 v[22:23], v[22:23], v[24:25]
	v_mul_f64_e32 v[24:25], v[26:27], v[22:23]
	s_delay_alu instid0(VALU_DEP_1) | instskip(NEXT) | instid1(VALU_DEP_1)
	v_fma_f64 v[20:21], -v[20:21], v[24:25], v[26:27]
	v_div_fmas_f64 v[20:21], v[20:21], v[22:23], v[24:25]
	s_delay_alu instid0(VALU_DEP_1) | instskip(NEXT) | instid1(VALU_DEP_1)
	v_div_fixup_f64 v[20:21], v[20:21], v[18:19], 1.0
	v_dual_cndmask_b32 v19, v21, v19, s2 :: v_dual_cndmask_b32 v18, v20, v18, s2
	s_delay_alu instid0(VALU_DEP_1)
	v_mul_f64_e32 v[8:9], v[8:9], v[18:19]
	ds_store_b64 v15, v[8:9]
.LBB112_23:                             ;   in Loop: Header=BB112_21 Depth=2
	s_wait_xcnt 0x0
	s_or_b32 exec_lo, exec_lo, s36
	s_delay_alu instid0(SALU_CYCLE_1)
	s_mov_b32 s36, exec_lo
	s_wait_dscnt 0x0
	s_barrier_signal -1
	s_barrier_wait -1
	v_cmpx_lt_u64_e64 s[30:31], v[0:1]
	s_cbranch_execz .LBB112_20
; %bb.24:                               ;   in Loop: Header=BB112_21 Depth=2
	flat_load_b64 v[18:19], v[10:11]
	ds_load_b64 v[20:21], v15
	s_wait_loadcnt_dscnt 0x0
	v_fma_f64 v[8:9], -v[18:19], v[20:21], v[8:9]
	s_branch .LBB112_20
.LBB112_25:                             ;   in Loop: Header=BB112_4 Depth=1
	s_wait_xcnt 0x0
	s_and_saveexec_b32 s28, s0
	s_cbranch_execz .LBB112_2
; %bb.26:                               ;   in Loop: Header=BB112_4 Depth=1
	v_mad_nc_u64_u32 v[10:11], v0, s14, v[0:1]
	s_delay_alu instid0(VALU_DEP_1) | instskip(NEXT) | instid1(VALU_DEP_1)
	v_mad_u32 v11, v0, s15, v11
	v_lshl_add_u64 v[10:11], v[10:11], 3, s[18:19]
	flat_load_b64 v[10:11], v[10:11]
	s_wait_loadcnt_dscnt 0x0
	v_div_scale_f64 v[12:13], null, v[10:11], v[10:11], 1.0
	v_div_scale_f64 v[22:23], vcc_lo, 1.0, v[10:11], 1.0
	s_delay_alu instid0(VALU_DEP_2) | instskip(SKIP_1) | instid1(TRANS32_DEP_1)
	v_rcp_f64_e32 v[18:19], v[12:13]
	v_nop
	v_fma_f64 v[20:21], -v[12:13], v[18:19], 1.0
	s_delay_alu instid0(VALU_DEP_1) | instskip(NEXT) | instid1(VALU_DEP_1)
	v_fmac_f64_e32 v[18:19], v[18:19], v[20:21]
	v_fma_f64 v[20:21], -v[12:13], v[18:19], 1.0
	s_delay_alu instid0(VALU_DEP_1) | instskip(NEXT) | instid1(VALU_DEP_1)
	v_fmac_f64_e32 v[18:19], v[18:19], v[20:21]
	v_mul_f64_e32 v[20:21], v[22:23], v[18:19]
	s_delay_alu instid0(VALU_DEP_1) | instskip(NEXT) | instid1(VALU_DEP_1)
	v_fma_f64 v[12:13], -v[12:13], v[20:21], v[22:23]
	v_div_fmas_f64 v[12:13], v[12:13], v[18:19], v[20:21]
	s_delay_alu instid0(VALU_DEP_1) | instskip(SKIP_1) | instid1(VALU_DEP_1)
	v_div_fixup_f64 v[12:13], v[12:13], v[10:11], 1.0
	s_wait_xcnt 0x0
	v_dual_cndmask_b32 v11, v13, v11, s2 :: v_dual_cndmask_b32 v10, v12, v10, s2
	s_delay_alu instid0(VALU_DEP_1)
	v_mul_f64_e32 v[8:9], v[8:9], v[10:11]
	s_branch .LBB112_2
.LBB112_27:
	s_endpgm
	.section	.rodata,"a",@progbits
	.p2align	6, 0x0
	.amdhsa_kernel _ZL39rocblas_trsm_block_forward_substitutionIddPKdPdLb0ELb0ELb0EEv18rocblas_operation_llT0_T1_lllT2_lllib
		.amdhsa_group_segment_fixed_size 0
		.amdhsa_private_segment_fixed_size 0
		.amdhsa_kernarg_size 360
		.amdhsa_user_sgpr_count 2
		.amdhsa_user_sgpr_dispatch_ptr 0
		.amdhsa_user_sgpr_queue_ptr 0
		.amdhsa_user_sgpr_kernarg_segment_ptr 1
		.amdhsa_user_sgpr_dispatch_id 0
		.amdhsa_user_sgpr_kernarg_preload_length 0
		.amdhsa_user_sgpr_kernarg_preload_offset 0
		.amdhsa_user_sgpr_private_segment_size 0
		.amdhsa_wavefront_size32 1
		.amdhsa_uses_dynamic_stack 0
		.amdhsa_enable_private_segment 0
		.amdhsa_system_sgpr_workgroup_id_x 1
		.amdhsa_system_sgpr_workgroup_id_y 1
		.amdhsa_system_sgpr_workgroup_id_z 1
		.amdhsa_system_sgpr_workgroup_info 0
		.amdhsa_system_vgpr_workitem_id 1
		.amdhsa_next_free_vgpr 28
		.amdhsa_next_free_sgpr 38
		.amdhsa_named_barrier_count 0
		.amdhsa_reserve_vcc 1
		.amdhsa_float_round_mode_32 0
		.amdhsa_float_round_mode_16_64 0
		.amdhsa_float_denorm_mode_32 3
		.amdhsa_float_denorm_mode_16_64 3
		.amdhsa_fp16_overflow 0
		.amdhsa_memory_ordered 1
		.amdhsa_forward_progress 1
		.amdhsa_inst_pref_size 12
		.amdhsa_round_robin_scheduling 0
		.amdhsa_exception_fp_ieee_invalid_op 0
		.amdhsa_exception_fp_denorm_src 0
		.amdhsa_exception_fp_ieee_div_zero 0
		.amdhsa_exception_fp_ieee_overflow 0
		.amdhsa_exception_fp_ieee_underflow 0
		.amdhsa_exception_fp_ieee_inexact 0
		.amdhsa_exception_int_div_zero 0
	.end_amdhsa_kernel
	.section	.text._ZL39rocblas_trsm_block_forward_substitutionIddPKdPdLb0ELb0ELb0EEv18rocblas_operation_llT0_T1_lllT2_lllib,"axG",@progbits,_ZL39rocblas_trsm_block_forward_substitutionIddPKdPdLb0ELb0ELb0EEv18rocblas_operation_llT0_T1_lllT2_lllib,comdat
.Lfunc_end112:
	.size	_ZL39rocblas_trsm_block_forward_substitutionIddPKdPdLb0ELb0ELb0EEv18rocblas_operation_llT0_T1_lllT2_lllib, .Lfunc_end112-_ZL39rocblas_trsm_block_forward_substitutionIddPKdPdLb0ELb0ELb0EEv18rocblas_operation_llT0_T1_lllT2_lllib
                                        ; -- End function
	.set _ZL39rocblas_trsm_block_forward_substitutionIddPKdPdLb0ELb0ELb0EEv18rocblas_operation_llT0_T1_lllT2_lllib.num_vgpr, 28
	.set _ZL39rocblas_trsm_block_forward_substitutionIddPKdPdLb0ELb0ELb0EEv18rocblas_operation_llT0_T1_lllT2_lllib.num_agpr, 0
	.set _ZL39rocblas_trsm_block_forward_substitutionIddPKdPdLb0ELb0ELb0EEv18rocblas_operation_llT0_T1_lllT2_lllib.numbered_sgpr, 38
	.set _ZL39rocblas_trsm_block_forward_substitutionIddPKdPdLb0ELb0ELb0EEv18rocblas_operation_llT0_T1_lllT2_lllib.num_named_barrier, 0
	.set _ZL39rocblas_trsm_block_forward_substitutionIddPKdPdLb0ELb0ELb0EEv18rocblas_operation_llT0_T1_lllT2_lllib.private_seg_size, 0
	.set _ZL39rocblas_trsm_block_forward_substitutionIddPKdPdLb0ELb0ELb0EEv18rocblas_operation_llT0_T1_lllT2_lllib.uses_vcc, 1
	.set _ZL39rocblas_trsm_block_forward_substitutionIddPKdPdLb0ELb0ELb0EEv18rocblas_operation_llT0_T1_lllT2_lllib.uses_flat_scratch, 0
	.set _ZL39rocblas_trsm_block_forward_substitutionIddPKdPdLb0ELb0ELb0EEv18rocblas_operation_llT0_T1_lllT2_lllib.has_dyn_sized_stack, 0
	.set _ZL39rocblas_trsm_block_forward_substitutionIddPKdPdLb0ELb0ELb0EEv18rocblas_operation_llT0_T1_lllT2_lllib.has_recursion, 0
	.set _ZL39rocblas_trsm_block_forward_substitutionIddPKdPdLb0ELb0ELb0EEv18rocblas_operation_llT0_T1_lllT2_lllib.has_indirect_call, 0
	.section	.AMDGPU.csdata,"",@progbits
; Kernel info:
; codeLenInByte = 1444
; TotalNumSgprs: 40
; NumVgprs: 28
; ScratchSize: 0
; MemoryBound: 1
; FloatMode: 240
; IeeeMode: 1
; LDSByteSize: 0 bytes/workgroup (compile time only)
; SGPRBlocks: 0
; VGPRBlocks: 1
; NumSGPRsForWavesPerEU: 40
; NumVGPRsForWavesPerEU: 28
; NamedBarCnt: 0
; Occupancy: 16
; WaveLimiterHint : 0
; COMPUTE_PGM_RSRC2:SCRATCH_EN: 0
; COMPUTE_PGM_RSRC2:USER_SGPR: 2
; COMPUTE_PGM_RSRC2:TRAP_HANDLER: 0
; COMPUTE_PGM_RSRC2:TGID_X_EN: 1
; COMPUTE_PGM_RSRC2:TGID_Y_EN: 1
; COMPUTE_PGM_RSRC2:TGID_Z_EN: 1
; COMPUTE_PGM_RSRC2:TIDIG_COMP_CNT: 1
	.section	.text._ZL40rocblas_trsm_block_backward_substitutionIddPKdPdLb0ELb0ELb0EEv18rocblas_operation_llT0_T1_lllT2_lllib,"axG",@progbits,_ZL40rocblas_trsm_block_backward_substitutionIddPKdPdLb0ELb0ELb0EEv18rocblas_operation_llT0_T1_lllT2_lllib,comdat
	.globl	_ZL40rocblas_trsm_block_backward_substitutionIddPKdPdLb0ELb0ELb0EEv18rocblas_operation_llT0_T1_lllT2_lllib ; -- Begin function _ZL40rocblas_trsm_block_backward_substitutionIddPKdPdLb0ELb0ELb0EEv18rocblas_operation_llT0_T1_lllT2_lllib
	.p2align	8
	.type	_ZL40rocblas_trsm_block_backward_substitutionIddPKdPdLb0ELb0ELb0EEv18rocblas_operation_llT0_T1_lllT2_lllib,@function
_ZL40rocblas_trsm_block_backward_substitutionIddPKdPdLb0ELb0ELb0EEv18rocblas_operation_llT0_T1_lllT2_lllib: ; @_ZL40rocblas_trsm_block_backward_substitutionIddPKdPdLb0ELb0ELb0EEv18rocblas_operation_llT0_T1_lllT2_lllib
; %bb.0:
	s_load_b64 s[24:25], s[0:1], 0x60
	s_bfe_u32 s2, ttmp6, 0x40014
	s_lshr_b32 s3, ttmp7, 16
	s_add_co_i32 s2, s2, 1
	s_bfe_u32 s5, ttmp6, 0x40008
	s_mul_i32 s4, s3, s2
	s_getreg_b32 s2, hwreg(HW_REG_IB_STS2, 6, 4)
	s_add_co_i32 s5, s5, s4
	s_cmp_eq_u32 s2, 0
	s_mov_b32 s27, 0
	s_cselect_b32 s26, s3, s5
	s_wait_kmcnt 0x0
	s_cmp_ge_u32 s26, s24
	s_cbranch_scc1 .LBB113_29
; %bb.1:
	s_clause 0x2
	s_load_b128 s[20:23], s[0:1], 0x48
	s_load_u16 s33, s[0:1], 0x76
	s_load_b512 s[4:19], s[0:1], 0x8
	v_and_b32_e32 v2, 0x3ff, v0
	v_mov_b32_e32 v1, 0
	s_bitcmp1_b32 s25, 0
	s_add_nc_u64 s[28:29], s[0:1], 0x68
	v_bfe_u32 v7, v0, 10, 10
	s_delay_alu instid0(VALU_DEP_2) | instskip(SKIP_1) | instid1(VALU_DEP_2)
	v_dual_mov_b32 v3, v1 :: v_dual_lshlrev_b32 v6, 3, v2
	s_mov_b64 s[30:31], src_shared_base
	v_lshl_add_u32 v18, v7, 3, 0
	s_wait_kmcnt 0x0
	s_delay_alu instid0(VALU_DEP_2)
	v_mul_u64_e32 v[8:9], s[22:23], v[2:3]
	s_load_b64 s[22:23], s[0:1], 0x58
	s_wait_xcnt 0x0
	s_cselect_b32 s0, -1, 0
	s_bfe_u32 s1, ttmp6, 0x40010
	s_and_b32 s3, ttmp7, 0xffff
	s_add_co_i32 s1, s1, 1
	s_bfe_u32 s25, ttmp6, 0x40004
	s_mul_i32 s1, s3, s1
	s_lshl_b64 s[34:35], s[12:13], 3
	s_add_co_i32 s25, s25, s1
	s_lshl_b64 s[36:37], s[20:21], 3
	s_cmp_eq_u32 s2, 0
	s_add_nc_u64 s[18:19], s[18:19], s[36:37]
	s_cselect_b32 s1, s3, s25
	s_lshl_b32 s3, s33, 3
	v_mad_u32 v0, s1, s33, v7
	s_add_co_i32 s12, s3, 0
	v_cmp_gt_i64_e64 s40, s[4:5], 0
	v_add_nc_u32_e32 v19, s12, v6
	v_mul_u64_e32 v[4:5], s[14:15], v[2:3]
	v_cmp_le_i64_e64 s25, s[4:5], v[2:3]
	v_cmp_gt_i64_e64 s2, s[4:5], v[2:3]
	v_cmp_gt_i64_e64 s41, s[4:5], 1
	v_cmp_eq_u32_e64 s1, 0, v2
	s_add_nc_u64 s[20:21], s[4:5], -1
	s_mov_b32 s13, s31
	v_cmp_gt_i64_e32 vcc_lo, s[6:7], v[0:1]
	s_add_nc_u64 s[6:7], s[10:11], s[34:35]
	s_lshl_b64 s[10:11], s[20:21], 3
	s_xor_b32 s43, s25, -1
	v_lshl_add_u64 v[8:9], v[8:9], 3, s[18:19]
	s_and_b32 s42, vcc_lo, s2
	s_delay_alu instid0(VALU_DEP_1)
	v_lshl_add_u64 v[8:9], v[0:1], 3, v[8:9]
	v_lshlrev_b32_e32 v0, 3, v2
	s_branch .LBB113_4
.LBB113_2:                              ;   in Loop: Header=BB113_4 Depth=1
	s_or_b32 exec_lo, exec_lo, s36
	global_store_b64 v[10:11], v[12:13], off
.LBB113_3:                              ;   in Loop: Header=BB113_4 Depth=1
	s_wait_xcnt 0x0
	s_or_b32 exec_lo, exec_lo, s3
	s_add_co_i32 s26, s26, 0x10000
	s_delay_alu instid0(SALU_CYCLE_1)
	s_cmp_lt_u32 s26, s24
	s_cbranch_scc0 .LBB113_29
.LBB113_4:                              ; =>This Loop Header: Depth=1
                                        ;     Child Loop BB113_8 Depth 2
                                        ;     Child Loop BB113_23 Depth 2
	s_mul_u64 s[18:19], s[16:17], s[26:27]
	s_and_not1_b32 vcc_lo, exec_lo, s0
	s_lshl_b64 s[18:19], s[18:19], 3
	s_delay_alu instid0(SALU_CYCLE_1)
	s_add_nc_u64 s[18:19], s[6:7], s[18:19]
	s_cbranch_vccnz .LBB113_18
; %bb.5:                                ;   in Loop: Header=BB113_4 Depth=1
	s_and_not1_b32 vcc_lo, exec_lo, s40
	s_cbranch_vccnz .LBB113_19
; %bb.6:                                ;   in Loop: Header=BB113_4 Depth=1
	v_lshl_add_u64 v[10:11], v[4:5], 3, s[18:19]
	v_mov_b32_e32 v14, v7
	s_mov_b32 s18, s33
	s_delay_alu instid0(VALU_DEP_2)
	v_add_nc_u64_e32 v[12:13], v[10:11], v[0:1]
	s_branch .LBB113_8
.LBB113_7:                              ;   in Loop: Header=BB113_8 Depth=2
	s_or_b32 exec_lo, exec_lo, s19
	s_ashr_i32 s19, s18, 31
	v_add_nc_u32_e32 v14, s33, v14
	v_cmp_le_i64_e64 s3, s[4:5], s[18:19]
	s_add_co_i32 s18, s18, s33
	s_and_b32 vcc_lo, exec_lo, s3
	s_cbranch_vccnz .LBB113_19
.LBB113_8:                              ;   Parent Loop BB113_4 Depth=1
                                        ; =>  This Inner Loop Header: Depth=2
	s_mov_b32 s3, 0
	s_mov_b32 s30, s25
                                        ; implicit-def: $vgpr16_vgpr17
	s_and_saveexec_b32 s19, s2
	s_cbranch_execnz .LBB113_11
; %bb.9:                                ;   in Loop: Header=BB113_8 Depth=2
	s_or_b32 exec_lo, exec_lo, s19
	v_mov_b32_e32 v15, v14
	s_and_saveexec_b32 s19, s30
	s_cbranch_execnz .LBB113_14
.LBB113_10:                             ;   in Loop: Header=BB113_8 Depth=2
	s_or_b32 exec_lo, exec_lo, s19
	s_and_saveexec_b32 s19, s3
	s_cbranch_execz .LBB113_7
	s_branch .LBB113_17
.LBB113_11:                             ;   in Loop: Header=BB113_8 Depth=2
	v_ashrrev_i32_e32 v15, 31, v14
	v_cmp_lt_i32_e64 s3, v2, v14
	s_mov_b32 s30, -1
                                        ; implicit-def: $vgpr16_vgpr17
	v_cmp_gt_i64_e32 vcc_lo, s[4:5], v[14:15]
	s_and_b32 s34, s3, vcc_lo
	s_mov_b32 s3, 0
	s_and_saveexec_b32 s31, s34
	s_cbranch_execz .LBB113_13
; %bb.12:                               ;   in Loop: Header=BB113_8 Depth=2
	s_wait_loadcnt 0x0
	v_lshl_add_u64 v[16:17], v[14:15], 3, v[10:11]
	s_mov_b32 s3, exec_lo
	s_xor_b32 s30, exec_lo, -1
	global_load_b64 v[16:17], v[16:17], off
.LBB113_13:                             ;   in Loop: Header=BB113_8 Depth=2
	s_wait_xcnt 0x0
	s_or_b32 exec_lo, exec_lo, s31
	s_delay_alu instid0(SALU_CYCLE_1)
	s_and_not1_b32 s31, s25, exec_lo
	s_and_b32 s30, s30, exec_lo
	s_and_b32 s3, s3, exec_lo
	s_or_b32 s30, s31, s30
	s_or_b32 exec_lo, exec_lo, s19
	v_mov_b32_e32 v15, v14
	s_and_saveexec_b32 s19, s30
	s_cbranch_execz .LBB113_10
.LBB113_14:                             ;   in Loop: Header=BB113_8 Depth=2
	v_cmp_eq_u32_e32 vcc_lo, v2, v14
	s_mov_b32 s31, s3
                                        ; implicit-def: $vgpr16_vgpr17
	s_and_b32 s34, s43, vcc_lo
	s_delay_alu instid0(SALU_CYCLE_1)
	s_and_saveexec_b32 s30, s34
	s_cbranch_execz .LBB113_16
; %bb.15:                               ;   in Loop: Header=BB113_8 Depth=2
	s_wait_loadcnt 0x0
	global_load_b64 v[16:17], v[12:13], off
	s_or_b32 s31, s3, exec_lo
	s_wait_loadcnt 0x0
	v_div_scale_f64 v[20:21], null, v[16:17], v[16:17], 1.0
	s_delay_alu instid0(VALU_DEP_1) | instskip(SKIP_1) | instid1(TRANS32_DEP_1)
	v_rcp_f64_e32 v[22:23], v[20:21]
	v_nop
	v_fma_f64 v[24:25], -v[20:21], v[22:23], 1.0
	s_delay_alu instid0(VALU_DEP_1) | instskip(NEXT) | instid1(VALU_DEP_1)
	v_fmac_f64_e32 v[22:23], v[22:23], v[24:25]
	v_fma_f64 v[24:25], -v[20:21], v[22:23], 1.0
	s_delay_alu instid0(VALU_DEP_1) | instskip(SKIP_1) | instid1(VALU_DEP_1)
	v_fmac_f64_e32 v[22:23], v[22:23], v[24:25]
	v_div_scale_f64 v[24:25], vcc_lo, 1.0, v[16:17], 1.0
	v_mul_f64_e32 v[26:27], v[24:25], v[22:23]
	s_delay_alu instid0(VALU_DEP_1) | instskip(NEXT) | instid1(VALU_DEP_1)
	v_fma_f64 v[20:21], -v[20:21], v[26:27], v[24:25]
	v_div_fmas_f64 v[20:21], v[20:21], v[22:23], v[26:27]
	s_delay_alu instid0(VALU_DEP_1)
	v_div_fixup_f64 v[16:17], v[20:21], v[16:17], 1.0
.LBB113_16:                             ;   in Loop: Header=BB113_8 Depth=2
	s_wait_xcnt 0x0
	s_or_b32 exec_lo, exec_lo, s30
	v_mov_b32_e32 v15, v2
	s_and_not1_b32 s3, s3, exec_lo
	s_and_b32 s30, s31, exec_lo
	s_delay_alu instid0(SALU_CYCLE_1)
	s_or_b32 s3, s3, s30
	s_or_b32 exec_lo, exec_lo, s19
	s_and_saveexec_b32 s19, s3
	s_cbranch_execz .LBB113_7
.LBB113_17:                             ;   in Loop: Header=BB113_8 Depth=2
	s_load_b32 s3, s[28:29], 0xc
	s_wait_kmcnt 0x0
	s_and_b32 s3, s3, 0xffff
	s_delay_alu instid0(SALU_CYCLE_1) | instskip(NEXT) | instid1(VALU_DEP_1)
	v_mul_lo_u32 v15, v15, s3
	v_lshl_add_u32 v15, v15, 3, v19
	s_wait_loadcnt 0x0
	ds_store_b64 v15, v[16:17]
	s_branch .LBB113_7
.LBB113_18:                             ;   in Loop: Header=BB113_4 Depth=1
	s_mov_b64 s[30:31], 1
	s_mov_b64 s[34:35], s[14:15]
	s_and_saveexec_b32 s3, s42
	s_cbranch_execz .LBB113_3
	s_branch .LBB113_20
.LBB113_19:                             ;   in Loop: Header=BB113_4 Depth=1
	s_load_b32 s3, s[28:29], 0xc
	s_mov_b32 s31, s27
	s_mov_b64 s[34:35], 1
	s_mov_b64 s[18:19], s[12:13]
	s_wait_kmcnt 0x0
	s_and_b32 s30, s3, 0xffff
	s_and_saveexec_b32 s3, s42
	s_cbranch_execz .LBB113_3
.LBB113_20:                             ;   in Loop: Header=BB113_4 Depth=1
	s_wait_kmcnt 0x0
	s_mul_u64 s[36:37], s[22:23], s[26:27]
	s_and_not1_b32 vcc_lo, exec_lo, s41
	v_lshl_add_u64 v[10:11], s[36:37], 3, v[8:9]
	global_load_b64 v[12:13], v[10:11], off
	s_wait_loadcnt 0x0
	v_mul_f64_e32 v[12:13], s[8:9], v[12:13]
	s_cbranch_vccnz .LBB113_27
; %bb.21:                               ;   in Loop: Header=BB113_4 Depth=1
	s_add_nc_u64 s[36:37], s[30:31], s[34:35]
	s_mov_b64 s[38:39], s[20:21]
	v_mul_u64_e32 v[16:17], s[36:37], v[2:3]
	s_mul_u64 s[36:37], s[10:11], s[30:31]
	s_delay_alu instid0(SALU_CYCLE_1) | instskip(NEXT) | instid1(SALU_CYCLE_1)
	s_add_nc_u64 s[36:37], s[18:19], s[36:37]
	v_mad_nc_u64_u32 v[14:15], v6, s34, s[36:37]
	s_lshl_b32 s36, s30, 3
	s_mov_b32 s37, s27
	s_delay_alu instid0(SALU_CYCLE_1) | instskip(NEXT) | instid1(VALU_DEP_1)
	s_sub_nc_u64 s[36:37], 0, s[36:37]
	v_mad_u32 v15, v6, s35, v15
	s_delay_alu instid0(VALU_DEP_3)
	v_lshl_add_u64 v[16:17], v[16:17], 3, s[18:19]
	s_branch .LBB113_23
.LBB113_22:                             ;   in Loop: Header=BB113_23 Depth=2
	s_wait_xcnt 0x0
	s_or_b32 exec_lo, exec_lo, s44
	s_add_nc_u64 s[44:45], s[38:39], 1
	v_add_nc_u64_e32 v[14:15], s[36:37], v[14:15]
	v_cmp_lt_u64_e64 s44, s[44:45], 3
	s_add_nc_u64 s[38:39], s[38:39], -1
	s_and_b32 vcc_lo, exec_lo, s44
	s_cbranch_vccnz .LBB113_27
.LBB113_23:                             ;   Parent Loop BB113_4 Depth=1
                                        ; =>  This Inner Loop Header: Depth=2
	s_mov_b32 s44, exec_lo
	s_wait_dscnt 0x0
	s_barrier_signal -1
	s_barrier_wait -1
	s_wait_xcnt 0x0
	v_cmpx_eq_u64_e64 s[38:39], v[2:3]
	s_cbranch_execz .LBB113_25
; %bb.24:                               ;   in Loop: Header=BB113_23 Depth=2
	flat_load_b64 v[20:21], v[16:17]
	s_wait_loadcnt_dscnt 0x0
	v_div_scale_f64 v[22:23], null, v[20:21], v[20:21], 1.0
	v_div_scale_f64 v[28:29], vcc_lo, 1.0, v[20:21], 1.0
	s_delay_alu instid0(VALU_DEP_2) | instskip(SKIP_1) | instid1(TRANS32_DEP_1)
	v_rcp_f64_e32 v[24:25], v[22:23]
	v_nop
	v_fma_f64 v[26:27], -v[22:23], v[24:25], 1.0
	s_delay_alu instid0(VALU_DEP_1) | instskip(NEXT) | instid1(VALU_DEP_1)
	v_fmac_f64_e32 v[24:25], v[24:25], v[26:27]
	v_fma_f64 v[26:27], -v[22:23], v[24:25], 1.0
	s_delay_alu instid0(VALU_DEP_1) | instskip(NEXT) | instid1(VALU_DEP_1)
	v_fmac_f64_e32 v[24:25], v[24:25], v[26:27]
	v_mul_f64_e32 v[26:27], v[28:29], v[24:25]
	s_delay_alu instid0(VALU_DEP_1) | instskip(NEXT) | instid1(VALU_DEP_1)
	v_fma_f64 v[22:23], -v[22:23], v[26:27], v[28:29]
	v_div_fmas_f64 v[22:23], v[22:23], v[24:25], v[26:27]
	s_delay_alu instid0(VALU_DEP_1) | instskip(NEXT) | instid1(VALU_DEP_1)
	v_div_fixup_f64 v[22:23], v[22:23], v[20:21], 1.0
	v_dual_cndmask_b32 v21, v23, v21, s0 :: v_dual_cndmask_b32 v20, v22, v20, s0
	s_delay_alu instid0(VALU_DEP_1)
	v_mul_f64_e32 v[12:13], v[12:13], v[20:21]
	ds_store_b64 v18, v[12:13]
.LBB113_25:                             ;   in Loop: Header=BB113_23 Depth=2
	s_wait_xcnt 0x0
	s_or_b32 exec_lo, exec_lo, s44
	s_delay_alu instid0(SALU_CYCLE_1)
	s_mov_b32 s44, exec_lo
	s_wait_dscnt 0x0
	s_barrier_signal -1
	s_barrier_wait -1
	v_cmpx_gt_i64_e64 s[38:39], v[2:3]
	s_cbranch_execz .LBB113_22
; %bb.26:                               ;   in Loop: Header=BB113_23 Depth=2
	flat_load_b64 v[20:21], v[14:15]
	ds_load_b64 v[22:23], v18
	s_wait_loadcnt_dscnt 0x0
	v_fma_f64 v[12:13], -v[20:21], v[22:23], v[12:13]
	s_branch .LBB113_22
.LBB113_27:                             ;   in Loop: Header=BB113_4 Depth=1
	s_wait_xcnt 0x0
	s_and_saveexec_b32 s36, s1
	s_cbranch_execz .LBB113_2
; %bb.28:                               ;   in Loop: Header=BB113_4 Depth=1
	s_add_nc_u64 s[30:31], s[30:31], s[34:35]
	s_delay_alu instid0(SALU_CYCLE_1) | instskip(NEXT) | instid1(VALU_DEP_1)
	v_mul_u64_e32 v[14:15], s[30:31], v[2:3]
	v_lshl_add_u64 v[14:15], v[14:15], 3, s[18:19]
	flat_load_b64 v[14:15], v[14:15]
	s_wait_loadcnt_dscnt 0x0
	v_div_scale_f64 v[16:17], null, v[14:15], v[14:15], 1.0
	v_div_scale_f64 v[24:25], vcc_lo, 1.0, v[14:15], 1.0
	s_delay_alu instid0(VALU_DEP_2) | instskip(SKIP_1) | instid1(TRANS32_DEP_1)
	v_rcp_f64_e32 v[20:21], v[16:17]
	v_nop
	v_fma_f64 v[22:23], -v[16:17], v[20:21], 1.0
	s_delay_alu instid0(VALU_DEP_1) | instskip(NEXT) | instid1(VALU_DEP_1)
	v_fmac_f64_e32 v[20:21], v[20:21], v[22:23]
	v_fma_f64 v[22:23], -v[16:17], v[20:21], 1.0
	s_delay_alu instid0(VALU_DEP_1) | instskip(NEXT) | instid1(VALU_DEP_1)
	v_fmac_f64_e32 v[20:21], v[20:21], v[22:23]
	v_mul_f64_e32 v[22:23], v[24:25], v[20:21]
	s_delay_alu instid0(VALU_DEP_1) | instskip(NEXT) | instid1(VALU_DEP_1)
	v_fma_f64 v[16:17], -v[16:17], v[22:23], v[24:25]
	v_div_fmas_f64 v[16:17], v[16:17], v[20:21], v[22:23]
	s_delay_alu instid0(VALU_DEP_1) | instskip(SKIP_1) | instid1(VALU_DEP_1)
	v_div_fixup_f64 v[16:17], v[16:17], v[14:15], 1.0
	s_wait_xcnt 0x0
	v_dual_cndmask_b32 v15, v17, v15, s0 :: v_dual_cndmask_b32 v14, v16, v14, s0
	s_delay_alu instid0(VALU_DEP_1)
	v_mul_f64_e32 v[12:13], v[12:13], v[14:15]
	s_branch .LBB113_2
.LBB113_29:
	s_endpgm
	.section	.rodata,"a",@progbits
	.p2align	6, 0x0
	.amdhsa_kernel _ZL40rocblas_trsm_block_backward_substitutionIddPKdPdLb0ELb0ELb0EEv18rocblas_operation_llT0_T1_lllT2_lllib
		.amdhsa_group_segment_fixed_size 0
		.amdhsa_private_segment_fixed_size 0
		.amdhsa_kernarg_size 360
		.amdhsa_user_sgpr_count 2
		.amdhsa_user_sgpr_dispatch_ptr 0
		.amdhsa_user_sgpr_queue_ptr 0
		.amdhsa_user_sgpr_kernarg_segment_ptr 1
		.amdhsa_user_sgpr_dispatch_id 0
		.amdhsa_user_sgpr_kernarg_preload_length 0
		.amdhsa_user_sgpr_kernarg_preload_offset 0
		.amdhsa_user_sgpr_private_segment_size 0
		.amdhsa_wavefront_size32 1
		.amdhsa_uses_dynamic_stack 0
		.amdhsa_enable_private_segment 0
		.amdhsa_system_sgpr_workgroup_id_x 1
		.amdhsa_system_sgpr_workgroup_id_y 1
		.amdhsa_system_sgpr_workgroup_id_z 1
		.amdhsa_system_sgpr_workgroup_info 0
		.amdhsa_system_vgpr_workitem_id 1
		.amdhsa_next_free_vgpr 30
		.amdhsa_next_free_sgpr 46
		.amdhsa_named_barrier_count 0
		.amdhsa_reserve_vcc 1
		.amdhsa_float_round_mode_32 0
		.amdhsa_float_round_mode_16_64 0
		.amdhsa_float_denorm_mode_32 3
		.amdhsa_float_denorm_mode_16_64 3
		.amdhsa_fp16_overflow 0
		.amdhsa_memory_ordered 1
		.amdhsa_forward_progress 1
		.amdhsa_inst_pref_size 12
		.amdhsa_round_robin_scheduling 0
		.amdhsa_exception_fp_ieee_invalid_op 0
		.amdhsa_exception_fp_denorm_src 0
		.amdhsa_exception_fp_ieee_div_zero 0
		.amdhsa_exception_fp_ieee_overflow 0
		.amdhsa_exception_fp_ieee_underflow 0
		.amdhsa_exception_fp_ieee_inexact 0
		.amdhsa_exception_int_div_zero 0
	.end_amdhsa_kernel
	.section	.text._ZL40rocblas_trsm_block_backward_substitutionIddPKdPdLb0ELb0ELb0EEv18rocblas_operation_llT0_T1_lllT2_lllib,"axG",@progbits,_ZL40rocblas_trsm_block_backward_substitutionIddPKdPdLb0ELb0ELb0EEv18rocblas_operation_llT0_T1_lllT2_lllib,comdat
.Lfunc_end113:
	.size	_ZL40rocblas_trsm_block_backward_substitutionIddPKdPdLb0ELb0ELb0EEv18rocblas_operation_llT0_T1_lllT2_lllib, .Lfunc_end113-_ZL40rocblas_trsm_block_backward_substitutionIddPKdPdLb0ELb0ELb0EEv18rocblas_operation_llT0_T1_lllT2_lllib
                                        ; -- End function
	.set _ZL40rocblas_trsm_block_backward_substitutionIddPKdPdLb0ELb0ELb0EEv18rocblas_operation_llT0_T1_lllT2_lllib.num_vgpr, 30
	.set _ZL40rocblas_trsm_block_backward_substitutionIddPKdPdLb0ELb0ELb0EEv18rocblas_operation_llT0_T1_lllT2_lllib.num_agpr, 0
	.set _ZL40rocblas_trsm_block_backward_substitutionIddPKdPdLb0ELb0ELb0EEv18rocblas_operation_llT0_T1_lllT2_lllib.numbered_sgpr, 46
	.set _ZL40rocblas_trsm_block_backward_substitutionIddPKdPdLb0ELb0ELb0EEv18rocblas_operation_llT0_T1_lllT2_lllib.num_named_barrier, 0
	.set _ZL40rocblas_trsm_block_backward_substitutionIddPKdPdLb0ELb0ELb0EEv18rocblas_operation_llT0_T1_lllT2_lllib.private_seg_size, 0
	.set _ZL40rocblas_trsm_block_backward_substitutionIddPKdPdLb0ELb0ELb0EEv18rocblas_operation_llT0_T1_lllT2_lllib.uses_vcc, 1
	.set _ZL40rocblas_trsm_block_backward_substitutionIddPKdPdLb0ELb0ELb0EEv18rocblas_operation_llT0_T1_lllT2_lllib.uses_flat_scratch, 0
	.set _ZL40rocblas_trsm_block_backward_substitutionIddPKdPdLb0ELb0ELb0EEv18rocblas_operation_llT0_T1_lllT2_lllib.has_dyn_sized_stack, 0
	.set _ZL40rocblas_trsm_block_backward_substitutionIddPKdPdLb0ELb0ELb0EEv18rocblas_operation_llT0_T1_lllT2_lllib.has_recursion, 0
	.set _ZL40rocblas_trsm_block_backward_substitutionIddPKdPdLb0ELb0ELb0EEv18rocblas_operation_llT0_T1_lllT2_lllib.has_indirect_call, 0
	.section	.AMDGPU.csdata,"",@progbits
; Kernel info:
; codeLenInByte = 1528
; TotalNumSgprs: 48
; NumVgprs: 30
; ScratchSize: 0
; MemoryBound: 1
; FloatMode: 240
; IeeeMode: 1
; LDSByteSize: 0 bytes/workgroup (compile time only)
; SGPRBlocks: 0
; VGPRBlocks: 1
; NumSGPRsForWavesPerEU: 48
; NumVGPRsForWavesPerEU: 30
; NamedBarCnt: 0
; Occupancy: 16
; WaveLimiterHint : 0
; COMPUTE_PGM_RSRC2:SCRATCH_EN: 0
; COMPUTE_PGM_RSRC2:USER_SGPR: 2
; COMPUTE_PGM_RSRC2:TRAP_HANDLER: 0
; COMPUTE_PGM_RSRC2:TGID_X_EN: 1
; COMPUTE_PGM_RSRC2:TGID_Y_EN: 1
; COMPUTE_PGM_RSRC2:TGID_Z_EN: 1
; COMPUTE_PGM_RSRC2:TIDIG_COMP_CNT: 1
	.section	.text._ZL39rocblas_trsm_block_forward_substitutionIddPKdPdLb0ELb0ELb1EEv18rocblas_operation_llT0_T1_lllT2_lllib,"axG",@progbits,_ZL39rocblas_trsm_block_forward_substitutionIddPKdPdLb0ELb0ELb1EEv18rocblas_operation_llT0_T1_lllT2_lllib,comdat
	.globl	_ZL39rocblas_trsm_block_forward_substitutionIddPKdPdLb0ELb0ELb1EEv18rocblas_operation_llT0_T1_lllT2_lllib ; -- Begin function _ZL39rocblas_trsm_block_forward_substitutionIddPKdPdLb0ELb0ELb1EEv18rocblas_operation_llT0_T1_lllT2_lllib
	.p2align	8
	.type	_ZL39rocblas_trsm_block_forward_substitutionIddPKdPdLb0ELb0ELb1EEv18rocblas_operation_llT0_T1_lllT2_lllib,@function
_ZL39rocblas_trsm_block_forward_substitutionIddPKdPdLb0ELb0ELb1EEv18rocblas_operation_llT0_T1_lllT2_lllib: ; @_ZL39rocblas_trsm_block_forward_substitutionIddPKdPdLb0ELb0ELb1EEv18rocblas_operation_llT0_T1_lllT2_lllib
; %bb.0:
	s_load_b64 s[2:3], s[0:1], 0x60
	s_bfe_u32 s4, ttmp6, 0x40014
	s_lshr_b32 s5, ttmp7, 16
	s_add_co_i32 s4, s4, 1
	s_bfe_u32 s6, ttmp6, 0x40008
	s_mul_i32 s4, s5, s4
	s_getreg_b32 s22, hwreg(HW_REG_IB_STS2, 6, 4)
	s_add_co_i32 s6, s6, s4
	s_cmp_eq_u32 s22, 0
	s_mov_b32 s21, 0
	s_cselect_b32 s20, s5, s6
	s_wait_kmcnt 0x0
	s_cmp_ge_u32 s20, s2
	s_cbranch_scc1 .LBB114_19
; %bb.1:
	s_clause 0x2
	s_load_b512 s[4:19], s[0:1], 0x8
	s_load_b128 s[24:27], s[0:1], 0x48
	s_load_u16 s28, s[0:1], 0x76
	s_bitcmp1_b32 s3, 0
	s_mov_b64 s[30:31], src_shared_base
	s_cselect_b32 s3, -1, 0
	s_bfe_u32 s23, ttmp6, 0x40010
	s_and_b32 s29, ttmp7, 0xffff
	s_add_co_i32 s23, s23, 1
	s_bfe_u32 s30, ttmp6, 0x40004
	s_mul_i32 s23, s29, s23
	v_bfe_u32 v12, v0, 10, 10
	s_add_co_i32 s30, s30, s23
	v_and_b32_e32 v0, 0x3ff, v0
	v_mov_b32_e32 v3, 0
	s_delay_alu instid0(VALU_DEP_3)
	v_lshl_add_u32 v13, v12, 3, 0
	s_wait_kmcnt 0x0
	s_lshl_b64 s[34:35], s[12:13], 3
	s_lshl_b64 s[24:25], s[24:25], 3
	s_cmp_eq_u32 s22, 0
	s_add_nc_u64 s[18:19], s[18:19], s[24:25]
	s_cselect_b32 s12, s29, s30
	s_add_nc_u64 s[22:23], s[0:1], 0x68
	v_mad_u32 v2, s12, s28, v12
	s_load_b64 s[12:13], s[0:1], 0x58
	s_lshl_b32 s24, s28, 3
	s_wait_xcnt 0x0
	v_cmp_gt_i64_e64 s1, s[4:5], 0
	v_cmp_gt_i64_e64 s29, s[4:5], 1
	s_add_nc_u64 s[10:11], s[10:11], s[34:35]
	v_mul_u64_e32 v[4:5], s[26:27], v[2:3]
	v_cmp_gt_i64_e32 vcc_lo, s[6:7], v[2:3]
	v_dual_mov_b32 v1, v3 :: v_dual_lshlrev_b32 v2, 3, v0
	s_add_co_i32 s6, s24, 0
	s_mov_b32 s7, s31
	v_lshl_add_u32 v14, v0, 3, s6
	s_delay_alu instid0(VALU_DEP_2) | instskip(SKIP_3) | instid1(VALU_DEP_1)
	v_cmp_gt_i64_e64 s0, s[4:5], v[0:1]
	s_and_b32 s30, vcc_lo, s0
	v_lshl_add_u64 v[4:5], v[4:5], 3, s[18:19]
	s_add_nc_u64 s[18:19], s[4:5], -1
	v_lshl_add_u64 v[4:5], v[0:1], 3, v[4:5]
	s_branch .LBB114_4
.LBB114_2:                              ;   in Loop: Header=BB114_4 Depth=1
	global_store_b64 v[6:7], v[8:9], off
.LBB114_3:                              ;   in Loop: Header=BB114_4 Depth=1
	s_wait_xcnt 0x0
	s_or_b32 exec_lo, exec_lo, s31
	s_add_co_i32 s20, s20, 0x10000
	s_delay_alu instid0(SALU_CYCLE_1)
	s_cmp_lt_u32 s20, s2
	s_cbranch_scc0 .LBB114_19
.LBB114_4:                              ; =>This Loop Header: Depth=1
                                        ;     Child Loop BB114_9 Depth 2
                                        ;     Child Loop BB114_15 Depth 2
	s_mul_u64 s[24:25], s[16:17], s[20:21]
	s_and_not1_b32 vcc_lo, exec_lo, s3
	s_lshl_b64 s[24:25], s[24:25], 3
	s_delay_alu instid0(SALU_CYCLE_1)
	s_add_nc_u64 s[24:25], s[10:11], s[24:25]
	s_cbranch_vccz .LBB114_6
; %bb.5:                                ;   in Loop: Header=BB114_4 Depth=1
	s_and_saveexec_b32 s31, s30
	s_cbranch_execz .LBB114_3
	s_branch .LBB114_12
.LBB114_6:                              ;   in Loop: Header=BB114_4 Depth=1
	s_and_not1_b32 vcc_lo, exec_lo, s1
	s_cbranch_vccnz .LBB114_11
; %bb.7:                                ;   in Loop: Header=BB114_4 Depth=1
	v_add_nc_u64_e32 v[6:7], s[24:25], v[2:3]
	s_mov_b32 s24, 0
	s_branch .LBB114_9
.LBB114_8:                              ;   in Loop: Header=BB114_9 Depth=2
	s_wait_xcnt 0x0
	s_or_b32 exec_lo, exec_lo, s25
	s_add_co_i32 s24, s24, s28
	s_delay_alu instid0(SALU_CYCLE_1) | instskip(NEXT) | instid1(SALU_CYCLE_1)
	s_ashr_i32 s25, s24, 31
	v_cmp_le_i64_e64 s25, s[4:5], s[24:25]
	s_and_b32 vcc_lo, exec_lo, s25
	s_cbranch_vccnz .LBB114_11
.LBB114_9:                              ;   Parent Loop BB114_4 Depth=1
                                        ; =>  This Inner Loop Header: Depth=2
	v_add_nc_u32_e32 v8, s24, v12
	s_delay_alu instid0(VALU_DEP_1) | instskip(SKIP_1) | instid1(SALU_CYCLE_1)
	v_cmp_gt_i32_e32 vcc_lo, v0, v8
	s_and_b32 s26, s0, vcc_lo
	s_and_saveexec_b32 s25, s26
	s_cbranch_execz .LBB114_8
; %bb.10:                               ;   in Loop: Header=BB114_9 Depth=2
	v_ashrrev_i32_e32 v9, 31, v8
	s_load_b32 s26, s[22:23], 0xc
	s_delay_alu instid0(VALU_DEP_1) | instskip(SKIP_2) | instid1(SALU_CYCLE_1)
	v_mul_u64_e32 v[10:11], s[14:15], v[8:9]
	s_wait_kmcnt 0x0
	s_and_b32 s26, s26, 0xffff
	v_mul_lo_u32 v8, v8, s26
	s_delay_alu instid0(VALU_DEP_1) | instskip(NEXT) | instid1(VALU_DEP_3)
	v_lshl_add_u32 v8, v8, 3, v14
	v_lshl_add_u64 v[10:11], v[10:11], 3, v[6:7]
	global_load_b64 v[10:11], v[10:11], off
	s_wait_loadcnt 0x0
	ds_store_b64 v8, v[10:11]
	s_branch .LBB114_8
.LBB114_11:                             ;   in Loop: Header=BB114_4 Depth=1
	s_load_b32 s14, s[22:23], 0xc
	s_mov_b32 s15, s21
	s_mov_b64 s[24:25], s[6:7]
	s_wait_kmcnt 0x0
	s_and_b32 s14, s14, 0xffff
	s_and_saveexec_b32 s31, s30
	s_cbranch_execz .LBB114_3
.LBB114_12:                             ;   in Loop: Header=BB114_4 Depth=1
	s_wait_kmcnt 0x0
	s_mul_u64 s[26:27], s[12:13], s[20:21]
	s_and_not1_b32 vcc_lo, exec_lo, s29
	v_lshl_add_u64 v[6:7], s[26:27], 3, v[4:5]
	global_load_b64 v[8:9], v[6:7], off
	s_wait_loadcnt 0x0
	v_mul_f64_e32 v[8:9], s[8:9], v[8:9]
	s_cbranch_vccnz .LBB114_2
; %bb.13:                               ;   in Loop: Header=BB114_4 Depth=1
	v_add_nc_u64_e32 v[10:11], s[24:25], v[2:3]
	s_lshl_b64 s[24:25], s[14:15], 3
	s_mov_b64 s[26:27], 0
	s_branch .LBB114_15
.LBB114_14:                             ;   in Loop: Header=BB114_15 Depth=2
	s_wait_xcnt 0x0
	s_or_b32 exec_lo, exec_lo, s33
	v_add_nc_u64_e32 v[10:11], s[24:25], v[10:11]
	s_add_nc_u64 s[26:27], s[26:27], 1
	s_delay_alu instid0(SALU_CYCLE_1)
	s_cmp_eq_u64 s[18:19], s[26:27]
	s_cbranch_scc1 .LBB114_2
.LBB114_15:                             ;   Parent Loop BB114_4 Depth=1
                                        ; =>  This Inner Loop Header: Depth=2
	s_mov_b32 s33, exec_lo
	s_wait_dscnt 0x0
	s_barrier_signal -1
	s_barrier_wait -1
	s_wait_xcnt 0x0
	v_cmpx_eq_u64_e64 s[26:27], v[0:1]
; %bb.16:                               ;   in Loop: Header=BB114_15 Depth=2
	ds_store_b64 v13, v[8:9]
; %bb.17:                               ;   in Loop: Header=BB114_15 Depth=2
	s_or_b32 exec_lo, exec_lo, s33
	s_delay_alu instid0(SALU_CYCLE_1)
	s_mov_b32 s33, exec_lo
	s_wait_dscnt 0x0
	s_barrier_signal -1
	s_barrier_wait -1
	v_cmpx_lt_u64_e64 s[26:27], v[0:1]
	s_cbranch_execz .LBB114_14
; %bb.18:                               ;   in Loop: Header=BB114_15 Depth=2
	flat_load_b64 v[16:17], v[10:11]
	ds_load_b64 v[18:19], v13
	s_wait_loadcnt_dscnt 0x0
	v_fma_f64 v[8:9], -v[16:17], v[18:19], v[8:9]
	s_branch .LBB114_14
.LBB114_19:
	s_endpgm
	.section	.rodata,"a",@progbits
	.p2align	6, 0x0
	.amdhsa_kernel _ZL39rocblas_trsm_block_forward_substitutionIddPKdPdLb0ELb0ELb1EEv18rocblas_operation_llT0_T1_lllT2_lllib
		.amdhsa_group_segment_fixed_size 0
		.amdhsa_private_segment_fixed_size 0
		.amdhsa_kernarg_size 360
		.amdhsa_user_sgpr_count 2
		.amdhsa_user_sgpr_dispatch_ptr 0
		.amdhsa_user_sgpr_queue_ptr 0
		.amdhsa_user_sgpr_kernarg_segment_ptr 1
		.amdhsa_user_sgpr_dispatch_id 0
		.amdhsa_user_sgpr_kernarg_preload_length 0
		.amdhsa_user_sgpr_kernarg_preload_offset 0
		.amdhsa_user_sgpr_private_segment_size 0
		.amdhsa_wavefront_size32 1
		.amdhsa_uses_dynamic_stack 0
		.amdhsa_enable_private_segment 0
		.amdhsa_system_sgpr_workgroup_id_x 1
		.amdhsa_system_sgpr_workgroup_id_y 1
		.amdhsa_system_sgpr_workgroup_id_z 1
		.amdhsa_system_sgpr_workgroup_info 0
		.amdhsa_system_vgpr_workitem_id 1
		.amdhsa_next_free_vgpr 20
		.amdhsa_next_free_sgpr 36
		.amdhsa_named_barrier_count 0
		.amdhsa_reserve_vcc 1
		.amdhsa_float_round_mode_32 0
		.amdhsa_float_round_mode_16_64 0
		.amdhsa_float_denorm_mode_32 3
		.amdhsa_float_denorm_mode_16_64 3
		.amdhsa_fp16_overflow 0
		.amdhsa_memory_ordered 1
		.amdhsa_forward_progress 1
		.amdhsa_inst_pref_size 7
		.amdhsa_round_robin_scheduling 0
		.amdhsa_exception_fp_ieee_invalid_op 0
		.amdhsa_exception_fp_denorm_src 0
		.amdhsa_exception_fp_ieee_div_zero 0
		.amdhsa_exception_fp_ieee_overflow 0
		.amdhsa_exception_fp_ieee_underflow 0
		.amdhsa_exception_fp_ieee_inexact 0
		.amdhsa_exception_int_div_zero 0
	.end_amdhsa_kernel
	.section	.text._ZL39rocblas_trsm_block_forward_substitutionIddPKdPdLb0ELb0ELb1EEv18rocblas_operation_llT0_T1_lllT2_lllib,"axG",@progbits,_ZL39rocblas_trsm_block_forward_substitutionIddPKdPdLb0ELb0ELb1EEv18rocblas_operation_llT0_T1_lllT2_lllib,comdat
.Lfunc_end114:
	.size	_ZL39rocblas_trsm_block_forward_substitutionIddPKdPdLb0ELb0ELb1EEv18rocblas_operation_llT0_T1_lllT2_lllib, .Lfunc_end114-_ZL39rocblas_trsm_block_forward_substitutionIddPKdPdLb0ELb0ELb1EEv18rocblas_operation_llT0_T1_lllT2_lllib
                                        ; -- End function
	.set _ZL39rocblas_trsm_block_forward_substitutionIddPKdPdLb0ELb0ELb1EEv18rocblas_operation_llT0_T1_lllT2_lllib.num_vgpr, 20
	.set _ZL39rocblas_trsm_block_forward_substitutionIddPKdPdLb0ELb0ELb1EEv18rocblas_operation_llT0_T1_lllT2_lllib.num_agpr, 0
	.set _ZL39rocblas_trsm_block_forward_substitutionIddPKdPdLb0ELb0ELb1EEv18rocblas_operation_llT0_T1_lllT2_lllib.numbered_sgpr, 36
	.set _ZL39rocblas_trsm_block_forward_substitutionIddPKdPdLb0ELb0ELb1EEv18rocblas_operation_llT0_T1_lllT2_lllib.num_named_barrier, 0
	.set _ZL39rocblas_trsm_block_forward_substitutionIddPKdPdLb0ELb0ELb1EEv18rocblas_operation_llT0_T1_lllT2_lllib.private_seg_size, 0
	.set _ZL39rocblas_trsm_block_forward_substitutionIddPKdPdLb0ELb0ELb1EEv18rocblas_operation_llT0_T1_lllT2_lllib.uses_vcc, 1
	.set _ZL39rocblas_trsm_block_forward_substitutionIddPKdPdLb0ELb0ELb1EEv18rocblas_operation_llT0_T1_lllT2_lllib.uses_flat_scratch, 0
	.set _ZL39rocblas_trsm_block_forward_substitutionIddPKdPdLb0ELb0ELb1EEv18rocblas_operation_llT0_T1_lllT2_lllib.has_dyn_sized_stack, 0
	.set _ZL39rocblas_trsm_block_forward_substitutionIddPKdPdLb0ELb0ELb1EEv18rocblas_operation_llT0_T1_lllT2_lllib.has_recursion, 0
	.set _ZL39rocblas_trsm_block_forward_substitutionIddPKdPdLb0ELb0ELb1EEv18rocblas_operation_llT0_T1_lllT2_lllib.has_indirect_call, 0
	.section	.AMDGPU.csdata,"",@progbits
; Kernel info:
; codeLenInByte = 804
; TotalNumSgprs: 38
; NumVgprs: 20
; ScratchSize: 0
; MemoryBound: 0
; FloatMode: 240
; IeeeMode: 1
; LDSByteSize: 0 bytes/workgroup (compile time only)
; SGPRBlocks: 0
; VGPRBlocks: 1
; NumSGPRsForWavesPerEU: 38
; NumVGPRsForWavesPerEU: 20
; NamedBarCnt: 0
; Occupancy: 16
; WaveLimiterHint : 0
; COMPUTE_PGM_RSRC2:SCRATCH_EN: 0
; COMPUTE_PGM_RSRC2:USER_SGPR: 2
; COMPUTE_PGM_RSRC2:TRAP_HANDLER: 0
; COMPUTE_PGM_RSRC2:TGID_X_EN: 1
; COMPUTE_PGM_RSRC2:TGID_Y_EN: 1
; COMPUTE_PGM_RSRC2:TGID_Z_EN: 1
; COMPUTE_PGM_RSRC2:TIDIG_COMP_CNT: 1
	.section	.text._ZL40rocblas_trsm_block_backward_substitutionIddPKdPdLb0ELb0ELb1EEv18rocblas_operation_llT0_T1_lllT2_lllib,"axG",@progbits,_ZL40rocblas_trsm_block_backward_substitutionIddPKdPdLb0ELb0ELb1EEv18rocblas_operation_llT0_T1_lllT2_lllib,comdat
	.globl	_ZL40rocblas_trsm_block_backward_substitutionIddPKdPdLb0ELb0ELb1EEv18rocblas_operation_llT0_T1_lllT2_lllib ; -- Begin function _ZL40rocblas_trsm_block_backward_substitutionIddPKdPdLb0ELb0ELb1EEv18rocblas_operation_llT0_T1_lllT2_lllib
	.p2align	8
	.type	_ZL40rocblas_trsm_block_backward_substitutionIddPKdPdLb0ELb0ELb1EEv18rocblas_operation_llT0_T1_lllT2_lllib,@function
_ZL40rocblas_trsm_block_backward_substitutionIddPKdPdLb0ELb0ELb1EEv18rocblas_operation_llT0_T1_lllT2_lllib: ; @_ZL40rocblas_trsm_block_backward_substitutionIddPKdPdLb0ELb0ELb1EEv18rocblas_operation_llT0_T1_lllT2_lllib
; %bb.0:
	s_load_b64 s[2:3], s[0:1], 0x60
	s_bfe_u32 s4, ttmp6, 0x40014
	s_lshr_b32 s5, ttmp7, 16
	s_add_co_i32 s4, s4, 1
	s_bfe_u32 s6, ttmp6, 0x40008
	s_mul_i32 s4, s5, s4
	s_getreg_b32 s26, hwreg(HW_REG_IB_STS2, 6, 4)
	s_add_co_i32 s6, s6, s4
	s_cmp_eq_u32 s26, 0
	s_mov_b32 s25, 0
	s_cselect_b32 s24, s5, s6
	s_wait_kmcnt 0x0
	s_cmp_ge_u32 s24, s2
	s_cbranch_scc1 .LBB115_19
; %bb.1:
	s_clause 0x2
	s_load_b128 s[20:23], s[0:1], 0x48
	s_load_u16 s33, s[0:1], 0x76
	s_load_b512 s[4:19], s[0:1], 0x8
	v_and_b32_e32 v2, 0x3ff, v0
	v_mov_b32_e32 v7, 0
	s_bitcmp1_b32 s3, 0
	v_bfe_u32 v1, v0, 10, 10
	s_cselect_b32 s3, -1, 0
	s_delay_alu instid0(VALU_DEP_2)
	v_dual_mov_b32 v3, v7 :: v_dual_lshlrev_b32 v0, 3, v2
	s_bfe_u32 s27, ttmp6, 0x40010
	s_mov_b64 s[28:29], src_shared_base
	s_and_b32 s28, ttmp7, 0xffff
	s_add_co_i32 s27, s27, 1
	s_bfe_u32 s30, ttmp6, 0x40004
	s_mul_i32 s27, s28, s27
	v_lshl_add_u32 v14, v1, 3, 0
	s_add_co_i32 s27, s30, s27
	s_wait_kmcnt 0x0
	v_mul_u64_e32 v[8:9], s[22:23], v[2:3]
	s_lshl_b64 s[36:37], s[20:21], 3
	s_lshl_b64 s[30:31], s[12:13], 3
	s_cmp_eq_u32 s26, 0
	s_load_b64 s[22:23], s[0:1], 0x58
	s_add_nc_u64 s[12:13], s[0:1], 0x68
	s_wait_xcnt 0x0
	s_cselect_b32 s0, s28, s27
	s_lshl_b32 s1, s33, 3
	v_mad_u32 v6, s0, s33, v1
	s_add_co_i32 s20, s1, 0
	s_add_nc_u64 s[18:19], s[18:19], s[36:37]
	v_add_nc_u32_e32 v15, s20, v0
	v_mul_u64_e32 v[4:5], s[14:15], v[2:3]
	v_cmp_gt_i64_e64 s0, s[4:5], v[2:3]
	v_cmp_gt_i64_e64 s34, s[4:5], 0
	;; [unrolled: 1-line block ×3, first 2 shown]
	s_mov_b32 s21, s29
	v_cmp_gt_i64_e32 vcc_lo, s[6:7], v[6:7]
	s_add_nc_u64 s[6:7], s[10:11], s[30:31]
	s_add_nc_u64 s[10:11], s[4:5], -1
	s_and_b32 s36, vcc_lo, s0
	v_lshl_add_u64 v[8:9], v[8:9], 3, s[18:19]
	s_lshl_b64 s[18:19], s[10:11], 3
	s_delay_alu instid0(VALU_DEP_1)
	v_lshl_add_u64 v[6:7], v[6:7], 3, v[8:9]
	s_branch .LBB115_4
.LBB115_2:                              ;   in Loop: Header=BB115_4 Depth=1
	global_store_b64 v[8:9], v[10:11], off
.LBB115_3:                              ;   in Loop: Header=BB115_4 Depth=1
	s_wait_xcnt 0x0
	s_or_b32 exec_lo, exec_lo, s1
	s_add_co_i32 s24, s24, 0x10000
	s_delay_alu instid0(SALU_CYCLE_1)
	s_cmp_lt_u32 s24, s2
	s_cbranch_scc0 .LBB115_19
.LBB115_4:                              ; =>This Loop Header: Depth=1
                                        ;     Child Loop BB115_8 Depth 2
                                        ;     Child Loop BB115_15 Depth 2
	s_mul_u64 s[26:27], s[16:17], s[24:25]
	s_and_not1_b32 vcc_lo, exec_lo, s3
	s_lshl_b64 s[26:27], s[26:27], 3
	s_delay_alu instid0(SALU_CYCLE_1)
	s_add_nc_u64 s[28:29], s[6:7], s[26:27]
	s_cbranch_vccnz .LBB115_10
; %bb.5:                                ;   in Loop: Header=BB115_4 Depth=1
	s_and_not1_b32 vcc_lo, exec_lo, s34
	s_cbranch_vccnz .LBB115_11
; %bb.6:                                ;   in Loop: Header=BB115_4 Depth=1
	v_lshl_add_u64 v[8:9], v[4:5], 3, s[28:29]
	s_mov_b32 s26, 0
	s_branch .LBB115_8
.LBB115_7:                              ;   in Loop: Header=BB115_8 Depth=2
	s_wait_xcnt 0x0
	s_or_b32 exec_lo, exec_lo, s1
	s_add_co_i32 s26, s26, s33
	s_delay_alu instid0(SALU_CYCLE_1) | instskip(NEXT) | instid1(SALU_CYCLE_1)
	s_ashr_i32 s27, s26, 31
	v_cmp_le_i64_e64 s1, s[4:5], s[26:27]
	s_and_b32 vcc_lo, exec_lo, s1
	s_cbranch_vccnz .LBB115_11
.LBB115_8:                              ;   Parent Loop BB115_4 Depth=1
                                        ; =>  This Inner Loop Header: Depth=2
	v_add_nc_u32_e32 v10, s26, v1
	s_delay_alu instid0(VALU_DEP_1) | instskip(SKIP_1) | instid1(VALU_DEP_2)
	v_ashrrev_i32_e32 v11, 31, v10
	v_cmp_lt_i32_e64 s1, v2, v10
	v_cmp_gt_i64_e32 vcc_lo, s[4:5], v[10:11]
	s_and_b32 s1, s1, vcc_lo
	s_delay_alu instid0(SALU_CYCLE_1) | instskip(NEXT) | instid1(SALU_CYCLE_1)
	s_and_b32 s27, s0, s1
	s_and_saveexec_b32 s1, s27
	s_cbranch_execz .LBB115_7
; %bb.9:                                ;   in Loop: Header=BB115_8 Depth=2
	v_lshl_add_u64 v[12:13], v[10:11], 3, v[8:9]
	s_load_b32 s27, s[12:13], 0xc
	global_load_b64 v[12:13], v[12:13], off
	s_wait_kmcnt 0x0
	s_and_b32 s27, s27, 0xffff
	s_delay_alu instid0(SALU_CYCLE_1) | instskip(NEXT) | instid1(VALU_DEP_1)
	v_mul_lo_u32 v10, v10, s27
	v_lshl_add_u32 v10, v10, 3, v15
	s_wait_loadcnt 0x0
	ds_store_b64 v10, v[12:13]
	s_branch .LBB115_7
.LBB115_10:                             ;   in Loop: Header=BB115_4 Depth=1
	s_mov_b64 s[26:27], 1
	s_mov_b64 s[30:31], s[14:15]
	s_and_saveexec_b32 s1, s36
	s_cbranch_execz .LBB115_3
	s_branch .LBB115_12
.LBB115_11:                             ;   in Loop: Header=BB115_4 Depth=1
	s_load_b32 s1, s[12:13], 0xc
	s_mov_b32 s27, s25
	s_mov_b64 s[30:31], 1
	s_mov_b64 s[28:29], s[20:21]
	s_wait_kmcnt 0x0
	s_and_b32 s26, s1, 0xffff
	s_and_saveexec_b32 s1, s36
	s_cbranch_execz .LBB115_3
.LBB115_12:                             ;   in Loop: Header=BB115_4 Depth=1
	s_wait_kmcnt 0x0
	s_mul_u64 s[38:39], s[22:23], s[24:25]
	s_and_not1_b32 vcc_lo, exec_lo, s35
	v_lshl_add_u64 v[8:9], s[38:39], 3, v[6:7]
	global_load_b64 v[10:11], v[8:9], off
	s_wait_loadcnt 0x0
	v_mul_f64_e32 v[10:11], s[8:9], v[10:11]
	s_cbranch_vccnz .LBB115_2
; %bb.13:                               ;   in Loop: Header=BB115_4 Depth=1
	s_mul_u64 s[38:39], s[18:19], s[26:27]
	s_lshl_b32 s26, s26, 3
	s_add_nc_u64 s[28:29], s[28:29], s[38:39]
	s_mov_b32 s27, s25
	v_mad_nc_u64_u32 v[12:13], v0, s30, s[28:29]
	s_sub_nc_u64 s[26:27], 0, s[26:27]
	s_mov_b64 s[28:29], s[10:11]
	s_delay_alu instid0(VALU_DEP_1)
	v_mad_u32 v13, v0, s31, v13
	s_branch .LBB115_15
.LBB115_14:                             ;   in Loop: Header=BB115_15 Depth=2
	s_wait_xcnt 0x0
	s_or_b32 exec_lo, exec_lo, s30
	s_add_nc_u64 s[30:31], s[28:29], 1
	v_add_nc_u64_e32 v[12:13], s[26:27], v[12:13]
	v_cmp_lt_u64_e64 s30, s[30:31], 3
	s_add_nc_u64 s[28:29], s[28:29], -1
	s_and_b32 vcc_lo, exec_lo, s30
	s_cbranch_vccnz .LBB115_2
.LBB115_15:                             ;   Parent Loop BB115_4 Depth=1
                                        ; =>  This Inner Loop Header: Depth=2
	s_mov_b32 s30, exec_lo
	s_wait_dscnt 0x0
	s_barrier_signal -1
	s_barrier_wait -1
	s_wait_xcnt 0x0
	v_cmpx_eq_u64_e64 s[28:29], v[2:3]
; %bb.16:                               ;   in Loop: Header=BB115_15 Depth=2
	ds_store_b64 v14, v[10:11]
; %bb.17:                               ;   in Loop: Header=BB115_15 Depth=2
	s_or_b32 exec_lo, exec_lo, s30
	s_delay_alu instid0(SALU_CYCLE_1)
	s_mov_b32 s30, exec_lo
	s_wait_dscnt 0x0
	s_barrier_signal -1
	s_barrier_wait -1
	v_cmpx_gt_i64_e64 s[28:29], v[2:3]
	s_cbranch_execz .LBB115_14
; %bb.18:                               ;   in Loop: Header=BB115_15 Depth=2
	flat_load_b64 v[16:17], v[12:13]
	ds_load_b64 v[18:19], v14
	s_wait_loadcnt_dscnt 0x0
	v_fma_f64 v[10:11], -v[16:17], v[18:19], v[10:11]
	s_branch .LBB115_14
.LBB115_19:
	s_endpgm
	.section	.rodata,"a",@progbits
	.p2align	6, 0x0
	.amdhsa_kernel _ZL40rocblas_trsm_block_backward_substitutionIddPKdPdLb0ELb0ELb1EEv18rocblas_operation_llT0_T1_lllT2_lllib
		.amdhsa_group_segment_fixed_size 0
		.amdhsa_private_segment_fixed_size 0
		.amdhsa_kernarg_size 360
		.amdhsa_user_sgpr_count 2
		.amdhsa_user_sgpr_dispatch_ptr 0
		.amdhsa_user_sgpr_queue_ptr 0
		.amdhsa_user_sgpr_kernarg_segment_ptr 1
		.amdhsa_user_sgpr_dispatch_id 0
		.amdhsa_user_sgpr_kernarg_preload_length 0
		.amdhsa_user_sgpr_kernarg_preload_offset 0
		.amdhsa_user_sgpr_private_segment_size 0
		.amdhsa_wavefront_size32 1
		.amdhsa_uses_dynamic_stack 0
		.amdhsa_enable_private_segment 0
		.amdhsa_system_sgpr_workgroup_id_x 1
		.amdhsa_system_sgpr_workgroup_id_y 1
		.amdhsa_system_sgpr_workgroup_id_z 1
		.amdhsa_system_sgpr_workgroup_info 0
		.amdhsa_system_vgpr_workitem_id 1
		.amdhsa_next_free_vgpr 20
		.amdhsa_next_free_sgpr 40
		.amdhsa_named_barrier_count 0
		.amdhsa_reserve_vcc 1
		.amdhsa_float_round_mode_32 0
		.amdhsa_float_round_mode_16_64 0
		.amdhsa_float_denorm_mode_32 3
		.amdhsa_float_denorm_mode_16_64 3
		.amdhsa_fp16_overflow 0
		.amdhsa_memory_ordered 1
		.amdhsa_forward_progress 1
		.amdhsa_inst_pref_size 7
		.amdhsa_round_robin_scheduling 0
		.amdhsa_exception_fp_ieee_invalid_op 0
		.amdhsa_exception_fp_denorm_src 0
		.amdhsa_exception_fp_ieee_div_zero 0
		.amdhsa_exception_fp_ieee_overflow 0
		.amdhsa_exception_fp_ieee_underflow 0
		.amdhsa_exception_fp_ieee_inexact 0
		.amdhsa_exception_int_div_zero 0
	.end_amdhsa_kernel
	.section	.text._ZL40rocblas_trsm_block_backward_substitutionIddPKdPdLb0ELb0ELb1EEv18rocblas_operation_llT0_T1_lllT2_lllib,"axG",@progbits,_ZL40rocblas_trsm_block_backward_substitutionIddPKdPdLb0ELb0ELb1EEv18rocblas_operation_llT0_T1_lllT2_lllib,comdat
.Lfunc_end115:
	.size	_ZL40rocblas_trsm_block_backward_substitutionIddPKdPdLb0ELb0ELb1EEv18rocblas_operation_llT0_T1_lllT2_lllib, .Lfunc_end115-_ZL40rocblas_trsm_block_backward_substitutionIddPKdPdLb0ELb0ELb1EEv18rocblas_operation_llT0_T1_lllT2_lllib
                                        ; -- End function
	.set _ZL40rocblas_trsm_block_backward_substitutionIddPKdPdLb0ELb0ELb1EEv18rocblas_operation_llT0_T1_lllT2_lllib.num_vgpr, 20
	.set _ZL40rocblas_trsm_block_backward_substitutionIddPKdPdLb0ELb0ELb1EEv18rocblas_operation_llT0_T1_lllT2_lllib.num_agpr, 0
	.set _ZL40rocblas_trsm_block_backward_substitutionIddPKdPdLb0ELb0ELb1EEv18rocblas_operation_llT0_T1_lllT2_lllib.numbered_sgpr, 40
	.set _ZL40rocblas_trsm_block_backward_substitutionIddPKdPdLb0ELb0ELb1EEv18rocblas_operation_llT0_T1_lllT2_lllib.num_named_barrier, 0
	.set _ZL40rocblas_trsm_block_backward_substitutionIddPKdPdLb0ELb0ELb1EEv18rocblas_operation_llT0_T1_lllT2_lllib.private_seg_size, 0
	.set _ZL40rocblas_trsm_block_backward_substitutionIddPKdPdLb0ELb0ELb1EEv18rocblas_operation_llT0_T1_lllT2_lllib.uses_vcc, 1
	.set _ZL40rocblas_trsm_block_backward_substitutionIddPKdPdLb0ELb0ELb1EEv18rocblas_operation_llT0_T1_lllT2_lllib.uses_flat_scratch, 0
	.set _ZL40rocblas_trsm_block_backward_substitutionIddPKdPdLb0ELb0ELb1EEv18rocblas_operation_llT0_T1_lllT2_lllib.has_dyn_sized_stack, 0
	.set _ZL40rocblas_trsm_block_backward_substitutionIddPKdPdLb0ELb0ELb1EEv18rocblas_operation_llT0_T1_lllT2_lllib.has_recursion, 0
	.set _ZL40rocblas_trsm_block_backward_substitutionIddPKdPdLb0ELb0ELb1EEv18rocblas_operation_llT0_T1_lllT2_lllib.has_indirect_call, 0
	.section	.AMDGPU.csdata,"",@progbits
; Kernel info:
; codeLenInByte = 872
; TotalNumSgprs: 42
; NumVgprs: 20
; ScratchSize: 0
; MemoryBound: 0
; FloatMode: 240
; IeeeMode: 1
; LDSByteSize: 0 bytes/workgroup (compile time only)
; SGPRBlocks: 0
; VGPRBlocks: 1
; NumSGPRsForWavesPerEU: 42
; NumVGPRsForWavesPerEU: 20
; NamedBarCnt: 0
; Occupancy: 16
; WaveLimiterHint : 0
; COMPUTE_PGM_RSRC2:SCRATCH_EN: 0
; COMPUTE_PGM_RSRC2:USER_SGPR: 2
; COMPUTE_PGM_RSRC2:TRAP_HANDLER: 0
; COMPUTE_PGM_RSRC2:TGID_X_EN: 1
; COMPUTE_PGM_RSRC2:TGID_Y_EN: 1
; COMPUTE_PGM_RSRC2:TGID_Z_EN: 1
; COMPUTE_PGM_RSRC2:TIDIG_COMP_CNT: 1
	.section	.text._ZL39rocblas_trsm_block_forward_substitutionIddPKdPdLb0ELb1ELb0EEv18rocblas_operation_llT0_T1_lllT2_lllib,"axG",@progbits,_ZL39rocblas_trsm_block_forward_substitutionIddPKdPdLb0ELb1ELb0EEv18rocblas_operation_llT0_T1_lllT2_lllib,comdat
	.globl	_ZL39rocblas_trsm_block_forward_substitutionIddPKdPdLb0ELb1ELb0EEv18rocblas_operation_llT0_T1_lllT2_lllib ; -- Begin function _ZL39rocblas_trsm_block_forward_substitutionIddPKdPdLb0ELb1ELb0EEv18rocblas_operation_llT0_T1_lllT2_lllib
	.p2align	8
	.type	_ZL39rocblas_trsm_block_forward_substitutionIddPKdPdLb0ELb1ELb0EEv18rocblas_operation_llT0_T1_lllT2_lllib,@function
_ZL39rocblas_trsm_block_forward_substitutionIddPKdPdLb0ELb1ELb0EEv18rocblas_operation_llT0_T1_lllT2_lllib: ; @_ZL39rocblas_trsm_block_forward_substitutionIddPKdPdLb0ELb1ELb0EEv18rocblas_operation_llT0_T1_lllT2_lllib
; %bb.0:
	s_load_b64 s[24:25], s[0:1], 0x60
	s_bfe_u32 s2, ttmp6, 0x40014
	s_lshr_b32 s3, ttmp7, 16
	s_add_co_i32 s2, s2, 1
	s_bfe_u32 s5, ttmp6, 0x40008
	s_mul_i32 s4, s3, s2
	s_getreg_b32 s2, hwreg(HW_REG_IB_STS2, 6, 4)
	s_add_co_i32 s5, s5, s4
	s_cmp_eq_u32 s2, 0
	s_mov_b32 s27, 0
	s_cselect_b32 s26, s3, s5
	s_wait_kmcnt 0x0
	s_cmp_ge_u32 s26, s24
	s_cbranch_scc1 .LBB116_27
; %bb.1:
	s_load_b128 s[20:23], s[0:1], 0x48
	v_and_b32_e32 v2, 0x3ff, v0
	v_mov_b32_e32 v1, 0
	s_load_b512 s[4:19], s[0:1], 0x8
	s_mov_b64 s[30:31], src_shared_base
	s_bitcmp1_b32 s25, 0
	s_add_nc_u64 s[28:29], s[0:1], 0x68
	v_mov_b32_e32 v3, v1
	v_bfe_u32 v14, v0, 10, 10
	s_delay_alu instid0(VALU_DEP_1) | instskip(SKIP_1) | instid1(VALU_DEP_3)
	v_lshl_add_u32 v15, v14, 3, 0
	s_wait_kmcnt 0x0
	v_mul_u64_e32 v[4:5], s[22:23], v[2:3]
	s_clause 0x1
	s_load_u16 s30, s[0:1], 0x76
	s_load_b64 s[22:23], s[0:1], 0x58
	s_wait_xcnt 0x0
	s_cselect_b32 s0, -1, 0
	s_bfe_u32 s1, ttmp6, 0x40010
	s_and_b32 s3, ttmp7, 0xffff
	s_add_co_i32 s1, s1, 1
	s_bfe_u32 s25, ttmp6, 0x40004
	s_mul_i32 s1, s3, s1
	s_lshl_b64 s[34:35], s[12:13], 3
	s_add_co_i32 s25, s25, s1
	s_lshl_b64 s[20:21], s[20:21], 3
	s_cmp_eq_u32 s2, 0
	s_add_nc_u64 s[18:19], s[18:19], s[20:21]
	s_cselect_b32 s1, s3, s25
	v_cmp_le_i64_e32 vcc_lo, s[4:5], v[2:3]
	v_cmp_gt_i64_e64 s2, s[4:5], v[2:3]
	s_add_nc_u64 s[12:13], s[4:5], -1
	v_cmp_gt_i64_e64 s25, s[4:5], 0
	v_cmp_gt_i64_e64 s33, s[4:5], 1
	s_add_nc_u64 s[10:11], s[10:11], s[34:35]
	s_wait_kmcnt 0x0
	v_mad_u32 v0, s1, s30, v14
	s_lshl_b32 s1, s30, 3
	s_xor_b32 s34, vcc_lo, -1
	s_delay_alu instid0(VALU_DEP_1)
	v_cmp_gt_i64_e64 s3, s[6:7], v[0:1]
	v_lshl_add_u64 v[4:5], v[4:5], 3, s[18:19]
	s_add_co_i32 s6, s1, 0
	v_cmp_eq_u64_e64 s1, s[12:13], v[2:3]
	v_lshl_add_u32 v16, v2, 3, s6
	s_mov_b32 s7, s31
	v_lshl_add_u64 v[4:5], v[0:1], 3, v[4:5]
	v_lshlrev_b32_e32 v0, 3, v2
	s_and_b32 s31, s3, s2
	s_branch .LBB116_4
.LBB116_2:                              ;   in Loop: Header=BB116_4 Depth=1
	s_or_b32 exec_lo, exec_lo, s18
	global_store_b64 v[6:7], v[8:9], off
.LBB116_3:                              ;   in Loop: Header=BB116_4 Depth=1
	s_wait_xcnt 0x0
	s_or_b32 exec_lo, exec_lo, s35
	s_add_co_i32 s26, s26, 0x10000
	s_delay_alu instid0(SALU_CYCLE_1)
	s_cmp_lt_u32 s26, s24
	s_cbranch_scc0 .LBB116_27
.LBB116_4:                              ; =>This Loop Header: Depth=1
                                        ;     Child Loop BB116_9 Depth 2
                                        ;     Child Loop BB116_21 Depth 2
	s_mul_u64 s[2:3], s[16:17], s[26:27]
	s_and_not1_b32 vcc_lo, exec_lo, s0
	s_lshl_b64 s[2:3], s[2:3], 3
	s_delay_alu instid0(SALU_CYCLE_1)
	s_add_nc_u64 s[2:3], s[10:11], s[2:3]
	s_cbranch_vccz .LBB116_6
; %bb.5:                                ;   in Loop: Header=BB116_4 Depth=1
	s_and_saveexec_b32 s35, s31
	s_cbranch_execz .LBB116_3
	s_branch .LBB116_18
.LBB116_6:                              ;   in Loop: Header=BB116_4 Depth=1
	s_and_not1_b32 vcc_lo, exec_lo, s25
	s_cbranch_vccnz .LBB116_17
; %bb.7:                                ;   in Loop: Header=BB116_4 Depth=1
	v_mul_u64_e32 v[8:9], s[14:15], v[2:3]
	v_add_nc_u64_e32 v[6:7], s[2:3], v[0:1]
	v_mov_b32_e32 v10, v14
	s_mov_b32 s2, s30
	s_delay_alu instid0(VALU_DEP_2)
	v_lshl_add_u64 v[8:9], v[8:9], 3, v[6:7]
	s_branch .LBB116_9
.LBB116_8:                              ;   in Loop: Header=BB116_9 Depth=2
	s_or_b32 exec_lo, exec_lo, s18
	s_ashr_i32 s3, s2, 31
	v_add_nc_u32_e32 v10, s30, v10
	v_cmp_le_i64_e64 s3, s[4:5], s[2:3]
	s_add_co_i32 s2, s2, s30
	s_and_b32 vcc_lo, exec_lo, s3
	s_cbranch_vccnz .LBB116_17
.LBB116_9:                              ;   Parent Loop BB116_4 Depth=1
                                        ; =>  This Inner Loop Header: Depth=2
	s_delay_alu instid0(VALU_DEP_2) | instskip(SKIP_2) | instid1(SALU_CYCLE_1)
	v_cmp_gt_i32_e32 vcc_lo, v2, v10
	s_mov_b32 s3, 0
                                        ; implicit-def: $vgpr12_vgpr13
	s_and_b32 s18, s34, vcc_lo
	s_and_saveexec_b32 s19, s18
	s_delay_alu instid0(SALU_CYCLE_1)
	s_xor_b32 s18, exec_lo, s19
	s_cbranch_execnz .LBB116_12
; %bb.10:                               ;   in Loop: Header=BB116_9 Depth=2
	s_or_saveexec_b32 s18, s18
	v_mov_b32_e32 v11, v10
	s_xor_b32 exec_lo, exec_lo, s18
	s_cbranch_execnz .LBB116_13
.LBB116_11:                             ;   in Loop: Header=BB116_9 Depth=2
	s_or_b32 exec_lo, exec_lo, s18
	s_and_saveexec_b32 s18, s3
	s_cbranch_execz .LBB116_8
	s_branch .LBB116_16
.LBB116_12:                             ;   in Loop: Header=BB116_9 Depth=2
	v_ashrrev_i32_e32 v11, 31, v10
	s_mov_b32 s3, exec_lo
	s_wait_loadcnt 0x0
	s_delay_alu instid0(VALU_DEP_1) | instskip(NEXT) | instid1(VALU_DEP_1)
	v_mul_u64_e32 v[12:13], s[14:15], v[10:11]
	v_lshl_add_u64 v[12:13], v[12:13], 3, v[6:7]
	global_load_b64 v[12:13], v[12:13], off
	s_wait_xcnt 0x0
	s_or_saveexec_b32 s18, s18
	v_mov_b32_e32 v11, v10
	s_xor_b32 exec_lo, exec_lo, s18
	s_cbranch_execz .LBB116_11
.LBB116_13:                             ;   in Loop: Header=BB116_9 Depth=2
	v_cmp_eq_u32_e32 vcc_lo, v2, v10
	s_mov_b32 s20, s3
                                        ; implicit-def: $vgpr12_vgpr13
	s_and_b32 s21, s34, vcc_lo
	s_delay_alu instid0(SALU_CYCLE_1)
	s_and_saveexec_b32 s19, s21
	s_cbranch_execz .LBB116_15
; %bb.14:                               ;   in Loop: Header=BB116_9 Depth=2
	s_wait_loadcnt 0x0
	global_load_b64 v[12:13], v[8:9], off
	s_or_b32 s20, s3, exec_lo
	s_wait_loadcnt 0x0
	v_div_scale_f64 v[18:19], null, v[12:13], v[12:13], 1.0
	s_delay_alu instid0(VALU_DEP_1) | instskip(SKIP_1) | instid1(TRANS32_DEP_1)
	v_rcp_f64_e32 v[20:21], v[18:19]
	v_nop
	v_fma_f64 v[22:23], -v[18:19], v[20:21], 1.0
	s_delay_alu instid0(VALU_DEP_1) | instskip(NEXT) | instid1(VALU_DEP_1)
	v_fmac_f64_e32 v[20:21], v[20:21], v[22:23]
	v_fma_f64 v[22:23], -v[18:19], v[20:21], 1.0
	s_delay_alu instid0(VALU_DEP_1) | instskip(SKIP_1) | instid1(VALU_DEP_1)
	v_fmac_f64_e32 v[20:21], v[20:21], v[22:23]
	v_div_scale_f64 v[22:23], vcc_lo, 1.0, v[12:13], 1.0
	v_mul_f64_e32 v[24:25], v[22:23], v[20:21]
	s_delay_alu instid0(VALU_DEP_1) | instskip(NEXT) | instid1(VALU_DEP_1)
	v_fma_f64 v[18:19], -v[18:19], v[24:25], v[22:23]
	v_div_fmas_f64 v[18:19], v[18:19], v[20:21], v[24:25]
	s_delay_alu instid0(VALU_DEP_1)
	v_div_fixup_f64 v[12:13], v[18:19], v[12:13], 1.0
.LBB116_15:                             ;   in Loop: Header=BB116_9 Depth=2
	s_wait_xcnt 0x0
	s_or_b32 exec_lo, exec_lo, s19
	v_mov_b32_e32 v11, v2
	s_and_not1_b32 s3, s3, exec_lo
	s_and_b32 s19, s20, exec_lo
	s_delay_alu instid0(SALU_CYCLE_1)
	s_or_b32 s3, s3, s19
	s_or_b32 exec_lo, exec_lo, s18
	s_and_saveexec_b32 s18, s3
	s_cbranch_execz .LBB116_8
.LBB116_16:                             ;   in Loop: Header=BB116_9 Depth=2
	s_load_b32 s3, s[28:29], 0xc
	s_wait_kmcnt 0x0
	s_and_b32 s3, s3, 0xffff
	s_delay_alu instid0(SALU_CYCLE_1) | instskip(NEXT) | instid1(VALU_DEP_1)
	v_mul_lo_u32 v11, v11, s3
	v_lshl_add_u32 v11, v11, 3, v16
	s_wait_loadcnt 0x0
	ds_store_b64 v11, v[12:13]
	s_branch .LBB116_8
.LBB116_17:                             ;   in Loop: Header=BB116_4 Depth=1
	s_load_b32 s2, s[28:29], 0xc
	s_mov_b32 s15, s27
	s_wait_kmcnt 0x0
	s_and_b32 s14, s2, 0xffff
	s_mov_b64 s[2:3], s[6:7]
	s_and_saveexec_b32 s35, s31
	s_cbranch_execz .LBB116_3
.LBB116_18:                             ;   in Loop: Header=BB116_4 Depth=1
	s_mul_u64 s[18:19], s[22:23], s[26:27]
	s_and_not1_b32 vcc_lo, exec_lo, s33
	v_lshl_add_u64 v[6:7], s[18:19], 3, v[4:5]
	global_load_b64 v[8:9], v[6:7], off
	s_wait_loadcnt 0x0
	v_mul_f64_e32 v[8:9], s[8:9], v[8:9]
	s_cbranch_vccnz .LBB116_25
; %bb.19:                               ;   in Loop: Header=BB116_4 Depth=1
	v_mad_nc_u64_u32 v[12:13], v2, s14, v[2:3]
	v_add_nc_u64_e32 v[10:11], s[2:3], v[0:1]
	s_lshl_b64 s[18:19], s[14:15], 3
	s_mov_b64 s[20:21], 0
	s_delay_alu instid0(VALU_DEP_2) | instskip(NEXT) | instid1(VALU_DEP_1)
	v_mad_u32 v13, v2, s15, v13
	v_lshl_add_u64 v[12:13], v[12:13], 3, s[2:3]
	s_branch .LBB116_21
.LBB116_20:                             ;   in Loop: Header=BB116_21 Depth=2
	s_wait_xcnt 0x0
	s_or_b32 exec_lo, exec_lo, s36
	v_add_nc_u64_e32 v[10:11], s[18:19], v[10:11]
	s_add_nc_u64 s[20:21], s[20:21], 1
	s_delay_alu instid0(SALU_CYCLE_1)
	s_cmp_eq_u64 s[12:13], s[20:21]
	s_cbranch_scc1 .LBB116_25
.LBB116_21:                             ;   Parent Loop BB116_4 Depth=1
                                        ; =>  This Inner Loop Header: Depth=2
	s_mov_b32 s36, exec_lo
	s_wait_dscnt 0x0
	s_barrier_signal -1
	s_barrier_wait -1
	s_wait_xcnt 0x0
	v_cmpx_eq_u64_e64 s[20:21], v[2:3]
	s_cbranch_execz .LBB116_23
; %bb.22:                               ;   in Loop: Header=BB116_21 Depth=2
	flat_load_b64 v[18:19], v[12:13]
	s_wait_loadcnt_dscnt 0x0
	v_div_scale_f64 v[20:21], null, v[18:19], v[18:19], 1.0
	v_div_scale_f64 v[26:27], vcc_lo, 1.0, v[18:19], 1.0
	s_delay_alu instid0(VALU_DEP_2) | instskip(SKIP_1) | instid1(TRANS32_DEP_1)
	v_rcp_f64_e32 v[22:23], v[20:21]
	v_nop
	v_fma_f64 v[24:25], -v[20:21], v[22:23], 1.0
	s_delay_alu instid0(VALU_DEP_1) | instskip(NEXT) | instid1(VALU_DEP_1)
	v_fmac_f64_e32 v[22:23], v[22:23], v[24:25]
	v_fma_f64 v[24:25], -v[20:21], v[22:23], 1.0
	s_delay_alu instid0(VALU_DEP_1) | instskip(NEXT) | instid1(VALU_DEP_1)
	v_fmac_f64_e32 v[22:23], v[22:23], v[24:25]
	v_mul_f64_e32 v[24:25], v[26:27], v[22:23]
	s_delay_alu instid0(VALU_DEP_1) | instskip(NEXT) | instid1(VALU_DEP_1)
	v_fma_f64 v[20:21], -v[20:21], v[24:25], v[26:27]
	v_div_fmas_f64 v[20:21], v[20:21], v[22:23], v[24:25]
	s_delay_alu instid0(VALU_DEP_1) | instskip(NEXT) | instid1(VALU_DEP_1)
	v_div_fixup_f64 v[20:21], v[20:21], v[18:19], 1.0
	v_dual_cndmask_b32 v19, v21, v19, s0 :: v_dual_cndmask_b32 v18, v20, v18, s0
	s_delay_alu instid0(VALU_DEP_1)
	v_mul_f64_e32 v[8:9], v[8:9], v[18:19]
	ds_store_b64 v15, v[8:9]
.LBB116_23:                             ;   in Loop: Header=BB116_21 Depth=2
	s_wait_xcnt 0x0
	s_or_b32 exec_lo, exec_lo, s36
	s_delay_alu instid0(SALU_CYCLE_1)
	s_mov_b32 s36, exec_lo
	s_wait_dscnt 0x0
	s_barrier_signal -1
	s_barrier_wait -1
	v_cmpx_lt_u64_e64 s[20:21], v[2:3]
	s_cbranch_execz .LBB116_20
; %bb.24:                               ;   in Loop: Header=BB116_21 Depth=2
	flat_load_b64 v[18:19], v[10:11]
	ds_load_b64 v[20:21], v15
	s_wait_loadcnt_dscnt 0x0
	v_fma_f64 v[8:9], -v[18:19], v[20:21], v[8:9]
	s_branch .LBB116_20
.LBB116_25:                             ;   in Loop: Header=BB116_4 Depth=1
	s_wait_xcnt 0x0
	s_and_saveexec_b32 s18, s1
	s_cbranch_execz .LBB116_2
; %bb.26:                               ;   in Loop: Header=BB116_4 Depth=1
	v_mad_nc_u64_u32 v[10:11], v2, s14, v[2:3]
	s_delay_alu instid0(VALU_DEP_1) | instskip(NEXT) | instid1(VALU_DEP_1)
	v_mad_u32 v11, v2, s15, v11
	v_lshl_add_u64 v[10:11], v[10:11], 3, s[2:3]
	flat_load_b64 v[10:11], v[10:11]
	s_wait_loadcnt_dscnt 0x0
	v_div_scale_f64 v[12:13], null, v[10:11], v[10:11], 1.0
	v_div_scale_f64 v[22:23], vcc_lo, 1.0, v[10:11], 1.0
	s_delay_alu instid0(VALU_DEP_2) | instskip(SKIP_1) | instid1(TRANS32_DEP_1)
	v_rcp_f64_e32 v[18:19], v[12:13]
	v_nop
	v_fma_f64 v[20:21], -v[12:13], v[18:19], 1.0
	s_delay_alu instid0(VALU_DEP_1) | instskip(NEXT) | instid1(VALU_DEP_1)
	v_fmac_f64_e32 v[18:19], v[18:19], v[20:21]
	v_fma_f64 v[20:21], -v[12:13], v[18:19], 1.0
	s_delay_alu instid0(VALU_DEP_1) | instskip(NEXT) | instid1(VALU_DEP_1)
	v_fmac_f64_e32 v[18:19], v[18:19], v[20:21]
	v_mul_f64_e32 v[20:21], v[22:23], v[18:19]
	s_delay_alu instid0(VALU_DEP_1) | instskip(NEXT) | instid1(VALU_DEP_1)
	v_fma_f64 v[12:13], -v[12:13], v[20:21], v[22:23]
	v_div_fmas_f64 v[12:13], v[12:13], v[18:19], v[20:21]
	s_delay_alu instid0(VALU_DEP_1) | instskip(SKIP_1) | instid1(VALU_DEP_1)
	v_div_fixup_f64 v[12:13], v[12:13], v[10:11], 1.0
	s_wait_xcnt 0x0
	v_dual_cndmask_b32 v11, v13, v11, s0 :: v_dual_cndmask_b32 v10, v12, v10, s0
	s_delay_alu instid0(VALU_DEP_1)
	v_mul_f64_e32 v[8:9], v[8:9], v[10:11]
	s_branch .LBB116_2
.LBB116_27:
	s_endpgm
	.section	.rodata,"a",@progbits
	.p2align	6, 0x0
	.amdhsa_kernel _ZL39rocblas_trsm_block_forward_substitutionIddPKdPdLb0ELb1ELb0EEv18rocblas_operation_llT0_T1_lllT2_lllib
		.amdhsa_group_segment_fixed_size 0
		.amdhsa_private_segment_fixed_size 0
		.amdhsa_kernarg_size 360
		.amdhsa_user_sgpr_count 2
		.amdhsa_user_sgpr_dispatch_ptr 0
		.amdhsa_user_sgpr_queue_ptr 0
		.amdhsa_user_sgpr_kernarg_segment_ptr 1
		.amdhsa_user_sgpr_dispatch_id 0
		.amdhsa_user_sgpr_kernarg_preload_length 0
		.amdhsa_user_sgpr_kernarg_preload_offset 0
		.amdhsa_user_sgpr_private_segment_size 0
		.amdhsa_wavefront_size32 1
		.amdhsa_uses_dynamic_stack 0
		.amdhsa_enable_private_segment 0
		.amdhsa_system_sgpr_workgroup_id_x 1
		.amdhsa_system_sgpr_workgroup_id_y 1
		.amdhsa_system_sgpr_workgroup_id_z 1
		.amdhsa_system_sgpr_workgroup_info 0
		.amdhsa_system_vgpr_workitem_id 1
		.amdhsa_next_free_vgpr 28
		.amdhsa_next_free_sgpr 37
		.amdhsa_named_barrier_count 0
		.amdhsa_reserve_vcc 1
		.amdhsa_float_round_mode_32 0
		.amdhsa_float_round_mode_16_64 0
		.amdhsa_float_denorm_mode_32 3
		.amdhsa_float_denorm_mode_16_64 3
		.amdhsa_fp16_overflow 0
		.amdhsa_memory_ordered 1
		.amdhsa_forward_progress 1
		.amdhsa_inst_pref_size 12
		.amdhsa_round_robin_scheduling 0
		.amdhsa_exception_fp_ieee_invalid_op 0
		.amdhsa_exception_fp_denorm_src 0
		.amdhsa_exception_fp_ieee_div_zero 0
		.amdhsa_exception_fp_ieee_overflow 0
		.amdhsa_exception_fp_ieee_underflow 0
		.amdhsa_exception_fp_ieee_inexact 0
		.amdhsa_exception_int_div_zero 0
	.end_amdhsa_kernel
	.section	.text._ZL39rocblas_trsm_block_forward_substitutionIddPKdPdLb0ELb1ELb0EEv18rocblas_operation_llT0_T1_lllT2_lllib,"axG",@progbits,_ZL39rocblas_trsm_block_forward_substitutionIddPKdPdLb0ELb1ELb0EEv18rocblas_operation_llT0_T1_lllT2_lllib,comdat
.Lfunc_end116:
	.size	_ZL39rocblas_trsm_block_forward_substitutionIddPKdPdLb0ELb1ELb0EEv18rocblas_operation_llT0_T1_lllT2_lllib, .Lfunc_end116-_ZL39rocblas_trsm_block_forward_substitutionIddPKdPdLb0ELb1ELb0EEv18rocblas_operation_llT0_T1_lllT2_lllib
                                        ; -- End function
	.set _ZL39rocblas_trsm_block_forward_substitutionIddPKdPdLb0ELb1ELb0EEv18rocblas_operation_llT0_T1_lllT2_lllib.num_vgpr, 28
	.set _ZL39rocblas_trsm_block_forward_substitutionIddPKdPdLb0ELb1ELb0EEv18rocblas_operation_llT0_T1_lllT2_lllib.num_agpr, 0
	.set _ZL39rocblas_trsm_block_forward_substitutionIddPKdPdLb0ELb1ELb0EEv18rocblas_operation_llT0_T1_lllT2_lllib.numbered_sgpr, 37
	.set _ZL39rocblas_trsm_block_forward_substitutionIddPKdPdLb0ELb1ELb0EEv18rocblas_operation_llT0_T1_lllT2_lllib.num_named_barrier, 0
	.set _ZL39rocblas_trsm_block_forward_substitutionIddPKdPdLb0ELb1ELb0EEv18rocblas_operation_llT0_T1_lllT2_lllib.private_seg_size, 0
	.set _ZL39rocblas_trsm_block_forward_substitutionIddPKdPdLb0ELb1ELb0EEv18rocblas_operation_llT0_T1_lllT2_lllib.uses_vcc, 1
	.set _ZL39rocblas_trsm_block_forward_substitutionIddPKdPdLb0ELb1ELb0EEv18rocblas_operation_llT0_T1_lllT2_lllib.uses_flat_scratch, 0
	.set _ZL39rocblas_trsm_block_forward_substitutionIddPKdPdLb0ELb1ELb0EEv18rocblas_operation_llT0_T1_lllT2_lllib.has_dyn_sized_stack, 0
	.set _ZL39rocblas_trsm_block_forward_substitutionIddPKdPdLb0ELb1ELb0EEv18rocblas_operation_llT0_T1_lllT2_lllib.has_recursion, 0
	.set _ZL39rocblas_trsm_block_forward_substitutionIddPKdPdLb0ELb1ELb0EEv18rocblas_operation_llT0_T1_lllT2_lllib.has_indirect_call, 0
	.section	.AMDGPU.csdata,"",@progbits
; Kernel info:
; codeLenInByte = 1444
; TotalNumSgprs: 39
; NumVgprs: 28
; ScratchSize: 0
; MemoryBound: 1
; FloatMode: 240
; IeeeMode: 1
; LDSByteSize: 0 bytes/workgroup (compile time only)
; SGPRBlocks: 0
; VGPRBlocks: 1
; NumSGPRsForWavesPerEU: 39
; NumVGPRsForWavesPerEU: 28
; NamedBarCnt: 0
; Occupancy: 16
; WaveLimiterHint : 0
; COMPUTE_PGM_RSRC2:SCRATCH_EN: 0
; COMPUTE_PGM_RSRC2:USER_SGPR: 2
; COMPUTE_PGM_RSRC2:TRAP_HANDLER: 0
; COMPUTE_PGM_RSRC2:TGID_X_EN: 1
; COMPUTE_PGM_RSRC2:TGID_Y_EN: 1
; COMPUTE_PGM_RSRC2:TGID_Z_EN: 1
; COMPUTE_PGM_RSRC2:TIDIG_COMP_CNT: 1
	.section	.text._ZL40rocblas_trsm_block_backward_substitutionIddPKdPdLb0ELb1ELb0EEv18rocblas_operation_llT0_T1_lllT2_lllib,"axG",@progbits,_ZL40rocblas_trsm_block_backward_substitutionIddPKdPdLb0ELb1ELb0EEv18rocblas_operation_llT0_T1_lllT2_lllib,comdat
	.globl	_ZL40rocblas_trsm_block_backward_substitutionIddPKdPdLb0ELb1ELb0EEv18rocblas_operation_llT0_T1_lllT2_lllib ; -- Begin function _ZL40rocblas_trsm_block_backward_substitutionIddPKdPdLb0ELb1ELb0EEv18rocblas_operation_llT0_T1_lllT2_lllib
	.p2align	8
	.type	_ZL40rocblas_trsm_block_backward_substitutionIddPKdPdLb0ELb1ELb0EEv18rocblas_operation_llT0_T1_lllT2_lllib,@function
_ZL40rocblas_trsm_block_backward_substitutionIddPKdPdLb0ELb1ELb0EEv18rocblas_operation_llT0_T1_lllT2_lllib: ; @_ZL40rocblas_trsm_block_backward_substitutionIddPKdPdLb0ELb1ELb0EEv18rocblas_operation_llT0_T1_lllT2_lllib
; %bb.0:
	s_load_b64 s[24:25], s[0:1], 0x60
	s_bfe_u32 s2, ttmp6, 0x40014
	s_lshr_b32 s4, ttmp7, 16
	s_add_co_i32 s2, s2, 1
	s_bfe_u32 s5, ttmp6, 0x40008
	s_mul_i32 s2, s4, s2
	s_getreg_b32 s3, hwreg(HW_REG_IB_STS2, 6, 4)
	s_add_co_i32 s5, s5, s2
	s_cmp_eq_u32 s3, 0
	s_mov_b32 s27, 0
	s_cselect_b32 s26, s4, s5
	s_wait_kmcnt 0x0
	s_cmp_ge_u32 s26, s24
	s_cbranch_scc1 .LBB117_29
; %bb.1:
	s_clause 0x2
	s_load_b512 s[4:19], s[0:1], 0x8
	s_load_b128 s[20:23], s[0:1], 0x48
	s_load_u16 s33, s[0:1], 0x76
	s_bitcmp1_b32 s25, 0
	s_mov_b64 s[28:29], src_shared_base
	s_cselect_b32 s2, -1, 0
	s_bfe_u32 s25, ttmp6, 0x40010
	s_and_b32 s28, ttmp7, 0xffff
	s_add_co_i32 s25, s25, 1
	s_bfe_u32 s30, ttmp6, 0x40004
	s_mul_i32 s25, s28, s25
	v_bfe_u32 v18, v0, 10, 10
	s_add_co_i32 s25, s30, s25
	v_and_b32_e32 v0, 0x3ff, v0
	v_mov_b32_e32 v3, 0
	s_delay_alu instid0(VALU_DEP_3)
	v_lshl_add_u32 v19, v18, 3, 0
	s_wait_kmcnt 0x0
	s_lshl_b64 s[30:31], s[12:13], 3
	s_lshl_b64 s[34:35], s[20:21], 3
	s_cmp_eq_u32 s3, 0
	s_load_b64 s[12:13], s[0:1], 0x58
	s_cselect_b32 s3, s28, s25
	s_add_nc_u64 s[18:19], s[18:19], s[34:35]
	v_mad_u32 v2, s3, s33, v18
	s_add_nc_u64 s[20:21], s[0:1], 0x68
	s_lshl_b32 s3, s33, 3
	v_cmp_gt_i64_e64 s40, s[4:5], 0
	v_cmp_gt_i64_e64 s41, s[4:5], 1
	s_wait_xcnt 0x0
	v_cmp_eq_u32_e64 s0, 0, v0
	s_delay_alu instid0(VALU_DEP_4)
	v_mul_u64_e32 v[8:9], s[22:23], v[2:3]
	v_cmp_gt_i64_e32 vcc_lo, s[6:7], v[2:3]
	v_dual_mov_b32 v1, v3 :: v_dual_lshlrev_b32 v2, 3, v0
	s_add_co_i32 s22, s3, 0
	s_mov_b32 s23, s29
	v_lshl_add_u32 v20, v0, 3, s22
	s_add_nc_u64 s[28:29], s[4:5], -1
	v_mul_u64_e32 v[4:5], s[14:15], v[0:1]
	v_lshlrev_b64_e32 v[6:7], 3, v[0:1]
	v_cmp_le_i64_e64 s25, s[4:5], v[0:1]
	v_cmp_gt_i64_e64 s1, s[4:5], v[0:1]
	s_add_nc_u64 s[6:7], s[10:11], s[30:31]
	s_lshl_b64 s[10:11], s[28:29], 3
	s_xor_b32 s43, s25, -1
	s_and_b32 s42, vcc_lo, s1
	v_lshl_add_u64 v[8:9], v[8:9], 3, s[18:19]
	s_delay_alu instid0(VALU_DEP_1)
	v_add_nc_u64_e32 v[8:9], v[8:9], v[6:7]
	s_branch .LBB117_4
.LBB117_2:                              ;   in Loop: Header=BB117_4 Depth=1
	s_or_b32 exec_lo, exec_lo, s36
	global_store_b64 v[10:11], v[12:13], off
.LBB117_3:                              ;   in Loop: Header=BB117_4 Depth=1
	s_wait_xcnt 0x0
	s_or_b32 exec_lo, exec_lo, s3
	s_add_co_i32 s26, s26, 0x10000
	s_delay_alu instid0(SALU_CYCLE_1)
	s_cmp_lt_u32 s26, s24
	s_cbranch_scc0 .LBB117_29
.LBB117_4:                              ; =>This Loop Header: Depth=1
                                        ;     Child Loop BB117_8 Depth 2
                                        ;     Child Loop BB117_23 Depth 2
	s_mul_u64 s[18:19], s[16:17], s[26:27]
	s_and_not1_b32 vcc_lo, exec_lo, s2
	s_lshl_b64 s[18:19], s[18:19], 3
	s_delay_alu instid0(SALU_CYCLE_1)
	s_add_nc_u64 s[18:19], s[6:7], s[18:19]
	s_cbranch_vccnz .LBB117_18
; %bb.5:                                ;   in Loop: Header=BB117_4 Depth=1
	s_and_not1_b32 vcc_lo, exec_lo, s40
	s_cbranch_vccnz .LBB117_19
; %bb.6:                                ;   in Loop: Header=BB117_4 Depth=1
	v_lshl_add_u64 v[10:11], v[4:5], 3, s[18:19]
	v_mov_b32_e32 v14, v18
	s_mov_b32 s18, s33
	s_delay_alu instid0(VALU_DEP_2)
	v_add_nc_u64_e32 v[12:13], v[10:11], v[2:3]
	s_branch .LBB117_8
.LBB117_7:                              ;   in Loop: Header=BB117_8 Depth=2
	s_or_b32 exec_lo, exec_lo, s19
	s_ashr_i32 s19, s18, 31
	v_add_nc_u32_e32 v14, s33, v14
	v_cmp_le_i64_e64 s3, s[4:5], s[18:19]
	s_add_co_i32 s18, s18, s33
	s_and_b32 vcc_lo, exec_lo, s3
	s_cbranch_vccnz .LBB117_19
.LBB117_8:                              ;   Parent Loop BB117_4 Depth=1
                                        ; =>  This Inner Loop Header: Depth=2
	s_mov_b32 s3, 0
	s_mov_b32 s30, s25
                                        ; implicit-def: $vgpr16_vgpr17
	s_and_saveexec_b32 s19, s1
	s_cbranch_execnz .LBB117_11
; %bb.9:                                ;   in Loop: Header=BB117_8 Depth=2
	s_or_b32 exec_lo, exec_lo, s19
	v_mov_b32_e32 v7, v14
	s_and_saveexec_b32 s19, s30
	s_cbranch_execnz .LBB117_14
.LBB117_10:                             ;   in Loop: Header=BB117_8 Depth=2
	s_or_b32 exec_lo, exec_lo, s19
	s_and_saveexec_b32 s19, s3
	s_cbranch_execz .LBB117_7
	s_branch .LBB117_17
.LBB117_11:                             ;   in Loop: Header=BB117_8 Depth=2
	v_ashrrev_i32_e32 v15, 31, v14
	v_cmp_lt_i32_e64 s3, v0, v14
	s_mov_b32 s30, -1
                                        ; implicit-def: $vgpr16_vgpr17
	v_cmp_gt_i64_e32 vcc_lo, s[4:5], v[14:15]
	s_and_b32 s34, s3, vcc_lo
	s_mov_b32 s3, 0
	s_and_saveexec_b32 s31, s34
	s_cbranch_execz .LBB117_13
; %bb.12:                               ;   in Loop: Header=BB117_8 Depth=2
	s_wait_loadcnt 0x0
	v_lshl_add_u64 v[16:17], v[14:15], 3, v[10:11]
	s_mov_b32 s3, exec_lo
	s_xor_b32 s30, exec_lo, -1
	global_load_b64 v[16:17], v[16:17], off
.LBB117_13:                             ;   in Loop: Header=BB117_8 Depth=2
	s_wait_xcnt 0x0
	s_or_b32 exec_lo, exec_lo, s31
	s_delay_alu instid0(SALU_CYCLE_1)
	s_and_not1_b32 s31, s25, exec_lo
	s_and_b32 s30, s30, exec_lo
	s_and_b32 s3, s3, exec_lo
	s_or_b32 s30, s31, s30
	s_or_b32 exec_lo, exec_lo, s19
	v_mov_b32_e32 v7, v14
	s_and_saveexec_b32 s19, s30
	s_cbranch_execz .LBB117_10
.LBB117_14:                             ;   in Loop: Header=BB117_8 Depth=2
	v_cmp_eq_u32_e32 vcc_lo, v0, v14
	s_mov_b32 s31, s3
                                        ; implicit-def: $vgpr16_vgpr17
	s_and_b32 s34, s43, vcc_lo
	s_delay_alu instid0(SALU_CYCLE_1)
	s_and_saveexec_b32 s30, s34
	s_cbranch_execz .LBB117_16
; %bb.15:                               ;   in Loop: Header=BB117_8 Depth=2
	s_wait_loadcnt 0x0
	global_load_b64 v[16:17], v[12:13], off
	s_or_b32 s31, s3, exec_lo
	s_wait_loadcnt 0x0
	v_div_scale_f64 v[22:23], null, v[16:17], v[16:17], 1.0
	s_delay_alu instid0(VALU_DEP_1) | instskip(SKIP_1) | instid1(TRANS32_DEP_1)
	v_rcp_f64_e32 v[24:25], v[22:23]
	v_nop
	v_fma_f64 v[26:27], -v[22:23], v[24:25], 1.0
	s_delay_alu instid0(VALU_DEP_1) | instskip(NEXT) | instid1(VALU_DEP_1)
	v_fmac_f64_e32 v[24:25], v[24:25], v[26:27]
	v_fma_f64 v[26:27], -v[22:23], v[24:25], 1.0
	s_delay_alu instid0(VALU_DEP_1) | instskip(SKIP_1) | instid1(VALU_DEP_1)
	v_fmac_f64_e32 v[24:25], v[24:25], v[26:27]
	v_div_scale_f64 v[26:27], vcc_lo, 1.0, v[16:17], 1.0
	v_mul_f64_e32 v[28:29], v[26:27], v[24:25]
	s_delay_alu instid0(VALU_DEP_1) | instskip(NEXT) | instid1(VALU_DEP_1)
	v_fma_f64 v[22:23], -v[22:23], v[28:29], v[26:27]
	v_div_fmas_f64 v[22:23], v[22:23], v[24:25], v[28:29]
	s_delay_alu instid0(VALU_DEP_1)
	v_div_fixup_f64 v[16:17], v[22:23], v[16:17], 1.0
.LBB117_16:                             ;   in Loop: Header=BB117_8 Depth=2
	s_wait_xcnt 0x0
	s_or_b32 exec_lo, exec_lo, s30
	v_mov_b32_e32 v7, v0
	s_and_not1_b32 s3, s3, exec_lo
	s_and_b32 s30, s31, exec_lo
	s_delay_alu instid0(SALU_CYCLE_1)
	s_or_b32 s3, s3, s30
	s_or_b32 exec_lo, exec_lo, s19
	s_and_saveexec_b32 s19, s3
	s_cbranch_execz .LBB117_7
.LBB117_17:                             ;   in Loop: Header=BB117_8 Depth=2
	s_load_b32 s3, s[20:21], 0xc
	s_wait_kmcnt 0x0
	s_and_b32 s3, s3, 0xffff
	s_delay_alu instid0(SALU_CYCLE_1) | instskip(NEXT) | instid1(VALU_DEP_1)
	v_mul_lo_u32 v7, v7, s3
	v_lshl_add_u32 v7, v7, 3, v20
	s_wait_loadcnt 0x0
	ds_store_b64 v7, v[16:17]
	s_branch .LBB117_7
.LBB117_18:                             ;   in Loop: Header=BB117_4 Depth=1
	s_mov_b64 s[30:31], 1
	s_mov_b64 s[34:35], s[14:15]
	s_and_saveexec_b32 s3, s42
	s_cbranch_execz .LBB117_3
	s_branch .LBB117_20
.LBB117_19:                             ;   in Loop: Header=BB117_4 Depth=1
	s_load_b32 s3, s[20:21], 0xc
	s_mov_b32 s31, s27
	s_mov_b64 s[34:35], 1
	s_mov_b64 s[18:19], s[22:23]
	s_wait_kmcnt 0x0
	s_and_b32 s30, s3, 0xffff
	s_and_saveexec_b32 s3, s42
	s_cbranch_execz .LBB117_3
.LBB117_20:                             ;   in Loop: Header=BB117_4 Depth=1
	s_wait_kmcnt 0x0
	s_mul_u64 s[36:37], s[12:13], s[26:27]
	s_and_not1_b32 vcc_lo, exec_lo, s41
	v_lshl_add_u64 v[10:11], s[36:37], 3, v[8:9]
	global_load_b64 v[12:13], v[10:11], off
	s_wait_loadcnt 0x0
	v_mul_f64_e32 v[12:13], s[8:9], v[12:13]
	s_cbranch_vccnz .LBB117_27
; %bb.21:                               ;   in Loop: Header=BB117_4 Depth=1
	s_add_nc_u64 s[36:37], s[30:31], s[34:35]
	s_mov_b64 s[38:39], s[28:29]
	v_mul_u64_e32 v[16:17], s[36:37], v[0:1]
	s_mul_u64 s[36:37], s[10:11], s[30:31]
	s_delay_alu instid0(SALU_CYCLE_1) | instskip(NEXT) | instid1(SALU_CYCLE_1)
	s_add_nc_u64 s[36:37], s[18:19], s[36:37]
	v_mad_nc_u64_u32 v[14:15], v6, s34, s[36:37]
	s_lshl_b32 s36, s30, 3
	s_mov_b32 s37, s27
	s_delay_alu instid0(SALU_CYCLE_1) | instskip(NEXT) | instid1(VALU_DEP_1)
	s_sub_nc_u64 s[36:37], 0, s[36:37]
	v_mad_u32 v15, v6, s35, v15
	s_delay_alu instid0(VALU_DEP_3)
	v_lshl_add_u64 v[16:17], v[16:17], 3, s[18:19]
	s_branch .LBB117_23
.LBB117_22:                             ;   in Loop: Header=BB117_23 Depth=2
	s_wait_xcnt 0x0
	s_or_b32 exec_lo, exec_lo, s44
	s_add_nc_u64 s[44:45], s[38:39], 1
	v_add_nc_u64_e32 v[14:15], s[36:37], v[14:15]
	v_cmp_lt_u64_e64 s44, s[44:45], 3
	s_add_nc_u64 s[38:39], s[38:39], -1
	s_and_b32 vcc_lo, exec_lo, s44
	s_cbranch_vccnz .LBB117_27
.LBB117_23:                             ;   Parent Loop BB117_4 Depth=1
                                        ; =>  This Inner Loop Header: Depth=2
	s_mov_b32 s44, exec_lo
	s_wait_dscnt 0x0
	s_barrier_signal -1
	s_barrier_wait -1
	s_wait_xcnt 0x0
	v_cmpx_eq_u64_e64 s[38:39], v[0:1]
	s_cbranch_execz .LBB117_25
; %bb.24:                               ;   in Loop: Header=BB117_23 Depth=2
	flat_load_b64 v[22:23], v[16:17]
	s_wait_loadcnt_dscnt 0x0
	v_div_scale_f64 v[24:25], null, v[22:23], v[22:23], 1.0
	v_div_scale_f64 v[30:31], vcc_lo, 1.0, v[22:23], 1.0
	s_delay_alu instid0(VALU_DEP_2) | instskip(SKIP_1) | instid1(TRANS32_DEP_1)
	v_rcp_f64_e32 v[26:27], v[24:25]
	v_nop
	v_fma_f64 v[28:29], -v[24:25], v[26:27], 1.0
	s_delay_alu instid0(VALU_DEP_1) | instskip(NEXT) | instid1(VALU_DEP_1)
	v_fmac_f64_e32 v[26:27], v[26:27], v[28:29]
	v_fma_f64 v[28:29], -v[24:25], v[26:27], 1.0
	s_delay_alu instid0(VALU_DEP_1) | instskip(NEXT) | instid1(VALU_DEP_1)
	v_fmac_f64_e32 v[26:27], v[26:27], v[28:29]
	v_mul_f64_e32 v[28:29], v[30:31], v[26:27]
	s_delay_alu instid0(VALU_DEP_1) | instskip(NEXT) | instid1(VALU_DEP_1)
	v_fma_f64 v[24:25], -v[24:25], v[28:29], v[30:31]
	v_div_fmas_f64 v[24:25], v[24:25], v[26:27], v[28:29]
	s_delay_alu instid0(VALU_DEP_1) | instskip(NEXT) | instid1(VALU_DEP_1)
	v_div_fixup_f64 v[24:25], v[24:25], v[22:23], 1.0
	v_dual_cndmask_b32 v23, v25, v23, s2 :: v_dual_cndmask_b32 v22, v24, v22, s2
	s_delay_alu instid0(VALU_DEP_1)
	v_mul_f64_e32 v[12:13], v[12:13], v[22:23]
	ds_store_b64 v19, v[12:13]
.LBB117_25:                             ;   in Loop: Header=BB117_23 Depth=2
	s_wait_xcnt 0x0
	s_or_b32 exec_lo, exec_lo, s44
	s_delay_alu instid0(SALU_CYCLE_1)
	s_mov_b32 s44, exec_lo
	s_wait_dscnt 0x0
	s_barrier_signal -1
	s_barrier_wait -1
	v_cmpx_gt_i64_e64 s[38:39], v[0:1]
	s_cbranch_execz .LBB117_22
; %bb.26:                               ;   in Loop: Header=BB117_23 Depth=2
	flat_load_b64 v[22:23], v[14:15]
	ds_load_b64 v[24:25], v19
	s_wait_loadcnt_dscnt 0x0
	v_fma_f64 v[12:13], -v[22:23], v[24:25], v[12:13]
	s_branch .LBB117_22
.LBB117_27:                             ;   in Loop: Header=BB117_4 Depth=1
	s_wait_xcnt 0x0
	s_and_saveexec_b32 s36, s0
	s_cbranch_execz .LBB117_2
; %bb.28:                               ;   in Loop: Header=BB117_4 Depth=1
	s_add_nc_u64 s[30:31], s[30:31], s[34:35]
	s_delay_alu instid0(SALU_CYCLE_1) | instskip(NEXT) | instid1(VALU_DEP_1)
	v_mul_u64_e32 v[14:15], s[30:31], v[0:1]
	v_lshl_add_u64 v[14:15], v[14:15], 3, s[18:19]
	flat_load_b64 v[14:15], v[14:15]
	s_wait_loadcnt_dscnt 0x0
	v_div_scale_f64 v[16:17], null, v[14:15], v[14:15], 1.0
	v_div_scale_f64 v[26:27], vcc_lo, 1.0, v[14:15], 1.0
	s_delay_alu instid0(VALU_DEP_2) | instskip(SKIP_1) | instid1(TRANS32_DEP_1)
	v_rcp_f64_e32 v[22:23], v[16:17]
	v_nop
	v_fma_f64 v[24:25], -v[16:17], v[22:23], 1.0
	s_delay_alu instid0(VALU_DEP_1) | instskip(NEXT) | instid1(VALU_DEP_1)
	v_fmac_f64_e32 v[22:23], v[22:23], v[24:25]
	v_fma_f64 v[24:25], -v[16:17], v[22:23], 1.0
	s_delay_alu instid0(VALU_DEP_1) | instskip(NEXT) | instid1(VALU_DEP_1)
	v_fmac_f64_e32 v[22:23], v[22:23], v[24:25]
	v_mul_f64_e32 v[24:25], v[26:27], v[22:23]
	s_delay_alu instid0(VALU_DEP_1) | instskip(NEXT) | instid1(VALU_DEP_1)
	v_fma_f64 v[16:17], -v[16:17], v[24:25], v[26:27]
	v_div_fmas_f64 v[16:17], v[16:17], v[22:23], v[24:25]
	s_delay_alu instid0(VALU_DEP_1) | instskip(SKIP_1) | instid1(VALU_DEP_1)
	v_div_fixup_f64 v[16:17], v[16:17], v[14:15], 1.0
	s_wait_xcnt 0x0
	v_dual_cndmask_b32 v15, v17, v15, s2 :: v_dual_cndmask_b32 v14, v16, v14, s2
	s_delay_alu instid0(VALU_DEP_1)
	v_mul_f64_e32 v[12:13], v[12:13], v[14:15]
	s_branch .LBB117_2
.LBB117_29:
	s_endpgm
	.section	.rodata,"a",@progbits
	.p2align	6, 0x0
	.amdhsa_kernel _ZL40rocblas_trsm_block_backward_substitutionIddPKdPdLb0ELb1ELb0EEv18rocblas_operation_llT0_T1_lllT2_lllib
		.amdhsa_group_segment_fixed_size 0
		.amdhsa_private_segment_fixed_size 0
		.amdhsa_kernarg_size 360
		.amdhsa_user_sgpr_count 2
		.amdhsa_user_sgpr_dispatch_ptr 0
		.amdhsa_user_sgpr_queue_ptr 0
		.amdhsa_user_sgpr_kernarg_segment_ptr 1
		.amdhsa_user_sgpr_dispatch_id 0
		.amdhsa_user_sgpr_kernarg_preload_length 0
		.amdhsa_user_sgpr_kernarg_preload_offset 0
		.amdhsa_user_sgpr_private_segment_size 0
		.amdhsa_wavefront_size32 1
		.amdhsa_uses_dynamic_stack 0
		.amdhsa_enable_private_segment 0
		.amdhsa_system_sgpr_workgroup_id_x 1
		.amdhsa_system_sgpr_workgroup_id_y 1
		.amdhsa_system_sgpr_workgroup_id_z 1
		.amdhsa_system_sgpr_workgroup_info 0
		.amdhsa_system_vgpr_workitem_id 1
		.amdhsa_next_free_vgpr 32
		.amdhsa_next_free_sgpr 46
		.amdhsa_named_barrier_count 0
		.amdhsa_reserve_vcc 1
		.amdhsa_float_round_mode_32 0
		.amdhsa_float_round_mode_16_64 0
		.amdhsa_float_denorm_mode_32 3
		.amdhsa_float_denorm_mode_16_64 3
		.amdhsa_fp16_overflow 0
		.amdhsa_memory_ordered 1
		.amdhsa_forward_progress 1
		.amdhsa_inst_pref_size 12
		.amdhsa_round_robin_scheduling 0
		.amdhsa_exception_fp_ieee_invalid_op 0
		.amdhsa_exception_fp_denorm_src 0
		.amdhsa_exception_fp_ieee_div_zero 0
		.amdhsa_exception_fp_ieee_overflow 0
		.amdhsa_exception_fp_ieee_underflow 0
		.amdhsa_exception_fp_ieee_inexact 0
		.amdhsa_exception_int_div_zero 0
	.end_amdhsa_kernel
	.section	.text._ZL40rocblas_trsm_block_backward_substitutionIddPKdPdLb0ELb1ELb0EEv18rocblas_operation_llT0_T1_lllT2_lllib,"axG",@progbits,_ZL40rocblas_trsm_block_backward_substitutionIddPKdPdLb0ELb1ELb0EEv18rocblas_operation_llT0_T1_lllT2_lllib,comdat
.Lfunc_end117:
	.size	_ZL40rocblas_trsm_block_backward_substitutionIddPKdPdLb0ELb1ELb0EEv18rocblas_operation_llT0_T1_lllT2_lllib, .Lfunc_end117-_ZL40rocblas_trsm_block_backward_substitutionIddPKdPdLb0ELb1ELb0EEv18rocblas_operation_llT0_T1_lllT2_lllib
                                        ; -- End function
	.set _ZL40rocblas_trsm_block_backward_substitutionIddPKdPdLb0ELb1ELb0EEv18rocblas_operation_llT0_T1_lllT2_lllib.num_vgpr, 32
	.set _ZL40rocblas_trsm_block_backward_substitutionIddPKdPdLb0ELb1ELb0EEv18rocblas_operation_llT0_T1_lllT2_lllib.num_agpr, 0
	.set _ZL40rocblas_trsm_block_backward_substitutionIddPKdPdLb0ELb1ELb0EEv18rocblas_operation_llT0_T1_lllT2_lllib.numbered_sgpr, 46
	.set _ZL40rocblas_trsm_block_backward_substitutionIddPKdPdLb0ELb1ELb0EEv18rocblas_operation_llT0_T1_lllT2_lllib.num_named_barrier, 0
	.set _ZL40rocblas_trsm_block_backward_substitutionIddPKdPdLb0ELb1ELb0EEv18rocblas_operation_llT0_T1_lllT2_lllib.private_seg_size, 0
	.set _ZL40rocblas_trsm_block_backward_substitutionIddPKdPdLb0ELb1ELb0EEv18rocblas_operation_llT0_T1_lllT2_lllib.uses_vcc, 1
	.set _ZL40rocblas_trsm_block_backward_substitutionIddPKdPdLb0ELb1ELb0EEv18rocblas_operation_llT0_T1_lllT2_lllib.uses_flat_scratch, 0
	.set _ZL40rocblas_trsm_block_backward_substitutionIddPKdPdLb0ELb1ELb0EEv18rocblas_operation_llT0_T1_lllT2_lllib.has_dyn_sized_stack, 0
	.set _ZL40rocblas_trsm_block_backward_substitutionIddPKdPdLb0ELb1ELb0EEv18rocblas_operation_llT0_T1_lllT2_lllib.has_recursion, 0
	.set _ZL40rocblas_trsm_block_backward_substitutionIddPKdPdLb0ELb1ELb0EEv18rocblas_operation_llT0_T1_lllT2_lllib.has_indirect_call, 0
	.section	.AMDGPU.csdata,"",@progbits
; Kernel info:
; codeLenInByte = 1528
; TotalNumSgprs: 48
; NumVgprs: 32
; ScratchSize: 0
; MemoryBound: 1
; FloatMode: 240
; IeeeMode: 1
; LDSByteSize: 0 bytes/workgroup (compile time only)
; SGPRBlocks: 0
; VGPRBlocks: 1
; NumSGPRsForWavesPerEU: 48
; NumVGPRsForWavesPerEU: 32
; NamedBarCnt: 0
; Occupancy: 16
; WaveLimiterHint : 0
; COMPUTE_PGM_RSRC2:SCRATCH_EN: 0
; COMPUTE_PGM_RSRC2:USER_SGPR: 2
; COMPUTE_PGM_RSRC2:TRAP_HANDLER: 0
; COMPUTE_PGM_RSRC2:TGID_X_EN: 1
; COMPUTE_PGM_RSRC2:TGID_Y_EN: 1
; COMPUTE_PGM_RSRC2:TGID_Z_EN: 1
; COMPUTE_PGM_RSRC2:TIDIG_COMP_CNT: 1
	.section	.text._ZL39rocblas_trsm_block_forward_substitutionIddPKdPdLb0ELb1ELb1EEv18rocblas_operation_llT0_T1_lllT2_lllib,"axG",@progbits,_ZL39rocblas_trsm_block_forward_substitutionIddPKdPdLb0ELb1ELb1EEv18rocblas_operation_llT0_T1_lllT2_lllib,comdat
	.globl	_ZL39rocblas_trsm_block_forward_substitutionIddPKdPdLb0ELb1ELb1EEv18rocblas_operation_llT0_T1_lllT2_lllib ; -- Begin function _ZL39rocblas_trsm_block_forward_substitutionIddPKdPdLb0ELb1ELb1EEv18rocblas_operation_llT0_T1_lllT2_lllib
	.p2align	8
	.type	_ZL39rocblas_trsm_block_forward_substitutionIddPKdPdLb0ELb1ELb1EEv18rocblas_operation_llT0_T1_lllT2_lllib,@function
_ZL39rocblas_trsm_block_forward_substitutionIddPKdPdLb0ELb1ELb1EEv18rocblas_operation_llT0_T1_lllT2_lllib: ; @_ZL39rocblas_trsm_block_forward_substitutionIddPKdPdLb0ELb1ELb1EEv18rocblas_operation_llT0_T1_lllT2_lllib
; %bb.0:
	s_load_b64 s[2:3], s[0:1], 0x60
	s_bfe_u32 s4, ttmp6, 0x40014
	s_lshr_b32 s5, ttmp7, 16
	s_add_co_i32 s4, s4, 1
	s_bfe_u32 s6, ttmp6, 0x40008
	s_mul_i32 s4, s5, s4
	s_getreg_b32 s26, hwreg(HW_REG_IB_STS2, 6, 4)
	s_add_co_i32 s6, s6, s4
	s_cmp_eq_u32 s26, 0
	s_mov_b32 s25, 0
	s_cselect_b32 s24, s5, s6
	s_wait_kmcnt 0x0
	s_cmp_ge_u32 s24, s2
	s_cbranch_scc1 .LBB118_19
; %bb.1:
	s_clause 0x1
	s_load_b128 s[20:23], s[0:1], 0x48
	s_load_u16 s28, s[0:1], 0x76
	v_and_b32_e32 v2, 0x3ff, v0
	v_mov_b32_e32 v1, 0
	s_load_b512 s[4:19], s[0:1], 0x8
	s_bitcmp1_b32 s3, 0
	v_bfe_u32 v12, v0, 10, 10
	s_cselect_b32 s3, -1, 0
	v_mov_b32_e32 v3, v1
	s_and_b32 s27, ttmp7, 0xffff
	s_mov_b64 s[30:31], src_shared_base
	v_lshl_add_u32 v13, v12, 3, 0
	s_wait_kmcnt 0x0
	v_mul_u64_e32 v[4:5], s[22:23], v[2:3]
	s_bfe_u32 s22, ttmp6, 0x40010
	s_bfe_u32 s23, ttmp6, 0x40004
	s_add_co_i32 s22, s22, 1
	s_lshl_b64 s[34:35], s[20:21], 3
	s_mul_i32 s22, s27, s22
	s_add_nc_u64 s[18:19], s[18:19], s[34:35]
	s_add_co_i32 s29, s23, s22
	s_lshl_b64 s[22:23], s[12:13], 3
	s_cmp_eq_u32 s26, 0
	s_load_b64 s[12:13], s[0:1], 0x58
	s_cselect_b32 s26, s27, s29
	s_add_nc_u64 s[20:21], s[0:1], 0x68
	v_mad_u32 v0, s26, s28, v12
	s_wait_xcnt 0x0
	v_cmp_gt_i64_e64 s0, s[4:5], v[2:3]
	s_lshl_b32 s26, s28, 3
	v_cmp_gt_i64_e64 s1, s[4:5], 0
	v_cmp_gt_i64_e64 s29, s[4:5], 1
	s_add_nc_u64 s[10:11], s[10:11], s[22:23]
	v_cmp_gt_i64_e32 vcc_lo, s[6:7], v[0:1]
	s_add_co_i32 s6, s26, 0
	s_mov_b32 s7, s31
	v_lshl_add_u32 v14, v2, 3, s6
	s_and_b32 s30, vcc_lo, s0
	v_lshl_add_u64 v[4:5], v[4:5], 3, s[18:19]
	s_add_nc_u64 s[18:19], s[4:5], -1
	s_delay_alu instid0(VALU_DEP_1)
	v_lshl_add_u64 v[4:5], v[0:1], 3, v[4:5]
	v_lshlrev_b32_e32 v0, 3, v2
	s_branch .LBB118_4
.LBB118_2:                              ;   in Loop: Header=BB118_4 Depth=1
	global_store_b64 v[6:7], v[8:9], off
.LBB118_3:                              ;   in Loop: Header=BB118_4 Depth=1
	s_wait_xcnt 0x0
	s_or_b32 exec_lo, exec_lo, s31
	s_add_co_i32 s24, s24, 0x10000
	s_delay_alu instid0(SALU_CYCLE_1)
	s_cmp_lt_u32 s24, s2
	s_cbranch_scc0 .LBB118_19
.LBB118_4:                              ; =>This Loop Header: Depth=1
                                        ;     Child Loop BB118_9 Depth 2
                                        ;     Child Loop BB118_15 Depth 2
	s_mul_u64 s[22:23], s[16:17], s[24:25]
	s_and_not1_b32 vcc_lo, exec_lo, s3
	s_lshl_b64 s[22:23], s[22:23], 3
	s_delay_alu instid0(SALU_CYCLE_1)
	s_add_nc_u64 s[22:23], s[10:11], s[22:23]
	s_cbranch_vccz .LBB118_6
; %bb.5:                                ;   in Loop: Header=BB118_4 Depth=1
	s_and_saveexec_b32 s31, s30
	s_cbranch_execz .LBB118_3
	s_branch .LBB118_12
.LBB118_6:                              ;   in Loop: Header=BB118_4 Depth=1
	s_and_not1_b32 vcc_lo, exec_lo, s1
	s_cbranch_vccnz .LBB118_11
; %bb.7:                                ;   in Loop: Header=BB118_4 Depth=1
	v_add_nc_u64_e32 v[6:7], s[22:23], v[0:1]
	s_mov_b32 s22, 0
	s_branch .LBB118_9
.LBB118_8:                              ;   in Loop: Header=BB118_9 Depth=2
	s_wait_xcnt 0x0
	s_or_b32 exec_lo, exec_lo, s23
	s_add_co_i32 s22, s22, s28
	s_delay_alu instid0(SALU_CYCLE_1) | instskip(NEXT) | instid1(SALU_CYCLE_1)
	s_ashr_i32 s23, s22, 31
	v_cmp_le_i64_e64 s23, s[4:5], s[22:23]
	s_and_b32 vcc_lo, exec_lo, s23
	s_cbranch_vccnz .LBB118_11
.LBB118_9:                              ;   Parent Loop BB118_4 Depth=1
                                        ; =>  This Inner Loop Header: Depth=2
	v_add_nc_u32_e32 v8, s22, v12
	s_delay_alu instid0(VALU_DEP_1) | instskip(SKIP_1) | instid1(SALU_CYCLE_1)
	v_cmp_gt_i32_e32 vcc_lo, v2, v8
	s_and_b32 s26, s0, vcc_lo
	s_and_saveexec_b32 s23, s26
	s_cbranch_execz .LBB118_8
; %bb.10:                               ;   in Loop: Header=BB118_9 Depth=2
	v_ashrrev_i32_e32 v9, 31, v8
	s_load_b32 s26, s[20:21], 0xc
	s_delay_alu instid0(VALU_DEP_1) | instskip(SKIP_2) | instid1(SALU_CYCLE_1)
	v_mul_u64_e32 v[10:11], s[14:15], v[8:9]
	s_wait_kmcnt 0x0
	s_and_b32 s26, s26, 0xffff
	v_mul_lo_u32 v8, v8, s26
	s_delay_alu instid0(VALU_DEP_1) | instskip(NEXT) | instid1(VALU_DEP_3)
	v_lshl_add_u32 v8, v8, 3, v14
	v_lshl_add_u64 v[10:11], v[10:11], 3, v[6:7]
	global_load_b64 v[10:11], v[10:11], off
	s_wait_loadcnt 0x0
	ds_store_b64 v8, v[10:11]
	s_branch .LBB118_8
.LBB118_11:                             ;   in Loop: Header=BB118_4 Depth=1
	s_load_b32 s14, s[20:21], 0xc
	s_mov_b32 s15, s25
	s_mov_b64 s[22:23], s[6:7]
	s_wait_kmcnt 0x0
	s_and_b32 s14, s14, 0xffff
	s_and_saveexec_b32 s31, s30
	s_cbranch_execz .LBB118_3
.LBB118_12:                             ;   in Loop: Header=BB118_4 Depth=1
	s_wait_kmcnt 0x0
	s_mul_u64 s[26:27], s[12:13], s[24:25]
	s_and_not1_b32 vcc_lo, exec_lo, s29
	v_lshl_add_u64 v[6:7], s[26:27], 3, v[4:5]
	global_load_b64 v[8:9], v[6:7], off
	s_wait_loadcnt 0x0
	v_mul_f64_e32 v[8:9], s[8:9], v[8:9]
	s_cbranch_vccnz .LBB118_2
; %bb.13:                               ;   in Loop: Header=BB118_4 Depth=1
	v_add_nc_u64_e32 v[10:11], s[22:23], v[0:1]
	s_lshl_b64 s[22:23], s[14:15], 3
	s_mov_b64 s[26:27], 0
	s_branch .LBB118_15
.LBB118_14:                             ;   in Loop: Header=BB118_15 Depth=2
	s_wait_xcnt 0x0
	s_or_b32 exec_lo, exec_lo, s33
	v_add_nc_u64_e32 v[10:11], s[22:23], v[10:11]
	s_add_nc_u64 s[26:27], s[26:27], 1
	s_delay_alu instid0(SALU_CYCLE_1)
	s_cmp_eq_u64 s[18:19], s[26:27]
	s_cbranch_scc1 .LBB118_2
.LBB118_15:                             ;   Parent Loop BB118_4 Depth=1
                                        ; =>  This Inner Loop Header: Depth=2
	s_mov_b32 s33, exec_lo
	s_wait_dscnt 0x0
	s_barrier_signal -1
	s_barrier_wait -1
	s_wait_xcnt 0x0
	v_cmpx_eq_u64_e64 s[26:27], v[2:3]
; %bb.16:                               ;   in Loop: Header=BB118_15 Depth=2
	ds_store_b64 v13, v[8:9]
; %bb.17:                               ;   in Loop: Header=BB118_15 Depth=2
	s_or_b32 exec_lo, exec_lo, s33
	s_delay_alu instid0(SALU_CYCLE_1)
	s_mov_b32 s33, exec_lo
	s_wait_dscnt 0x0
	s_barrier_signal -1
	s_barrier_wait -1
	v_cmpx_lt_u64_e64 s[26:27], v[2:3]
	s_cbranch_execz .LBB118_14
; %bb.18:                               ;   in Loop: Header=BB118_15 Depth=2
	flat_load_b64 v[16:17], v[10:11]
	ds_load_b64 v[18:19], v13
	s_wait_loadcnt_dscnt 0x0
	v_fma_f64 v[8:9], -v[16:17], v[18:19], v[8:9]
	s_branch .LBB118_14
.LBB118_19:
	s_endpgm
	.section	.rodata,"a",@progbits
	.p2align	6, 0x0
	.amdhsa_kernel _ZL39rocblas_trsm_block_forward_substitutionIddPKdPdLb0ELb1ELb1EEv18rocblas_operation_llT0_T1_lllT2_lllib
		.amdhsa_group_segment_fixed_size 0
		.amdhsa_private_segment_fixed_size 0
		.amdhsa_kernarg_size 360
		.amdhsa_user_sgpr_count 2
		.amdhsa_user_sgpr_dispatch_ptr 0
		.amdhsa_user_sgpr_queue_ptr 0
		.amdhsa_user_sgpr_kernarg_segment_ptr 1
		.amdhsa_user_sgpr_dispatch_id 0
		.amdhsa_user_sgpr_kernarg_preload_length 0
		.amdhsa_user_sgpr_kernarg_preload_offset 0
		.amdhsa_user_sgpr_private_segment_size 0
		.amdhsa_wavefront_size32 1
		.amdhsa_uses_dynamic_stack 0
		.amdhsa_enable_private_segment 0
		.amdhsa_system_sgpr_workgroup_id_x 1
		.amdhsa_system_sgpr_workgroup_id_y 1
		.amdhsa_system_sgpr_workgroup_id_z 1
		.amdhsa_system_sgpr_workgroup_info 0
		.amdhsa_system_vgpr_workitem_id 1
		.amdhsa_next_free_vgpr 20
		.amdhsa_next_free_sgpr 36
		.amdhsa_named_barrier_count 0
		.amdhsa_reserve_vcc 1
		.amdhsa_float_round_mode_32 0
		.amdhsa_float_round_mode_16_64 0
		.amdhsa_float_denorm_mode_32 3
		.amdhsa_float_denorm_mode_16_64 3
		.amdhsa_fp16_overflow 0
		.amdhsa_memory_ordered 1
		.amdhsa_forward_progress 1
		.amdhsa_inst_pref_size 7
		.amdhsa_round_robin_scheduling 0
		.amdhsa_exception_fp_ieee_invalid_op 0
		.amdhsa_exception_fp_denorm_src 0
		.amdhsa_exception_fp_ieee_div_zero 0
		.amdhsa_exception_fp_ieee_overflow 0
		.amdhsa_exception_fp_ieee_underflow 0
		.amdhsa_exception_fp_ieee_inexact 0
		.amdhsa_exception_int_div_zero 0
	.end_amdhsa_kernel
	.section	.text._ZL39rocblas_trsm_block_forward_substitutionIddPKdPdLb0ELb1ELb1EEv18rocblas_operation_llT0_T1_lllT2_lllib,"axG",@progbits,_ZL39rocblas_trsm_block_forward_substitutionIddPKdPdLb0ELb1ELb1EEv18rocblas_operation_llT0_T1_lllT2_lllib,comdat
.Lfunc_end118:
	.size	_ZL39rocblas_trsm_block_forward_substitutionIddPKdPdLb0ELb1ELb1EEv18rocblas_operation_llT0_T1_lllT2_lllib, .Lfunc_end118-_ZL39rocblas_trsm_block_forward_substitutionIddPKdPdLb0ELb1ELb1EEv18rocblas_operation_llT0_T1_lllT2_lllib
                                        ; -- End function
	.set _ZL39rocblas_trsm_block_forward_substitutionIddPKdPdLb0ELb1ELb1EEv18rocblas_operation_llT0_T1_lllT2_lllib.num_vgpr, 20
	.set _ZL39rocblas_trsm_block_forward_substitutionIddPKdPdLb0ELb1ELb1EEv18rocblas_operation_llT0_T1_lllT2_lllib.num_agpr, 0
	.set _ZL39rocblas_trsm_block_forward_substitutionIddPKdPdLb0ELb1ELb1EEv18rocblas_operation_llT0_T1_lllT2_lllib.numbered_sgpr, 36
	.set _ZL39rocblas_trsm_block_forward_substitutionIddPKdPdLb0ELb1ELb1EEv18rocblas_operation_llT0_T1_lllT2_lllib.num_named_barrier, 0
	.set _ZL39rocblas_trsm_block_forward_substitutionIddPKdPdLb0ELb1ELb1EEv18rocblas_operation_llT0_T1_lllT2_lllib.private_seg_size, 0
	.set _ZL39rocblas_trsm_block_forward_substitutionIddPKdPdLb0ELb1ELb1EEv18rocblas_operation_llT0_T1_lllT2_lllib.uses_vcc, 1
	.set _ZL39rocblas_trsm_block_forward_substitutionIddPKdPdLb0ELb1ELb1EEv18rocblas_operation_llT0_T1_lllT2_lllib.uses_flat_scratch, 0
	.set _ZL39rocblas_trsm_block_forward_substitutionIddPKdPdLb0ELb1ELb1EEv18rocblas_operation_llT0_T1_lllT2_lllib.has_dyn_sized_stack, 0
	.set _ZL39rocblas_trsm_block_forward_substitutionIddPKdPdLb0ELb1ELb1EEv18rocblas_operation_llT0_T1_lllT2_lllib.has_recursion, 0
	.set _ZL39rocblas_trsm_block_forward_substitutionIddPKdPdLb0ELb1ELb1EEv18rocblas_operation_llT0_T1_lllT2_lllib.has_indirect_call, 0
	.section	.AMDGPU.csdata,"",@progbits
; Kernel info:
; codeLenInByte = 800
; TotalNumSgprs: 38
; NumVgprs: 20
; ScratchSize: 0
; MemoryBound: 0
; FloatMode: 240
; IeeeMode: 1
; LDSByteSize: 0 bytes/workgroup (compile time only)
; SGPRBlocks: 0
; VGPRBlocks: 1
; NumSGPRsForWavesPerEU: 38
; NumVGPRsForWavesPerEU: 20
; NamedBarCnt: 0
; Occupancy: 16
; WaveLimiterHint : 0
; COMPUTE_PGM_RSRC2:SCRATCH_EN: 0
; COMPUTE_PGM_RSRC2:USER_SGPR: 2
; COMPUTE_PGM_RSRC2:TRAP_HANDLER: 0
; COMPUTE_PGM_RSRC2:TGID_X_EN: 1
; COMPUTE_PGM_RSRC2:TGID_Y_EN: 1
; COMPUTE_PGM_RSRC2:TGID_Z_EN: 1
; COMPUTE_PGM_RSRC2:TIDIG_COMP_CNT: 1
	.section	.text._ZL40rocblas_trsm_block_backward_substitutionIddPKdPdLb0ELb1ELb1EEv18rocblas_operation_llT0_T1_lllT2_lllib,"axG",@progbits,_ZL40rocblas_trsm_block_backward_substitutionIddPKdPdLb0ELb1ELb1EEv18rocblas_operation_llT0_T1_lllT2_lllib,comdat
	.globl	_ZL40rocblas_trsm_block_backward_substitutionIddPKdPdLb0ELb1ELb1EEv18rocblas_operation_llT0_T1_lllT2_lllib ; -- Begin function _ZL40rocblas_trsm_block_backward_substitutionIddPKdPdLb0ELb1ELb1EEv18rocblas_operation_llT0_T1_lllT2_lllib
	.p2align	8
	.type	_ZL40rocblas_trsm_block_backward_substitutionIddPKdPdLb0ELb1ELb1EEv18rocblas_operation_llT0_T1_lllT2_lllib,@function
_ZL40rocblas_trsm_block_backward_substitutionIddPKdPdLb0ELb1ELb1EEv18rocblas_operation_llT0_T1_lllT2_lllib: ; @_ZL40rocblas_trsm_block_backward_substitutionIddPKdPdLb0ELb1ELb1EEv18rocblas_operation_llT0_T1_lllT2_lllib
; %bb.0:
	s_load_b64 s[2:3], s[0:1], 0x60
	s_bfe_u32 s4, ttmp6, 0x40014
	s_lshr_b32 s5, ttmp7, 16
	s_add_co_i32 s4, s4, 1
	s_bfe_u32 s6, ttmp6, 0x40008
	s_mul_i32 s4, s5, s4
	s_getreg_b32 s22, hwreg(HW_REG_IB_STS2, 6, 4)
	s_add_co_i32 s6, s6, s4
	s_cmp_eq_u32 s22, 0
	s_mov_b32 s21, 0
	s_cselect_b32 s20, s5, s6
	s_wait_kmcnt 0x0
	s_cmp_ge_u32 s20, s2
	s_cbranch_scc1 .LBB119_19
; %bb.1:
	s_clause 0x2
	s_load_b512 s[4:19], s[0:1], 0x8
	s_load_b128 s[24:27], s[0:1], 0x48
	s_load_u16 s33, s[0:1], 0x76
	s_bitcmp1_b32 s3, 0
	s_mov_b64 s[28:29], src_shared_base
	s_cselect_b32 s3, -1, 0
	s_bfe_u32 s23, ttmp6, 0x40010
	s_and_b32 s28, ttmp7, 0xffff
	s_add_co_i32 s23, s23, 1
	s_bfe_u32 s30, ttmp6, 0x40004
	s_mul_i32 s23, s28, s23
	v_bfe_u32 v14, v0, 10, 10
	s_add_co_i32 s23, s30, s23
	v_mov_b32_e32 v7, 0
	v_and_b32_e32 v0, 0x3ff, v0
	s_delay_alu instid0(VALU_DEP_3) | instskip(NEXT) | instid1(VALU_DEP_3)
	v_lshl_add_u32 v15, v14, 3, 0
	v_mov_b32_e32 v1, v7
	s_wait_kmcnt 0x0
	s_lshl_b64 s[30:31], s[12:13], 3
	s_lshl_b64 s[34:35], s[24:25], 3
	s_cmp_eq_u32 s22, 0
	v_mul_u64_e32 v[2:3], s[14:15], v[0:1]
	s_cselect_b32 s12, s28, s23
	v_lshlrev_b64_e32 v[4:5], 3, v[0:1]
	v_mad_u32 v6, s12, s33, v14
	s_load_b64 s[12:13], s[0:1], 0x58
	s_add_nc_u64 s[18:19], s[18:19], s[34:35]
	s_add_nc_u64 s[22:23], s[0:1], 0x68
	s_wait_xcnt 0x0
	v_cmp_gt_i64_e64 s0, s[4:5], v[0:1]
	s_lshl_b32 s1, s33, 3
	v_cmp_gt_i64_e64 s34, s[4:5], 0
	s_add_co_i32 s24, s1, 0
	v_cmp_gt_i64_e64 s35, s[4:5], 1
	v_lshl_add_u32 v16, v0, 3, s24
	s_mov_b32 s25, s29
	v_mul_u64_e32 v[8:9], s[26:27], v[6:7]
	v_cmp_gt_i64_e32 vcc_lo, s[6:7], v[6:7]
	s_add_nc_u64 s[6:7], s[4:5], -1
	s_add_nc_u64 s[10:11], s[10:11], s[30:31]
	s_and_b32 s36, vcc_lo, s0
	s_delay_alu instid0(VALU_DEP_2) | instskip(SKIP_1) | instid1(VALU_DEP_1)
	v_lshl_add_u64 v[8:9], v[8:9], 3, s[18:19]
	s_lshl_b64 s[18:19], s[6:7], 3
	v_add_nc_u64_e32 v[6:7], v[8:9], v[4:5]
	s_branch .LBB119_4
.LBB119_2:                              ;   in Loop: Header=BB119_4 Depth=1
	global_store_b64 v[8:9], v[10:11], off
.LBB119_3:                              ;   in Loop: Header=BB119_4 Depth=1
	s_wait_xcnt 0x0
	s_or_b32 exec_lo, exec_lo, s1
	s_add_co_i32 s20, s20, 0x10000
	s_delay_alu instid0(SALU_CYCLE_1)
	s_cmp_lt_u32 s20, s2
	s_cbranch_scc0 .LBB119_19
.LBB119_4:                              ; =>This Loop Header: Depth=1
                                        ;     Child Loop BB119_8 Depth 2
                                        ;     Child Loop BB119_15 Depth 2
	s_mul_u64 s[26:27], s[16:17], s[20:21]
	s_and_not1_b32 vcc_lo, exec_lo, s3
	s_lshl_b64 s[26:27], s[26:27], 3
	s_delay_alu instid0(SALU_CYCLE_1)
	s_add_nc_u64 s[28:29], s[10:11], s[26:27]
	s_cbranch_vccnz .LBB119_10
; %bb.5:                                ;   in Loop: Header=BB119_4 Depth=1
	s_and_not1_b32 vcc_lo, exec_lo, s34
	s_cbranch_vccnz .LBB119_11
; %bb.6:                                ;   in Loop: Header=BB119_4 Depth=1
	v_lshl_add_u64 v[8:9], v[2:3], 3, s[28:29]
	s_mov_b32 s26, 0
	s_branch .LBB119_8
.LBB119_7:                              ;   in Loop: Header=BB119_8 Depth=2
	s_wait_xcnt 0x0
	s_or_b32 exec_lo, exec_lo, s1
	s_add_co_i32 s26, s26, s33
	s_delay_alu instid0(SALU_CYCLE_1) | instskip(NEXT) | instid1(SALU_CYCLE_1)
	s_ashr_i32 s27, s26, 31
	v_cmp_le_i64_e64 s1, s[4:5], s[26:27]
	s_and_b32 vcc_lo, exec_lo, s1
	s_cbranch_vccnz .LBB119_11
.LBB119_8:                              ;   Parent Loop BB119_4 Depth=1
                                        ; =>  This Inner Loop Header: Depth=2
	v_add_nc_u32_e32 v10, s26, v14
	s_delay_alu instid0(VALU_DEP_1) | instskip(SKIP_1) | instid1(VALU_DEP_2)
	v_ashrrev_i32_e32 v11, 31, v10
	v_cmp_lt_i32_e64 s1, v0, v10
	v_cmp_gt_i64_e32 vcc_lo, s[4:5], v[10:11]
	s_and_b32 s1, s1, vcc_lo
	s_delay_alu instid0(SALU_CYCLE_1) | instskip(NEXT) | instid1(SALU_CYCLE_1)
	s_and_b32 s27, s0, s1
	s_and_saveexec_b32 s1, s27
	s_cbranch_execz .LBB119_7
; %bb.9:                                ;   in Loop: Header=BB119_8 Depth=2
	v_lshl_add_u64 v[12:13], v[10:11], 3, v[8:9]
	s_load_b32 s27, s[22:23], 0xc
	global_load_b64 v[12:13], v[12:13], off
	s_wait_kmcnt 0x0
	s_and_b32 s27, s27, 0xffff
	s_delay_alu instid0(SALU_CYCLE_1) | instskip(NEXT) | instid1(VALU_DEP_1)
	v_mul_lo_u32 v5, v10, s27
	v_lshl_add_u32 v5, v5, 3, v16
	s_wait_loadcnt 0x0
	ds_store_b64 v5, v[12:13]
	s_branch .LBB119_7
.LBB119_10:                             ;   in Loop: Header=BB119_4 Depth=1
	s_mov_b64 s[26:27], 1
	s_mov_b64 s[30:31], s[14:15]
	s_and_saveexec_b32 s1, s36
	s_cbranch_execz .LBB119_3
	s_branch .LBB119_12
.LBB119_11:                             ;   in Loop: Header=BB119_4 Depth=1
	s_load_b32 s1, s[22:23], 0xc
	s_mov_b32 s27, s21
	s_mov_b64 s[30:31], 1
	s_mov_b64 s[28:29], s[24:25]
	s_wait_kmcnt 0x0
	s_and_b32 s26, s1, 0xffff
	s_and_saveexec_b32 s1, s36
	s_cbranch_execz .LBB119_3
.LBB119_12:                             ;   in Loop: Header=BB119_4 Depth=1
	s_wait_kmcnt 0x0
	s_mul_u64 s[38:39], s[12:13], s[20:21]
	s_and_not1_b32 vcc_lo, exec_lo, s35
	v_lshl_add_u64 v[8:9], s[38:39], 3, v[6:7]
	global_load_b64 v[10:11], v[8:9], off
	s_wait_loadcnt 0x0
	v_mul_f64_e32 v[10:11], s[8:9], v[10:11]
	s_cbranch_vccnz .LBB119_2
; %bb.13:                               ;   in Loop: Header=BB119_4 Depth=1
	s_mul_u64 s[38:39], s[18:19], s[26:27]
	s_lshl_b32 s26, s26, 3
	s_add_nc_u64 s[28:29], s[28:29], s[38:39]
	s_mov_b32 s27, s21
	v_mad_nc_u64_u32 v[12:13], v4, s30, s[28:29]
	s_sub_nc_u64 s[26:27], 0, s[26:27]
	s_mov_b64 s[28:29], s[6:7]
	s_delay_alu instid0(VALU_DEP_1)
	v_mad_u32 v13, v4, s31, v13
	s_branch .LBB119_15
.LBB119_14:                             ;   in Loop: Header=BB119_15 Depth=2
	s_wait_xcnt 0x0
	s_or_b32 exec_lo, exec_lo, s30
	s_add_nc_u64 s[30:31], s[28:29], 1
	v_add_nc_u64_e32 v[12:13], s[26:27], v[12:13]
	v_cmp_lt_u64_e64 s30, s[30:31], 3
	s_add_nc_u64 s[28:29], s[28:29], -1
	s_and_b32 vcc_lo, exec_lo, s30
	s_cbranch_vccnz .LBB119_2
.LBB119_15:                             ;   Parent Loop BB119_4 Depth=1
                                        ; =>  This Inner Loop Header: Depth=2
	s_mov_b32 s30, exec_lo
	s_wait_dscnt 0x0
	s_barrier_signal -1
	s_barrier_wait -1
	s_wait_xcnt 0x0
	v_cmpx_eq_u64_e64 s[28:29], v[0:1]
; %bb.16:                               ;   in Loop: Header=BB119_15 Depth=2
	ds_store_b64 v15, v[10:11]
; %bb.17:                               ;   in Loop: Header=BB119_15 Depth=2
	s_or_b32 exec_lo, exec_lo, s30
	s_delay_alu instid0(SALU_CYCLE_1)
	s_mov_b32 s30, exec_lo
	s_wait_dscnt 0x0
	s_barrier_signal -1
	s_barrier_wait -1
	v_cmpx_gt_i64_e64 s[28:29], v[0:1]
	s_cbranch_execz .LBB119_14
; %bb.18:                               ;   in Loop: Header=BB119_15 Depth=2
	flat_load_b64 v[18:19], v[12:13]
	ds_load_b64 v[20:21], v15
	s_wait_loadcnt_dscnt 0x0
	v_fma_f64 v[10:11], -v[18:19], v[20:21], v[10:11]
	s_branch .LBB119_14
.LBB119_19:
	s_endpgm
	.section	.rodata,"a",@progbits
	.p2align	6, 0x0
	.amdhsa_kernel _ZL40rocblas_trsm_block_backward_substitutionIddPKdPdLb0ELb1ELb1EEv18rocblas_operation_llT0_T1_lllT2_lllib
		.amdhsa_group_segment_fixed_size 0
		.amdhsa_private_segment_fixed_size 0
		.amdhsa_kernarg_size 360
		.amdhsa_user_sgpr_count 2
		.amdhsa_user_sgpr_dispatch_ptr 0
		.amdhsa_user_sgpr_queue_ptr 0
		.amdhsa_user_sgpr_kernarg_segment_ptr 1
		.amdhsa_user_sgpr_dispatch_id 0
		.amdhsa_user_sgpr_kernarg_preload_length 0
		.amdhsa_user_sgpr_kernarg_preload_offset 0
		.amdhsa_user_sgpr_private_segment_size 0
		.amdhsa_wavefront_size32 1
		.amdhsa_uses_dynamic_stack 0
		.amdhsa_enable_private_segment 0
		.amdhsa_system_sgpr_workgroup_id_x 1
		.amdhsa_system_sgpr_workgroup_id_y 1
		.amdhsa_system_sgpr_workgroup_id_z 1
		.amdhsa_system_sgpr_workgroup_info 0
		.amdhsa_system_vgpr_workitem_id 1
		.amdhsa_next_free_vgpr 22
		.amdhsa_next_free_sgpr 40
		.amdhsa_named_barrier_count 0
		.amdhsa_reserve_vcc 1
		.amdhsa_float_round_mode_32 0
		.amdhsa_float_round_mode_16_64 0
		.amdhsa_float_denorm_mode_32 3
		.amdhsa_float_denorm_mode_16_64 3
		.amdhsa_fp16_overflow 0
		.amdhsa_memory_ordered 1
		.amdhsa_forward_progress 1
		.amdhsa_inst_pref_size 7
		.amdhsa_round_robin_scheduling 0
		.amdhsa_exception_fp_ieee_invalid_op 0
		.amdhsa_exception_fp_denorm_src 0
		.amdhsa_exception_fp_ieee_div_zero 0
		.amdhsa_exception_fp_ieee_overflow 0
		.amdhsa_exception_fp_ieee_underflow 0
		.amdhsa_exception_fp_ieee_inexact 0
		.amdhsa_exception_int_div_zero 0
	.end_amdhsa_kernel
	.section	.text._ZL40rocblas_trsm_block_backward_substitutionIddPKdPdLb0ELb1ELb1EEv18rocblas_operation_llT0_T1_lllT2_lllib,"axG",@progbits,_ZL40rocblas_trsm_block_backward_substitutionIddPKdPdLb0ELb1ELb1EEv18rocblas_operation_llT0_T1_lllT2_lllib,comdat
.Lfunc_end119:
	.size	_ZL40rocblas_trsm_block_backward_substitutionIddPKdPdLb0ELb1ELb1EEv18rocblas_operation_llT0_T1_lllT2_lllib, .Lfunc_end119-_ZL40rocblas_trsm_block_backward_substitutionIddPKdPdLb0ELb1ELb1EEv18rocblas_operation_llT0_T1_lllT2_lllib
                                        ; -- End function
	.set _ZL40rocblas_trsm_block_backward_substitutionIddPKdPdLb0ELb1ELb1EEv18rocblas_operation_llT0_T1_lllT2_lllib.num_vgpr, 22
	.set _ZL40rocblas_trsm_block_backward_substitutionIddPKdPdLb0ELb1ELb1EEv18rocblas_operation_llT0_T1_lllT2_lllib.num_agpr, 0
	.set _ZL40rocblas_trsm_block_backward_substitutionIddPKdPdLb0ELb1ELb1EEv18rocblas_operation_llT0_T1_lllT2_lllib.numbered_sgpr, 40
	.set _ZL40rocblas_trsm_block_backward_substitutionIddPKdPdLb0ELb1ELb1EEv18rocblas_operation_llT0_T1_lllT2_lllib.num_named_barrier, 0
	.set _ZL40rocblas_trsm_block_backward_substitutionIddPKdPdLb0ELb1ELb1EEv18rocblas_operation_llT0_T1_lllT2_lllib.private_seg_size, 0
	.set _ZL40rocblas_trsm_block_backward_substitutionIddPKdPdLb0ELb1ELb1EEv18rocblas_operation_llT0_T1_lllT2_lllib.uses_vcc, 1
	.set _ZL40rocblas_trsm_block_backward_substitutionIddPKdPdLb0ELb1ELb1EEv18rocblas_operation_llT0_T1_lllT2_lllib.uses_flat_scratch, 0
	.set _ZL40rocblas_trsm_block_backward_substitutionIddPKdPdLb0ELb1ELb1EEv18rocblas_operation_llT0_T1_lllT2_lllib.has_dyn_sized_stack, 0
	.set _ZL40rocblas_trsm_block_backward_substitutionIddPKdPdLb0ELb1ELb1EEv18rocblas_operation_llT0_T1_lllT2_lllib.has_recursion, 0
	.set _ZL40rocblas_trsm_block_backward_substitutionIddPKdPdLb0ELb1ELb1EEv18rocblas_operation_llT0_T1_lllT2_lllib.has_indirect_call, 0
	.section	.AMDGPU.csdata,"",@progbits
; Kernel info:
; codeLenInByte = 872
; TotalNumSgprs: 42
; NumVgprs: 22
; ScratchSize: 0
; MemoryBound: 0
; FloatMode: 240
; IeeeMode: 1
; LDSByteSize: 0 bytes/workgroup (compile time only)
; SGPRBlocks: 0
; VGPRBlocks: 1
; NumSGPRsForWavesPerEU: 42
; NumVGPRsForWavesPerEU: 22
; NamedBarCnt: 0
; Occupancy: 16
; WaveLimiterHint : 0
; COMPUTE_PGM_RSRC2:SCRATCH_EN: 0
; COMPUTE_PGM_RSRC2:USER_SGPR: 2
; COMPUTE_PGM_RSRC2:TRAP_HANDLER: 0
; COMPUTE_PGM_RSRC2:TGID_X_EN: 1
; COMPUTE_PGM_RSRC2:TGID_Y_EN: 1
; COMPUTE_PGM_RSRC2:TGID_Z_EN: 1
; COMPUTE_PGM_RSRC2:TIDIG_COMP_CNT: 1
	.section	.text._ZL39rocblas_trsm_block_forward_substitutionIddPKdPdLb1ELb1ELb0EEv18rocblas_operation_llT0_T1_lllT2_lllib,"axG",@progbits,_ZL39rocblas_trsm_block_forward_substitutionIddPKdPdLb1ELb1ELb0EEv18rocblas_operation_llT0_T1_lllT2_lllib,comdat
	.globl	_ZL39rocblas_trsm_block_forward_substitutionIddPKdPdLb1ELb1ELb0EEv18rocblas_operation_llT0_T1_lllT2_lllib ; -- Begin function _ZL39rocblas_trsm_block_forward_substitutionIddPKdPdLb1ELb1ELb0EEv18rocblas_operation_llT0_T1_lllT2_lllib
	.p2align	8
	.type	_ZL39rocblas_trsm_block_forward_substitutionIddPKdPdLb1ELb1ELb0EEv18rocblas_operation_llT0_T1_lllT2_lllib,@function
_ZL39rocblas_trsm_block_forward_substitutionIddPKdPdLb1ELb1ELb0EEv18rocblas_operation_llT0_T1_lllT2_lllib: ; @_ZL39rocblas_trsm_block_forward_substitutionIddPKdPdLb1ELb1ELb0EEv18rocblas_operation_llT0_T1_lllT2_lllib
; %bb.0:
	s_load_b64 s[24:25], s[0:1], 0x60
	s_bfe_u32 s2, ttmp6, 0x40014
	s_lshr_b32 s3, ttmp7, 16
	s_add_co_i32 s2, s2, 1
	s_bfe_u32 s5, ttmp6, 0x40008
	s_mul_i32 s4, s3, s2
	s_getreg_b32 s2, hwreg(HW_REG_IB_STS2, 6, 4)
	s_add_co_i32 s5, s5, s4
	s_cmp_eq_u32 s2, 0
	s_mov_b32 s27, 0
	s_cselect_b32 s26, s3, s5
	s_wait_kmcnt 0x0
	s_cmp_ge_u32 s26, s24
	s_cbranch_scc1 .LBB120_27
; %bb.1:
	s_load_b128 s[20:23], s[0:1], 0x48
	v_mov_b32_e32 v1, 0
	v_and_b32_e32 v2, 0x3ff, v0
	s_load_b512 s[4:19], s[0:1], 0x8
	s_bitcmp1_b32 s25, 0
	s_add_nc_u64 s[28:29], s[0:1], 0x68
	v_mov_b32_e32 v3, v1
	v_bfe_u32 v12, v0, 10, 10
	s_mov_b64 s[30:31], src_shared_base
	s_delay_alu instid0(VALU_DEP_1)
	v_lshl_add_u32 v13, v12, 3, 0
	s_wait_kmcnt 0x0
	v_mul_u64_e32 v[4:5], s[22:23], v[2:3]
	s_clause 0x1
	s_load_u16 s33, s[0:1], 0x76
	s_load_b64 s[22:23], s[0:1], 0x58
	s_wait_xcnt 0x0
	s_cselect_b32 s0, -1, 0
	s_bfe_u32 s1, ttmp6, 0x40010
	s_and_b32 s3, ttmp7, 0xffff
	s_add_co_i32 s1, s1, 1
	s_bfe_u32 s25, ttmp6, 0x40004
	s_mul_i32 s1, s3, s1
	s_lshl_b64 s[34:35], s[12:13], 3
	s_add_co_i32 s25, s25, s1
	s_lshl_b64 s[20:21], s[20:21], 3
	s_cmp_eq_u32 s2, 0
	s_add_nc_u64 s[18:19], s[18:19], s[20:21]
	s_cselect_b32 s1, s3, s25
	v_cmp_le_i64_e32 vcc_lo, s[4:5], v[2:3]
	v_cmp_gt_i64_e64 s2, s[4:5], v[2:3]
	s_add_nc_u64 s[12:13], s[4:5], -1
	v_cmp_gt_i64_e64 s25, s[4:5], 0
	s_add_nc_u64 s[10:11], s[10:11], s[34:35]
	v_cmp_gt_i64_e64 s34, s[4:5], 1
	s_wait_kmcnt 0x0
	v_mad_u32 v0, s1, s33, v12
	s_lshl_b32 s1, s33, 3
	s_xor_b32 s36, vcc_lo, -1
	s_add_co_i32 s30, s1, 0
	v_cmp_eq_u64_e64 s1, s[12:13], v[2:3]
	v_lshl_add_u32 v14, v2, 3, s30
	s_delay_alu instid0(VALU_DEP_3) | instskip(SKIP_2) | instid1(VALU_DEP_1)
	v_cmp_gt_i64_e64 s3, s[6:7], v[0:1]
	v_lshl_add_u64 v[4:5], v[4:5], 3, s[18:19]
	s_mov_b64 s[6:7], 1
	v_lshl_add_u64 v[0:1], v[0:1], 3, v[4:5]
	s_and_b32 s35, s3, s2
	s_branch .LBB120_4
.LBB120_2:                              ;   in Loop: Header=BB120_4 Depth=1
	s_or_b32 exec_lo, exec_lo, s18
	global_store_b64 v[4:5], v[6:7], off
.LBB120_3:                              ;   in Loop: Header=BB120_4 Depth=1
	s_wait_xcnt 0x0
	s_or_b32 exec_lo, exec_lo, s37
	s_add_co_i32 s26, s26, 0x10000
	s_delay_alu instid0(SALU_CYCLE_1)
	s_cmp_lt_u32 s26, s24
	s_cbranch_scc0 .LBB120_27
.LBB120_4:                              ; =>This Loop Header: Depth=1
                                        ;     Child Loop BB120_9 Depth 2
                                        ;     Child Loop BB120_21 Depth 2
	s_mul_u64 s[2:3], s[16:17], s[26:27]
	s_and_not1_b32 vcc_lo, exec_lo, s0
	s_lshl_b64 s[2:3], s[2:3], 3
	s_delay_alu instid0(SALU_CYCLE_1)
	s_add_nc_u64 s[2:3], s[10:11], s[2:3]
	s_cbranch_vccz .LBB120_6
; %bb.5:                                ;   in Loop: Header=BB120_4 Depth=1
	s_and_saveexec_b32 s37, s35
	s_cbranch_execz .LBB120_3
	s_branch .LBB120_18
.LBB120_6:                              ;   in Loop: Header=BB120_4 Depth=1
	s_and_not1_b32 vcc_lo, exec_lo, s25
	s_cbranch_vccnz .LBB120_17
; %bb.7:                                ;   in Loop: Header=BB120_4 Depth=1
	v_mul_u64_e32 v[4:5], s[14:15], v[2:3]
	v_mul_hi_u32_u24_e32 v7, s6, v2
	v_mul_u32_u24_e32 v6, s6, v2
	v_mov_b32_e32 v8, v12
	s_delay_alu instid0(VALU_DEP_4) | instskip(SKIP_1) | instid1(VALU_DEP_1)
	v_lshl_add_u64 v[4:5], v[4:5], 3, s[2:3]
	s_mov_b32 s2, s33
	v_lshl_add_u64 v[6:7], v[6:7], 3, v[4:5]
	s_branch .LBB120_9
.LBB120_8:                              ;   in Loop: Header=BB120_9 Depth=2
	s_or_b32 exec_lo, exec_lo, s14
	s_ashr_i32 s3, s2, 31
	v_add_nc_u32_e32 v8, s33, v8
	v_cmp_le_i64_e64 s3, s[4:5], s[2:3]
	s_add_co_i32 s2, s2, s33
	s_and_b32 vcc_lo, exec_lo, s3
	s_cbranch_vccnz .LBB120_17
.LBB120_9:                              ;   Parent Loop BB120_4 Depth=1
                                        ; =>  This Inner Loop Header: Depth=2
	v_cmp_gt_i32_e32 vcc_lo, v2, v8
	s_mov_b32 s3, 0
                                        ; implicit-def: $vgpr10_vgpr11
	s_and_b32 s14, s36, vcc_lo
	s_delay_alu instid0(SALU_CYCLE_1) | instskip(NEXT) | instid1(SALU_CYCLE_1)
	s_and_saveexec_b32 s15, s14
	s_xor_b32 s14, exec_lo, s15
	s_cbranch_execnz .LBB120_12
; %bb.10:                               ;   in Loop: Header=BB120_9 Depth=2
	s_or_saveexec_b32 s14, s14
	v_mov_b32_e32 v9, v8
	s_xor_b32 exec_lo, exec_lo, s14
	s_cbranch_execnz .LBB120_13
.LBB120_11:                             ;   in Loop: Header=BB120_9 Depth=2
	s_or_b32 exec_lo, exec_lo, s14
	s_and_saveexec_b32 s14, s3
	s_cbranch_execz .LBB120_8
	s_branch .LBB120_16
.LBB120_12:                             ;   in Loop: Header=BB120_9 Depth=2
	v_ashrrev_i32_e32 v9, 31, v8
	s_mov_b32 s3, exec_lo
	s_wait_loadcnt 0x0
	s_delay_alu instid0(VALU_DEP_1) | instskip(NEXT) | instid1(VALU_DEP_1)
	v_mul_u64_e32 v[10:11], s[6:7], v[8:9]
	v_lshl_add_u64 v[10:11], v[10:11], 3, v[4:5]
	global_load_b64 v[10:11], v[10:11], off
	s_wait_xcnt 0x0
	s_or_saveexec_b32 s14, s14
	v_mov_b32_e32 v9, v8
	s_xor_b32 exec_lo, exec_lo, s14
	s_cbranch_execz .LBB120_11
.LBB120_13:                             ;   in Loop: Header=BB120_9 Depth=2
	v_cmp_eq_u32_e32 vcc_lo, v2, v8
	s_mov_b32 s18, s3
                                        ; implicit-def: $vgpr10_vgpr11
	s_and_b32 s19, s36, vcc_lo
	s_delay_alu instid0(SALU_CYCLE_1)
	s_and_saveexec_b32 s15, s19
	s_cbranch_execz .LBB120_15
; %bb.14:                               ;   in Loop: Header=BB120_9 Depth=2
	s_wait_loadcnt 0x0
	global_load_b64 v[10:11], v[6:7], off
	s_or_b32 s18, s3, exec_lo
	s_wait_loadcnt 0x0
	v_div_scale_f64 v[16:17], null, v[10:11], v[10:11], 1.0
	s_delay_alu instid0(VALU_DEP_1) | instskip(SKIP_1) | instid1(TRANS32_DEP_1)
	v_rcp_f64_e32 v[18:19], v[16:17]
	v_nop
	v_fma_f64 v[20:21], -v[16:17], v[18:19], 1.0
	s_delay_alu instid0(VALU_DEP_1) | instskip(NEXT) | instid1(VALU_DEP_1)
	v_fmac_f64_e32 v[18:19], v[18:19], v[20:21]
	v_fma_f64 v[20:21], -v[16:17], v[18:19], 1.0
	s_delay_alu instid0(VALU_DEP_1) | instskip(SKIP_1) | instid1(VALU_DEP_1)
	v_fmac_f64_e32 v[18:19], v[18:19], v[20:21]
	v_div_scale_f64 v[20:21], vcc_lo, 1.0, v[10:11], 1.0
	v_mul_f64_e32 v[22:23], v[20:21], v[18:19]
	s_delay_alu instid0(VALU_DEP_1) | instskip(NEXT) | instid1(VALU_DEP_1)
	v_fma_f64 v[16:17], -v[16:17], v[22:23], v[20:21]
	v_div_fmas_f64 v[16:17], v[16:17], v[18:19], v[22:23]
	s_delay_alu instid0(VALU_DEP_1)
	v_div_fixup_f64 v[10:11], v[16:17], v[10:11], 1.0
.LBB120_15:                             ;   in Loop: Header=BB120_9 Depth=2
	s_wait_xcnt 0x0
	s_or_b32 exec_lo, exec_lo, s15
	v_mov_b32_e32 v9, v2
	s_and_not1_b32 s3, s3, exec_lo
	s_and_b32 s15, s18, exec_lo
	s_delay_alu instid0(SALU_CYCLE_1)
	s_or_b32 s3, s3, s15
	s_or_b32 exec_lo, exec_lo, s14
	s_and_saveexec_b32 s14, s3
	s_cbranch_execz .LBB120_8
.LBB120_16:                             ;   in Loop: Header=BB120_9 Depth=2
	s_load_b32 s3, s[28:29], 0xc
	s_wait_kmcnt 0x0
	s_and_b32 s3, s3, 0xffff
	s_delay_alu instid0(SALU_CYCLE_1) | instskip(NEXT) | instid1(VALU_DEP_1)
	v_mul_lo_u32 v9, v9, s3
	v_lshl_add_u32 v9, v9, 3, v14
	s_wait_loadcnt 0x0
	ds_store_b64 v9, v[10:11]
	s_branch .LBB120_8
.LBB120_17:                             ;   in Loop: Header=BB120_4 Depth=1
	s_load_b32 s2, s[28:29], 0xc
	s_mov_b32 s7, s27
	s_mov_b64 s[14:15], 1
	s_wait_kmcnt 0x0
	s_and_b32 s6, s2, 0xffff
	s_mov_b64 s[2:3], s[30:31]
	s_and_saveexec_b32 s37, s35
	s_cbranch_execz .LBB120_3
.LBB120_18:                             ;   in Loop: Header=BB120_4 Depth=1
	s_mul_u64 s[18:19], s[22:23], s[26:27]
	s_and_not1_b32 vcc_lo, exec_lo, s34
	v_lshl_add_u64 v[4:5], s[18:19], 3, v[0:1]
	global_load_b64 v[6:7], v[4:5], off
	s_wait_loadcnt 0x0
	v_mul_f64_e32 v[6:7], s[8:9], v[6:7]
	s_cbranch_vccnz .LBB120_25
; %bb.19:                               ;   in Loop: Header=BB120_4 Depth=1
	s_add_nc_u64 s[18:19], s[6:7], s[14:15]
	v_mul_u64_e32 v[10:11], s[14:15], v[2:3]
	v_mul_u64_e32 v[8:9], s[18:19], v[2:3]
	s_lshl_b64 s[18:19], s[6:7], 3
	s_mov_b64 s[20:21], 0
	s_delay_alu instid0(VALU_DEP_2) | instskip(NEXT) | instid1(VALU_DEP_2)
	v_lshl_add_u64 v[10:11], v[10:11], 3, s[2:3]
	v_lshl_add_u64 v[8:9], v[8:9], 3, s[2:3]
	s_branch .LBB120_21
.LBB120_20:                             ;   in Loop: Header=BB120_21 Depth=2
	s_wait_xcnt 0x0
	s_or_b32 exec_lo, exec_lo, s38
	v_add_nc_u64_e32 v[10:11], s[18:19], v[10:11]
	s_add_nc_u64 s[20:21], s[20:21], 1
	s_delay_alu instid0(SALU_CYCLE_1)
	s_cmp_eq_u64 s[12:13], s[20:21]
	s_cbranch_scc1 .LBB120_25
.LBB120_21:                             ;   Parent Loop BB120_4 Depth=1
                                        ; =>  This Inner Loop Header: Depth=2
	s_mov_b32 s38, exec_lo
	s_wait_dscnt 0x0
	s_barrier_signal -1
	s_barrier_wait -1
	s_wait_xcnt 0x0
	v_cmpx_eq_u64_e64 s[20:21], v[2:3]
	s_cbranch_execz .LBB120_23
; %bb.22:                               ;   in Loop: Header=BB120_21 Depth=2
	flat_load_b64 v[16:17], v[8:9]
	s_wait_loadcnt_dscnt 0x0
	v_div_scale_f64 v[18:19], null, v[16:17], v[16:17], 1.0
	v_div_scale_f64 v[24:25], vcc_lo, 1.0, v[16:17], 1.0
	s_delay_alu instid0(VALU_DEP_2) | instskip(SKIP_1) | instid1(TRANS32_DEP_1)
	v_rcp_f64_e32 v[20:21], v[18:19]
	v_nop
	v_fma_f64 v[22:23], -v[18:19], v[20:21], 1.0
	s_delay_alu instid0(VALU_DEP_1) | instskip(NEXT) | instid1(VALU_DEP_1)
	v_fmac_f64_e32 v[20:21], v[20:21], v[22:23]
	v_fma_f64 v[22:23], -v[18:19], v[20:21], 1.0
	s_delay_alu instid0(VALU_DEP_1) | instskip(NEXT) | instid1(VALU_DEP_1)
	v_fmac_f64_e32 v[20:21], v[20:21], v[22:23]
	v_mul_f64_e32 v[22:23], v[24:25], v[20:21]
	s_delay_alu instid0(VALU_DEP_1) | instskip(NEXT) | instid1(VALU_DEP_1)
	v_fma_f64 v[18:19], -v[18:19], v[22:23], v[24:25]
	v_div_fmas_f64 v[18:19], v[18:19], v[20:21], v[22:23]
	s_delay_alu instid0(VALU_DEP_1) | instskip(NEXT) | instid1(VALU_DEP_1)
	v_div_fixup_f64 v[18:19], v[18:19], v[16:17], 1.0
	v_dual_cndmask_b32 v17, v19, v17, s0 :: v_dual_cndmask_b32 v16, v18, v16, s0
	s_delay_alu instid0(VALU_DEP_1)
	v_mul_f64_e32 v[6:7], v[6:7], v[16:17]
	ds_store_b64 v13, v[6:7]
.LBB120_23:                             ;   in Loop: Header=BB120_21 Depth=2
	s_wait_xcnt 0x0
	s_or_b32 exec_lo, exec_lo, s38
	s_delay_alu instid0(SALU_CYCLE_1)
	s_mov_b32 s38, exec_lo
	s_wait_dscnt 0x0
	s_barrier_signal -1
	s_barrier_wait -1
	v_cmpx_lt_u64_e64 s[20:21], v[2:3]
	s_cbranch_execz .LBB120_20
; %bb.24:                               ;   in Loop: Header=BB120_21 Depth=2
	flat_load_b64 v[16:17], v[10:11]
	ds_load_b64 v[18:19], v13
	s_wait_loadcnt_dscnt 0x0
	v_fma_f64 v[6:7], -v[16:17], v[18:19], v[6:7]
	s_branch .LBB120_20
.LBB120_25:                             ;   in Loop: Header=BB120_4 Depth=1
	s_wait_xcnt 0x0
	s_and_saveexec_b32 s18, s1
	s_cbranch_execz .LBB120_2
; %bb.26:                               ;   in Loop: Header=BB120_4 Depth=1
	s_add_nc_u64 s[20:21], s[6:7], s[14:15]
	s_delay_alu instid0(SALU_CYCLE_1) | instskip(NEXT) | instid1(VALU_DEP_1)
	v_mul_u64_e32 v[8:9], s[20:21], v[2:3]
	v_lshl_add_u64 v[8:9], v[8:9], 3, s[2:3]
	flat_load_b64 v[8:9], v[8:9]
	s_wait_loadcnt_dscnt 0x0
	v_div_scale_f64 v[10:11], null, v[8:9], v[8:9], 1.0
	v_div_scale_f64 v[20:21], vcc_lo, 1.0, v[8:9], 1.0
	s_delay_alu instid0(VALU_DEP_2) | instskip(SKIP_1) | instid1(TRANS32_DEP_1)
	v_rcp_f64_e32 v[16:17], v[10:11]
	v_nop
	v_fma_f64 v[18:19], -v[10:11], v[16:17], 1.0
	s_delay_alu instid0(VALU_DEP_1) | instskip(NEXT) | instid1(VALU_DEP_1)
	v_fmac_f64_e32 v[16:17], v[16:17], v[18:19]
	v_fma_f64 v[18:19], -v[10:11], v[16:17], 1.0
	s_delay_alu instid0(VALU_DEP_1) | instskip(NEXT) | instid1(VALU_DEP_1)
	v_fmac_f64_e32 v[16:17], v[16:17], v[18:19]
	v_mul_f64_e32 v[18:19], v[20:21], v[16:17]
	s_delay_alu instid0(VALU_DEP_1) | instskip(NEXT) | instid1(VALU_DEP_1)
	v_fma_f64 v[10:11], -v[10:11], v[18:19], v[20:21]
	v_div_fmas_f64 v[10:11], v[10:11], v[16:17], v[18:19]
	s_delay_alu instid0(VALU_DEP_1) | instskip(SKIP_1) | instid1(VALU_DEP_1)
	v_div_fixup_f64 v[10:11], v[10:11], v[8:9], 1.0
	s_wait_xcnt 0x0
	v_dual_cndmask_b32 v9, v11, v9, s0 :: v_dual_cndmask_b32 v8, v10, v8, s0
	s_delay_alu instid0(VALU_DEP_1)
	v_mul_f64_e32 v[6:7], v[6:7], v[8:9]
	s_branch .LBB120_2
.LBB120_27:
	s_endpgm
	.section	.rodata,"a",@progbits
	.p2align	6, 0x0
	.amdhsa_kernel _ZL39rocblas_trsm_block_forward_substitutionIddPKdPdLb1ELb1ELb0EEv18rocblas_operation_llT0_T1_lllT2_lllib
		.amdhsa_group_segment_fixed_size 0
		.amdhsa_private_segment_fixed_size 0
		.amdhsa_kernarg_size 360
		.amdhsa_user_sgpr_count 2
		.amdhsa_user_sgpr_dispatch_ptr 0
		.amdhsa_user_sgpr_queue_ptr 0
		.amdhsa_user_sgpr_kernarg_segment_ptr 1
		.amdhsa_user_sgpr_dispatch_id 0
		.amdhsa_user_sgpr_kernarg_preload_length 0
		.amdhsa_user_sgpr_kernarg_preload_offset 0
		.amdhsa_user_sgpr_private_segment_size 0
		.amdhsa_wavefront_size32 1
		.amdhsa_uses_dynamic_stack 0
		.amdhsa_enable_private_segment 0
		.amdhsa_system_sgpr_workgroup_id_x 1
		.amdhsa_system_sgpr_workgroup_id_y 1
		.amdhsa_system_sgpr_workgroup_id_z 1
		.amdhsa_system_sgpr_workgroup_info 0
		.amdhsa_system_vgpr_workitem_id 1
		.amdhsa_next_free_vgpr 26
		.amdhsa_next_free_sgpr 39
		.amdhsa_named_barrier_count 0
		.amdhsa_reserve_vcc 1
		.amdhsa_float_round_mode_32 0
		.amdhsa_float_round_mode_16_64 0
		.amdhsa_float_denorm_mode_32 3
		.amdhsa_float_denorm_mode_16_64 3
		.amdhsa_fp16_overflow 0
		.amdhsa_memory_ordered 1
		.amdhsa_forward_progress 1
		.amdhsa_inst_pref_size 12
		.amdhsa_round_robin_scheduling 0
		.amdhsa_exception_fp_ieee_invalid_op 0
		.amdhsa_exception_fp_denorm_src 0
		.amdhsa_exception_fp_ieee_div_zero 0
		.amdhsa_exception_fp_ieee_overflow 0
		.amdhsa_exception_fp_ieee_underflow 0
		.amdhsa_exception_fp_ieee_inexact 0
		.amdhsa_exception_int_div_zero 0
	.end_amdhsa_kernel
	.section	.text._ZL39rocblas_trsm_block_forward_substitutionIddPKdPdLb1ELb1ELb0EEv18rocblas_operation_llT0_T1_lllT2_lllib,"axG",@progbits,_ZL39rocblas_trsm_block_forward_substitutionIddPKdPdLb1ELb1ELb0EEv18rocblas_operation_llT0_T1_lllT2_lllib,comdat
.Lfunc_end120:
	.size	_ZL39rocblas_trsm_block_forward_substitutionIddPKdPdLb1ELb1ELb0EEv18rocblas_operation_llT0_T1_lllT2_lllib, .Lfunc_end120-_ZL39rocblas_trsm_block_forward_substitutionIddPKdPdLb1ELb1ELb0EEv18rocblas_operation_llT0_T1_lllT2_lllib
                                        ; -- End function
	.set _ZL39rocblas_trsm_block_forward_substitutionIddPKdPdLb1ELb1ELb0EEv18rocblas_operation_llT0_T1_lllT2_lllib.num_vgpr, 26
	.set _ZL39rocblas_trsm_block_forward_substitutionIddPKdPdLb1ELb1ELb0EEv18rocblas_operation_llT0_T1_lllT2_lllib.num_agpr, 0
	.set _ZL39rocblas_trsm_block_forward_substitutionIddPKdPdLb1ELb1ELb0EEv18rocblas_operation_llT0_T1_lllT2_lllib.numbered_sgpr, 39
	.set _ZL39rocblas_trsm_block_forward_substitutionIddPKdPdLb1ELb1ELb0EEv18rocblas_operation_llT0_T1_lllT2_lllib.num_named_barrier, 0
	.set _ZL39rocblas_trsm_block_forward_substitutionIddPKdPdLb1ELb1ELb0EEv18rocblas_operation_llT0_T1_lllT2_lllib.private_seg_size, 0
	.set _ZL39rocblas_trsm_block_forward_substitutionIddPKdPdLb1ELb1ELb0EEv18rocblas_operation_llT0_T1_lllT2_lllib.uses_vcc, 1
	.set _ZL39rocblas_trsm_block_forward_substitutionIddPKdPdLb1ELb1ELb0EEv18rocblas_operation_llT0_T1_lllT2_lllib.uses_flat_scratch, 0
	.set _ZL39rocblas_trsm_block_forward_substitutionIddPKdPdLb1ELb1ELb0EEv18rocblas_operation_llT0_T1_lllT2_lllib.has_dyn_sized_stack, 0
	.set _ZL39rocblas_trsm_block_forward_substitutionIddPKdPdLb1ELb1ELb0EEv18rocblas_operation_llT0_T1_lllT2_lllib.has_recursion, 0
	.set _ZL39rocblas_trsm_block_forward_substitutionIddPKdPdLb1ELb1ELb0EEv18rocblas_operation_llT0_T1_lllT2_lllib.has_indirect_call, 0
	.section	.AMDGPU.csdata,"",@progbits
; Kernel info:
; codeLenInByte = 1444
; TotalNumSgprs: 41
; NumVgprs: 26
; ScratchSize: 0
; MemoryBound: 1
; FloatMode: 240
; IeeeMode: 1
; LDSByteSize: 0 bytes/workgroup (compile time only)
; SGPRBlocks: 0
; VGPRBlocks: 1
; NumSGPRsForWavesPerEU: 41
; NumVGPRsForWavesPerEU: 26
; NamedBarCnt: 0
; Occupancy: 16
; WaveLimiterHint : 0
; COMPUTE_PGM_RSRC2:SCRATCH_EN: 0
; COMPUTE_PGM_RSRC2:USER_SGPR: 2
; COMPUTE_PGM_RSRC2:TRAP_HANDLER: 0
; COMPUTE_PGM_RSRC2:TGID_X_EN: 1
; COMPUTE_PGM_RSRC2:TGID_Y_EN: 1
; COMPUTE_PGM_RSRC2:TGID_Z_EN: 1
; COMPUTE_PGM_RSRC2:TIDIG_COMP_CNT: 1
	.section	.text._ZL40rocblas_trsm_block_backward_substitutionIddPKdPdLb1ELb1ELb0EEv18rocblas_operation_llT0_T1_lllT2_lllib,"axG",@progbits,_ZL40rocblas_trsm_block_backward_substitutionIddPKdPdLb1ELb1ELb0EEv18rocblas_operation_llT0_T1_lllT2_lllib,comdat
	.globl	_ZL40rocblas_trsm_block_backward_substitutionIddPKdPdLb1ELb1ELb0EEv18rocblas_operation_llT0_T1_lllT2_lllib ; -- Begin function _ZL40rocblas_trsm_block_backward_substitutionIddPKdPdLb1ELb1ELb0EEv18rocblas_operation_llT0_T1_lllT2_lllib
	.p2align	8
	.type	_ZL40rocblas_trsm_block_backward_substitutionIddPKdPdLb1ELb1ELb0EEv18rocblas_operation_llT0_T1_lllT2_lllib,@function
_ZL40rocblas_trsm_block_backward_substitutionIddPKdPdLb1ELb1ELb0EEv18rocblas_operation_llT0_T1_lllT2_lllib: ; @_ZL40rocblas_trsm_block_backward_substitutionIddPKdPdLb1ELb1ELb0EEv18rocblas_operation_llT0_T1_lllT2_lllib
; %bb.0:
	s_load_b64 s[20:21], s[0:1], 0x60
	s_bfe_u32 s2, ttmp6, 0x40014
	s_lshr_b32 s4, ttmp7, 16
	s_add_co_i32 s2, s2, 1
	s_bfe_u32 s5, ttmp6, 0x40008
	s_mul_i32 s2, s4, s2
	s_getreg_b32 s3, hwreg(HW_REG_IB_STS2, 6, 4)
	s_add_co_i32 s5, s5, s2
	s_cmp_eq_u32 s3, 0
	s_mov_b32 s23, 0
	s_cselect_b32 s22, s4, s5
	s_wait_kmcnt 0x0
	s_cmp_ge_u32 s22, s20
	s_cbranch_scc1 .LBB121_29
; %bb.1:
	s_clause 0x2
	s_load_b512 s[4:19], s[0:1], 0x8
	s_load_b128 s[24:27], s[0:1], 0x48
	s_load_u16 s33, s[0:1], 0x76
	s_bitcmp1_b32 s21, 0
	s_mov_b64 s[28:29], src_shared_base
	s_cselect_b32 s2, -1, 0
	s_bfe_u32 s21, ttmp6, 0x40010
	s_and_b32 s28, ttmp7, 0xffff
	s_add_co_i32 s21, s21, 1
	s_bfe_u32 s30, ttmp6, 0x40004
	s_mul_i32 s21, s28, s21
	v_bfe_u32 v18, v0, 10, 10
	s_add_co_i32 s21, s30, s21
	v_and_b32_e32 v0, 0x3ff, v0
	v_mov_b32_e32 v3, 0
	s_delay_alu instid0(VALU_DEP_3)
	v_lshl_add_u32 v19, v18, 3, 0
	s_wait_kmcnt 0x0
	s_lshl_b64 s[30:31], s[12:13], 3
	s_lshl_b64 s[34:35], s[24:25], 3
	s_cmp_eq_u32 s3, 0
	s_load_b64 s[12:13], s[0:1], 0x58
	s_cselect_b32 s3, s28, s21
	s_add_nc_u64 s[18:19], s[18:19], s[34:35]
	v_mad_u32 v2, s3, s33, v18
	s_add_nc_u64 s[24:25], s[0:1], 0x68
	s_lshl_b32 s3, s33, 3
	v_cmp_gt_i64_e64 s38, s[4:5], 0
	v_cmp_gt_i64_e64 s39, s[4:5], 1
	s_wait_xcnt 0x0
	v_cmp_eq_u32_e64 s0, 0, v0
	s_delay_alu instid0(VALU_DEP_4)
	v_mul_u64_e32 v[8:9], s[26:27], v[2:3]
	v_cmp_gt_i64_e32 vcc_lo, s[6:7], v[2:3]
	v_dual_mov_b32 v1, v3 :: v_dual_lshlrev_b32 v2, 3, v0
	s_add_co_i32 s26, s3, 0
	s_mov_b32 s27, s29
	v_lshl_add_u32 v20, v0, 3, s26
	s_add_nc_u64 s[28:29], s[4:5], -1
	v_mul_u64_e32 v[4:5], s[14:15], v[0:1]
	v_lshlrev_b64_e32 v[6:7], 3, v[0:1]
	v_cmp_le_i64_e64 s21, s[4:5], v[0:1]
	v_cmp_gt_i64_e64 s1, s[4:5], v[0:1]
	s_add_nc_u64 s[6:7], s[10:11], s[30:31]
	s_lshl_b64 s[10:11], s[28:29], 3
	s_xor_b32 s41, s21, -1
	s_and_b32 s40, vcc_lo, s1
	v_lshl_add_u64 v[8:9], v[8:9], 3, s[18:19]
	s_delay_alu instid0(VALU_DEP_1)
	v_add_nc_u64_e32 v[8:9], v[8:9], v[6:7]
	s_branch .LBB121_4
.LBB121_2:                              ;   in Loop: Header=BB121_4 Depth=1
	s_or_b32 exec_lo, exec_lo, s34
	global_store_b64 v[10:11], v[12:13], off
.LBB121_3:                              ;   in Loop: Header=BB121_4 Depth=1
	s_wait_xcnt 0x0
	s_or_b32 exec_lo, exec_lo, s3
	s_add_co_i32 s22, s22, 0x10000
	s_delay_alu instid0(SALU_CYCLE_1)
	s_cmp_lt_u32 s22, s20
	s_cbranch_scc0 .LBB121_29
.LBB121_4:                              ; =>This Loop Header: Depth=1
                                        ;     Child Loop BB121_8 Depth 2
                                        ;     Child Loop BB121_23 Depth 2
	s_mul_u64 s[18:19], s[16:17], s[22:23]
	s_and_not1_b32 vcc_lo, exec_lo, s2
	s_lshl_b64 s[18:19], s[18:19], 3
	s_delay_alu instid0(SALU_CYCLE_1)
	s_add_nc_u64 s[18:19], s[6:7], s[18:19]
	s_cbranch_vccnz .LBB121_18
; %bb.5:                                ;   in Loop: Header=BB121_4 Depth=1
	s_and_not1_b32 vcc_lo, exec_lo, s38
	s_cbranch_vccnz .LBB121_19
; %bb.6:                                ;   in Loop: Header=BB121_4 Depth=1
	v_add_nc_u64_e32 v[10:11], s[18:19], v[2:3]
	v_mov_b32_e32 v14, v18
	s_mov_b32 s18, s33
	s_delay_alu instid0(VALU_DEP_2)
	v_lshl_add_u64 v[12:13], v[4:5], 3, v[10:11]
	s_branch .LBB121_8
.LBB121_7:                              ;   in Loop: Header=BB121_8 Depth=2
	s_or_b32 exec_lo, exec_lo, s19
	s_ashr_i32 s19, s18, 31
	v_add_nc_u32_e32 v14, s33, v14
	v_cmp_le_i64_e64 s3, s[4:5], s[18:19]
	s_add_co_i32 s18, s18, s33
	s_and_b32 vcc_lo, exec_lo, s3
	s_cbranch_vccnz .LBB121_19
.LBB121_8:                              ;   Parent Loop BB121_4 Depth=1
                                        ; =>  This Inner Loop Header: Depth=2
	s_mov_b32 s3, 0
	s_mov_b32 s30, s21
                                        ; implicit-def: $vgpr16_vgpr17
	s_and_saveexec_b32 s19, s1
	s_cbranch_execnz .LBB121_11
; %bb.9:                                ;   in Loop: Header=BB121_8 Depth=2
	s_or_b32 exec_lo, exec_lo, s19
	v_mov_b32_e32 v15, v14
	s_and_saveexec_b32 s19, s30
	s_cbranch_execnz .LBB121_14
.LBB121_10:                             ;   in Loop: Header=BB121_8 Depth=2
	s_or_b32 exec_lo, exec_lo, s19
	s_and_saveexec_b32 s19, s3
	s_cbranch_execz .LBB121_7
	s_branch .LBB121_17
.LBB121_11:                             ;   in Loop: Header=BB121_8 Depth=2
	v_ashrrev_i32_e32 v15, 31, v14
	v_cmp_lt_i32_e64 s3, v0, v14
	s_mov_b32 s30, -1
                                        ; implicit-def: $vgpr16_vgpr17
	v_cmp_gt_i64_e32 vcc_lo, s[4:5], v[14:15]
	s_and_b32 s34, s3, vcc_lo
	s_mov_b32 s3, 0
	s_and_saveexec_b32 s31, s34
	s_cbranch_execz .LBB121_13
; %bb.12:                               ;   in Loop: Header=BB121_8 Depth=2
	s_wait_loadcnt 0x0
	v_mul_u64_e32 v[16:17], s[14:15], v[14:15]
	s_mov_b32 s3, exec_lo
	s_xor_b32 s30, exec_lo, -1
	s_delay_alu instid0(VALU_DEP_1)
	v_lshl_add_u64 v[16:17], v[16:17], 3, v[10:11]
	global_load_b64 v[16:17], v[16:17], off
.LBB121_13:                             ;   in Loop: Header=BB121_8 Depth=2
	s_wait_xcnt 0x0
	s_or_b32 exec_lo, exec_lo, s31
	s_delay_alu instid0(SALU_CYCLE_1)
	s_and_not1_b32 s31, s21, exec_lo
	s_and_b32 s30, s30, exec_lo
	s_and_b32 s3, s3, exec_lo
	s_or_b32 s30, s31, s30
	s_or_b32 exec_lo, exec_lo, s19
	v_mov_b32_e32 v15, v14
	s_and_saveexec_b32 s19, s30
	s_cbranch_execz .LBB121_10
.LBB121_14:                             ;   in Loop: Header=BB121_8 Depth=2
	v_cmp_eq_u32_e32 vcc_lo, v0, v14
	s_mov_b32 s31, s3
                                        ; implicit-def: $vgpr16_vgpr17
	s_and_b32 s34, s41, vcc_lo
	s_delay_alu instid0(SALU_CYCLE_1)
	s_and_saveexec_b32 s30, s34
	s_cbranch_execz .LBB121_16
; %bb.15:                               ;   in Loop: Header=BB121_8 Depth=2
	s_wait_loadcnt 0x0
	global_load_b64 v[16:17], v[12:13], off
	s_or_b32 s31, s3, exec_lo
	s_wait_loadcnt 0x0
	v_div_scale_f64 v[22:23], null, v[16:17], v[16:17], 1.0
	s_delay_alu instid0(VALU_DEP_1) | instskip(SKIP_1) | instid1(TRANS32_DEP_1)
	v_rcp_f64_e32 v[24:25], v[22:23]
	v_nop
	v_fma_f64 v[26:27], -v[22:23], v[24:25], 1.0
	s_delay_alu instid0(VALU_DEP_1) | instskip(NEXT) | instid1(VALU_DEP_1)
	v_fmac_f64_e32 v[24:25], v[24:25], v[26:27]
	v_fma_f64 v[26:27], -v[22:23], v[24:25], 1.0
	s_delay_alu instid0(VALU_DEP_1) | instskip(SKIP_1) | instid1(VALU_DEP_1)
	v_fmac_f64_e32 v[24:25], v[24:25], v[26:27]
	v_div_scale_f64 v[26:27], vcc_lo, 1.0, v[16:17], 1.0
	v_mul_f64_e32 v[28:29], v[26:27], v[24:25]
	s_delay_alu instid0(VALU_DEP_1) | instskip(NEXT) | instid1(VALU_DEP_1)
	v_fma_f64 v[22:23], -v[22:23], v[28:29], v[26:27]
	v_div_fmas_f64 v[22:23], v[22:23], v[24:25], v[28:29]
	s_delay_alu instid0(VALU_DEP_1)
	v_div_fixup_f64 v[16:17], v[22:23], v[16:17], 1.0
.LBB121_16:                             ;   in Loop: Header=BB121_8 Depth=2
	s_wait_xcnt 0x0
	s_or_b32 exec_lo, exec_lo, s30
	v_mov_b32_e32 v15, v0
	s_and_not1_b32 s3, s3, exec_lo
	s_and_b32 s30, s31, exec_lo
	s_delay_alu instid0(SALU_CYCLE_1)
	s_or_b32 s3, s3, s30
	s_or_b32 exec_lo, exec_lo, s19
	s_and_saveexec_b32 s19, s3
	s_cbranch_execz .LBB121_7
.LBB121_17:                             ;   in Loop: Header=BB121_8 Depth=2
	s_load_b32 s3, s[24:25], 0xc
	s_wait_kmcnt 0x0
	s_and_b32 s3, s3, 0xffff
	s_delay_alu instid0(SALU_CYCLE_1) | instskip(NEXT) | instid1(VALU_DEP_1)
	v_mul_lo_u32 v15, v15, s3
	v_lshl_add_u32 v15, v15, 3, v20
	s_wait_loadcnt 0x0
	ds_store_b64 v15, v[16:17]
	s_branch .LBB121_7
.LBB121_18:                             ;   in Loop: Header=BB121_4 Depth=1
	s_mov_b64 s[30:31], s[14:15]
	s_and_saveexec_b32 s3, s40
	s_cbranch_execz .LBB121_3
	s_branch .LBB121_20
.LBB121_19:                             ;   in Loop: Header=BB121_4 Depth=1
	s_load_b32 s3, s[24:25], 0xc
	s_mov_b32 s31, s23
	s_mov_b64 s[18:19], s[26:27]
	s_wait_kmcnt 0x0
	s_and_b32 s30, s3, 0xffff
	s_and_saveexec_b32 s3, s40
	s_cbranch_execz .LBB121_3
.LBB121_20:                             ;   in Loop: Header=BB121_4 Depth=1
	s_wait_kmcnt 0x0
	s_mul_u64 s[34:35], s[12:13], s[22:23]
	s_and_not1_b32 vcc_lo, exec_lo, s39
	v_lshl_add_u64 v[10:11], s[34:35], 3, v[8:9]
	global_load_b64 v[12:13], v[10:11], off
	s_wait_loadcnt 0x0
	v_mul_f64_e32 v[12:13], s[8:9], v[12:13]
	s_cbranch_vccnz .LBB121_27
; %bb.21:                               ;   in Loop: Header=BB121_4 Depth=1
	v_mad_nc_u64_u32 v[16:17], v0, s30, v[0:1]
	v_add_nc_u64_e32 v[14:15], s[18:19], v[6:7]
	s_mul_i32 s34, s11, s30
	s_mul_i32 s35, s10, s31
	s_mov_b64 s[36:37], s[28:29]
	s_delay_alu instid0(VALU_DEP_1) | instskip(NEXT) | instid1(VALU_DEP_3)
	v_mad_nc_u64_u32 v[14:15], s10, s30, v[14:15]
	v_mad_u32 v17, v0, s31, v17
	s_delay_alu instid0(VALU_DEP_2) | instskip(SKIP_1) | instid1(SALU_CYCLE_1)
	v_add3_u32 v15, s35, s34, v15
	s_lshl_b64 s[34:35], s[30:31], 3
	s_sub_nc_u64 s[34:35], 0, s[34:35]
	s_delay_alu instid0(VALU_DEP_2)
	v_lshl_add_u64 v[16:17], v[16:17], 3, s[18:19]
	s_branch .LBB121_23
.LBB121_22:                             ;   in Loop: Header=BB121_23 Depth=2
	s_wait_xcnt 0x0
	s_or_b32 exec_lo, exec_lo, s42
	s_add_nc_u64 s[42:43], s[36:37], 1
	v_add_nc_u64_e32 v[14:15], s[34:35], v[14:15]
	v_cmp_lt_u64_e64 s42, s[42:43], 3
	s_add_nc_u64 s[36:37], s[36:37], -1
	s_and_b32 vcc_lo, exec_lo, s42
	s_cbranch_vccnz .LBB121_27
.LBB121_23:                             ;   Parent Loop BB121_4 Depth=1
                                        ; =>  This Inner Loop Header: Depth=2
	s_mov_b32 s42, exec_lo
	s_wait_dscnt 0x0
	s_barrier_signal -1
	s_barrier_wait -1
	s_wait_xcnt 0x0
	v_cmpx_eq_u64_e64 s[36:37], v[0:1]
	s_cbranch_execz .LBB121_25
; %bb.24:                               ;   in Loop: Header=BB121_23 Depth=2
	flat_load_b64 v[22:23], v[16:17]
	s_wait_loadcnt_dscnt 0x0
	v_div_scale_f64 v[24:25], null, v[22:23], v[22:23], 1.0
	v_div_scale_f64 v[30:31], vcc_lo, 1.0, v[22:23], 1.0
	s_delay_alu instid0(VALU_DEP_2) | instskip(SKIP_1) | instid1(TRANS32_DEP_1)
	v_rcp_f64_e32 v[26:27], v[24:25]
	v_nop
	v_fma_f64 v[28:29], -v[24:25], v[26:27], 1.0
	s_delay_alu instid0(VALU_DEP_1) | instskip(NEXT) | instid1(VALU_DEP_1)
	v_fmac_f64_e32 v[26:27], v[26:27], v[28:29]
	v_fma_f64 v[28:29], -v[24:25], v[26:27], 1.0
	s_delay_alu instid0(VALU_DEP_1) | instskip(NEXT) | instid1(VALU_DEP_1)
	v_fmac_f64_e32 v[26:27], v[26:27], v[28:29]
	v_mul_f64_e32 v[28:29], v[30:31], v[26:27]
	s_delay_alu instid0(VALU_DEP_1) | instskip(NEXT) | instid1(VALU_DEP_1)
	v_fma_f64 v[24:25], -v[24:25], v[28:29], v[30:31]
	v_div_fmas_f64 v[24:25], v[24:25], v[26:27], v[28:29]
	s_delay_alu instid0(VALU_DEP_1) | instskip(NEXT) | instid1(VALU_DEP_1)
	v_div_fixup_f64 v[24:25], v[24:25], v[22:23], 1.0
	v_dual_cndmask_b32 v23, v25, v23, s2 :: v_dual_cndmask_b32 v22, v24, v22, s2
	s_delay_alu instid0(VALU_DEP_1)
	v_mul_f64_e32 v[12:13], v[12:13], v[22:23]
	ds_store_b64 v19, v[12:13]
.LBB121_25:                             ;   in Loop: Header=BB121_23 Depth=2
	s_wait_xcnt 0x0
	s_or_b32 exec_lo, exec_lo, s42
	s_delay_alu instid0(SALU_CYCLE_1)
	s_mov_b32 s42, exec_lo
	s_wait_dscnt 0x0
	s_barrier_signal -1
	s_barrier_wait -1
	v_cmpx_gt_i64_e64 s[36:37], v[0:1]
	s_cbranch_execz .LBB121_22
; %bb.26:                               ;   in Loop: Header=BB121_23 Depth=2
	flat_load_b64 v[22:23], v[14:15]
	ds_load_b64 v[24:25], v19
	s_wait_loadcnt_dscnt 0x0
	v_fma_f64 v[12:13], -v[22:23], v[24:25], v[12:13]
	s_branch .LBB121_22
.LBB121_27:                             ;   in Loop: Header=BB121_4 Depth=1
	s_wait_xcnt 0x0
	s_and_saveexec_b32 s34, s0
	s_cbranch_execz .LBB121_2
; %bb.28:                               ;   in Loop: Header=BB121_4 Depth=1
	v_mad_nc_u64_u32 v[14:15], v0, s30, v[0:1]
	s_delay_alu instid0(VALU_DEP_1) | instskip(NEXT) | instid1(VALU_DEP_1)
	v_mad_u32 v15, v0, s31, v15
	v_lshl_add_u64 v[14:15], v[14:15], 3, s[18:19]
	flat_load_b64 v[14:15], v[14:15]
	s_wait_loadcnt_dscnt 0x0
	v_div_scale_f64 v[16:17], null, v[14:15], v[14:15], 1.0
	v_div_scale_f64 v[26:27], vcc_lo, 1.0, v[14:15], 1.0
	s_delay_alu instid0(VALU_DEP_2) | instskip(SKIP_1) | instid1(TRANS32_DEP_1)
	v_rcp_f64_e32 v[22:23], v[16:17]
	v_nop
	v_fma_f64 v[24:25], -v[16:17], v[22:23], 1.0
	s_delay_alu instid0(VALU_DEP_1) | instskip(NEXT) | instid1(VALU_DEP_1)
	v_fmac_f64_e32 v[22:23], v[22:23], v[24:25]
	v_fma_f64 v[24:25], -v[16:17], v[22:23], 1.0
	s_delay_alu instid0(VALU_DEP_1) | instskip(NEXT) | instid1(VALU_DEP_1)
	v_fmac_f64_e32 v[22:23], v[22:23], v[24:25]
	v_mul_f64_e32 v[24:25], v[26:27], v[22:23]
	s_delay_alu instid0(VALU_DEP_1) | instskip(NEXT) | instid1(VALU_DEP_1)
	v_fma_f64 v[16:17], -v[16:17], v[24:25], v[26:27]
	v_div_fmas_f64 v[16:17], v[16:17], v[22:23], v[24:25]
	s_delay_alu instid0(VALU_DEP_1) | instskip(SKIP_1) | instid1(VALU_DEP_1)
	v_div_fixup_f64 v[16:17], v[16:17], v[14:15], 1.0
	s_wait_xcnt 0x0
	v_dual_cndmask_b32 v15, v17, v15, s2 :: v_dual_cndmask_b32 v14, v16, v14, s2
	s_delay_alu instid0(VALU_DEP_1)
	v_mul_f64_e32 v[12:13], v[12:13], v[14:15]
	s_branch .LBB121_2
.LBB121_29:
	s_endpgm
	.section	.rodata,"a",@progbits
	.p2align	6, 0x0
	.amdhsa_kernel _ZL40rocblas_trsm_block_backward_substitutionIddPKdPdLb1ELb1ELb0EEv18rocblas_operation_llT0_T1_lllT2_lllib
		.amdhsa_group_segment_fixed_size 0
		.amdhsa_private_segment_fixed_size 0
		.amdhsa_kernarg_size 360
		.amdhsa_user_sgpr_count 2
		.amdhsa_user_sgpr_dispatch_ptr 0
		.amdhsa_user_sgpr_queue_ptr 0
		.amdhsa_user_sgpr_kernarg_segment_ptr 1
		.amdhsa_user_sgpr_dispatch_id 0
		.amdhsa_user_sgpr_kernarg_preload_length 0
		.amdhsa_user_sgpr_kernarg_preload_offset 0
		.amdhsa_user_sgpr_private_segment_size 0
		.amdhsa_wavefront_size32 1
		.amdhsa_uses_dynamic_stack 0
		.amdhsa_enable_private_segment 0
		.amdhsa_system_sgpr_workgroup_id_x 1
		.amdhsa_system_sgpr_workgroup_id_y 1
		.amdhsa_system_sgpr_workgroup_id_z 1
		.amdhsa_system_sgpr_workgroup_info 0
		.amdhsa_system_vgpr_workitem_id 1
		.amdhsa_next_free_vgpr 32
		.amdhsa_next_free_sgpr 44
		.amdhsa_named_barrier_count 0
		.amdhsa_reserve_vcc 1
		.amdhsa_float_round_mode_32 0
		.amdhsa_float_round_mode_16_64 0
		.amdhsa_float_denorm_mode_32 3
		.amdhsa_float_denorm_mode_16_64 3
		.amdhsa_fp16_overflow 0
		.amdhsa_memory_ordered 1
		.amdhsa_forward_progress 1
		.amdhsa_inst_pref_size 13
		.amdhsa_round_robin_scheduling 0
		.amdhsa_exception_fp_ieee_invalid_op 0
		.amdhsa_exception_fp_denorm_src 0
		.amdhsa_exception_fp_ieee_div_zero 0
		.amdhsa_exception_fp_ieee_overflow 0
		.amdhsa_exception_fp_ieee_underflow 0
		.amdhsa_exception_fp_ieee_inexact 0
		.amdhsa_exception_int_div_zero 0
	.end_amdhsa_kernel
	.section	.text._ZL40rocblas_trsm_block_backward_substitutionIddPKdPdLb1ELb1ELb0EEv18rocblas_operation_llT0_T1_lllT2_lllib,"axG",@progbits,_ZL40rocblas_trsm_block_backward_substitutionIddPKdPdLb1ELb1ELb0EEv18rocblas_operation_llT0_T1_lllT2_lllib,comdat
.Lfunc_end121:
	.size	_ZL40rocblas_trsm_block_backward_substitutionIddPKdPdLb1ELb1ELb0EEv18rocblas_operation_llT0_T1_lllT2_lllib, .Lfunc_end121-_ZL40rocblas_trsm_block_backward_substitutionIddPKdPdLb1ELb1ELb0EEv18rocblas_operation_llT0_T1_lllT2_lllib
                                        ; -- End function
	.set _ZL40rocblas_trsm_block_backward_substitutionIddPKdPdLb1ELb1ELb0EEv18rocblas_operation_llT0_T1_lllT2_lllib.num_vgpr, 32
	.set _ZL40rocblas_trsm_block_backward_substitutionIddPKdPdLb1ELb1ELb0EEv18rocblas_operation_llT0_T1_lllT2_lllib.num_agpr, 0
	.set _ZL40rocblas_trsm_block_backward_substitutionIddPKdPdLb1ELb1ELb0EEv18rocblas_operation_llT0_T1_lllT2_lllib.numbered_sgpr, 44
	.set _ZL40rocblas_trsm_block_backward_substitutionIddPKdPdLb1ELb1ELb0EEv18rocblas_operation_llT0_T1_lllT2_lllib.num_named_barrier, 0
	.set _ZL40rocblas_trsm_block_backward_substitutionIddPKdPdLb1ELb1ELb0EEv18rocblas_operation_llT0_T1_lllT2_lllib.private_seg_size, 0
	.set _ZL40rocblas_trsm_block_backward_substitutionIddPKdPdLb1ELb1ELb0EEv18rocblas_operation_llT0_T1_lllT2_lllib.uses_vcc, 1
	.set _ZL40rocblas_trsm_block_backward_substitutionIddPKdPdLb1ELb1ELb0EEv18rocblas_operation_llT0_T1_lllT2_lllib.uses_flat_scratch, 0
	.set _ZL40rocblas_trsm_block_backward_substitutionIddPKdPdLb1ELb1ELb0EEv18rocblas_operation_llT0_T1_lllT2_lllib.has_dyn_sized_stack, 0
	.set _ZL40rocblas_trsm_block_backward_substitutionIddPKdPdLb1ELb1ELb0EEv18rocblas_operation_llT0_T1_lllT2_lllib.has_recursion, 0
	.set _ZL40rocblas_trsm_block_backward_substitutionIddPKdPdLb1ELb1ELb0EEv18rocblas_operation_llT0_T1_lllT2_lllib.has_indirect_call, 0
	.section	.AMDGPU.csdata,"",@progbits
; Kernel info:
; codeLenInByte = 1544
; TotalNumSgprs: 46
; NumVgprs: 32
; ScratchSize: 0
; MemoryBound: 1
; FloatMode: 240
; IeeeMode: 1
; LDSByteSize: 0 bytes/workgroup (compile time only)
; SGPRBlocks: 0
; VGPRBlocks: 1
; NumSGPRsForWavesPerEU: 46
; NumVGPRsForWavesPerEU: 32
; NamedBarCnt: 0
; Occupancy: 16
; WaveLimiterHint : 0
; COMPUTE_PGM_RSRC2:SCRATCH_EN: 0
; COMPUTE_PGM_RSRC2:USER_SGPR: 2
; COMPUTE_PGM_RSRC2:TRAP_HANDLER: 0
; COMPUTE_PGM_RSRC2:TGID_X_EN: 1
; COMPUTE_PGM_RSRC2:TGID_Y_EN: 1
; COMPUTE_PGM_RSRC2:TGID_Z_EN: 1
; COMPUTE_PGM_RSRC2:TIDIG_COMP_CNT: 1
	.section	.text._ZL39rocblas_trsm_block_forward_substitutionIddPKdPdLb1ELb1ELb1EEv18rocblas_operation_llT0_T1_lllT2_lllib,"axG",@progbits,_ZL39rocblas_trsm_block_forward_substitutionIddPKdPdLb1ELb1ELb1EEv18rocblas_operation_llT0_T1_lllT2_lllib,comdat
	.globl	_ZL39rocblas_trsm_block_forward_substitutionIddPKdPdLb1ELb1ELb1EEv18rocblas_operation_llT0_T1_lllT2_lllib ; -- Begin function _ZL39rocblas_trsm_block_forward_substitutionIddPKdPdLb1ELb1ELb1EEv18rocblas_operation_llT0_T1_lllT2_lllib
	.p2align	8
	.type	_ZL39rocblas_trsm_block_forward_substitutionIddPKdPdLb1ELb1ELb1EEv18rocblas_operation_llT0_T1_lllT2_lllib,@function
_ZL39rocblas_trsm_block_forward_substitutionIddPKdPdLb1ELb1ELb1EEv18rocblas_operation_llT0_T1_lllT2_lllib: ; @_ZL39rocblas_trsm_block_forward_substitutionIddPKdPdLb1ELb1ELb1EEv18rocblas_operation_llT0_T1_lllT2_lllib
; %bb.0:
	s_load_b64 s[2:3], s[0:1], 0x60
	s_bfe_u32 s4, ttmp6, 0x40014
	s_lshr_b32 s5, ttmp7, 16
	s_add_co_i32 s4, s4, 1
	s_bfe_u32 s6, ttmp6, 0x40008
	s_mul_i32 s4, s5, s4
	s_getreg_b32 s26, hwreg(HW_REG_IB_STS2, 6, 4)
	s_add_co_i32 s6, s6, s4
	s_cmp_eq_u32 s26, 0
	s_mov_b32 s25, 0
	s_cselect_b32 s24, s5, s6
	s_wait_kmcnt 0x0
	s_cmp_ge_u32 s24, s2
	s_cbranch_scc1 .LBB122_19
; %bb.1:
	s_clause 0x1
	s_load_b128 s[20:23], s[0:1], 0x48
	s_load_b512 s[4:19], s[0:1], 0x8
	v_mov_b32_e32 v1, 0
	v_and_b32_e32 v2, 0x3ff, v0
	s_bitcmp1_b32 s3, 0
	s_load_u16 s30, s[0:1], 0x76
	s_cselect_b32 s3, -1, 0
	v_mov_b32_e32 v3, v1
	s_bfe_u32 s27, ttmp6, 0x40004
	v_bfe_u32 v10, v0, 10, 10
	s_mov_b64 s[28:29], src_shared_base
	s_delay_alu instid0(VALU_DEP_1)
	v_lshl_add_u32 v11, v10, 3, 0
	s_wait_kmcnt 0x0
	s_lshl_b64 s[34:35], s[12:13], 3
	s_load_b64 s[12:13], s[0:1], 0x58
	v_mul_u64_e32 v[4:5], s[22:23], v[2:3]
	s_bfe_u32 s22, ttmp6, 0x40010
	s_and_b32 s23, ttmp7, 0xffff
	s_add_co_i32 s22, s22, 1
	s_lshl_b64 s[36:37], s[20:21], 3
	s_mul_i32 s22, s23, s22
	s_add_nc_u64 s[18:19], s[18:19], s[36:37]
	s_add_co_i32 s27, s27, s22
	s_cmp_eq_u32 s26, 0
	s_add_nc_u64 s[20:21], s[0:1], 0x68
	s_cselect_b32 s22, s23, s27
	s_wait_xcnt 0x0
	v_cmp_gt_i64_e64 s0, s[4:5], v[2:3]
	v_mad_u32 v0, s22, s30, v10
	s_lshl_b32 s22, s30, 3
	v_cmp_gt_i64_e64 s1, s[4:5], 0
	s_add_co_i32 s22, s22, 0
	v_cmp_gt_i64_e64 s31, s[4:5], 1
	v_lshl_add_u32 v12, v2, 3, s22
	s_mov_b32 s23, s29
	v_cmp_gt_i64_e32 vcc_lo, s[6:7], v[0:1]
	s_add_nc_u64 s[6:7], s[10:11], s[34:35]
	s_add_nc_u64 s[10:11], s[4:5], -1
	s_and_b32 s33, vcc_lo, s0
	v_lshl_add_u64 v[4:5], v[4:5], 3, s[18:19]
	s_mov_b64 s[18:19], 1
	s_delay_alu instid0(VALU_DEP_1)
	v_lshl_add_u64 v[0:1], v[0:1], 3, v[4:5]
	s_branch .LBB122_4
.LBB122_2:                              ;   in Loop: Header=BB122_4 Depth=1
	global_store_b64 v[4:5], v[6:7], off
.LBB122_3:                              ;   in Loop: Header=BB122_4 Depth=1
	s_wait_xcnt 0x0
	s_or_b32 exec_lo, exec_lo, s34
	s_add_co_i32 s24, s24, 0x10000
	s_delay_alu instid0(SALU_CYCLE_1)
	s_cmp_lt_u32 s24, s2
	s_cbranch_scc0 .LBB122_19
.LBB122_4:                              ; =>This Loop Header: Depth=1
                                        ;     Child Loop BB122_9 Depth 2
                                        ;     Child Loop BB122_15 Depth 2
	s_mul_u64 s[26:27], s[16:17], s[24:25]
	s_and_not1_b32 vcc_lo, exec_lo, s3
	s_lshl_b64 s[26:27], s[26:27], 3
	s_delay_alu instid0(SALU_CYCLE_1)
	s_add_nc_u64 s[26:27], s[6:7], s[26:27]
	s_cbranch_vccz .LBB122_6
; %bb.5:                                ;   in Loop: Header=BB122_4 Depth=1
	s_and_saveexec_b32 s34, s33
	s_cbranch_execz .LBB122_3
	s_branch .LBB122_12
.LBB122_6:                              ;   in Loop: Header=BB122_4 Depth=1
	s_and_not1_b32 vcc_lo, exec_lo, s1
	s_cbranch_vccnz .LBB122_11
; %bb.7:                                ;   in Loop: Header=BB122_4 Depth=1
	v_mul_u64_e32 v[4:5], s[14:15], v[2:3]
	s_mov_b32 s14, 0
	s_delay_alu instid0(VALU_DEP_1)
	v_lshl_add_u64 v[4:5], v[4:5], 3, s[26:27]
	s_branch .LBB122_9
.LBB122_8:                              ;   in Loop: Header=BB122_9 Depth=2
	s_wait_xcnt 0x0
	s_or_b32 exec_lo, exec_lo, s15
	s_add_co_i32 s14, s14, s30
	s_delay_alu instid0(SALU_CYCLE_1) | instskip(NEXT) | instid1(SALU_CYCLE_1)
	s_ashr_i32 s15, s14, 31
	v_cmp_le_i64_e64 s15, s[4:5], s[14:15]
	s_and_b32 vcc_lo, exec_lo, s15
	s_cbranch_vccnz .LBB122_11
.LBB122_9:                              ;   Parent Loop BB122_4 Depth=1
                                        ; =>  This Inner Loop Header: Depth=2
	v_add_nc_u32_e32 v6, s14, v10
	s_delay_alu instid0(VALU_DEP_1) | instskip(SKIP_1) | instid1(SALU_CYCLE_1)
	v_cmp_gt_i32_e32 vcc_lo, v2, v6
	s_and_b32 s26, s0, vcc_lo
	s_and_saveexec_b32 s15, s26
	s_cbranch_execz .LBB122_8
; %bb.10:                               ;   in Loop: Header=BB122_9 Depth=2
	v_ashrrev_i32_e32 v7, 31, v6
	s_load_b32 s26, s[20:21], 0xc
	s_delay_alu instid0(VALU_DEP_1) | instskip(SKIP_2) | instid1(SALU_CYCLE_1)
	v_mul_u64_e32 v[8:9], s[18:19], v[6:7]
	s_wait_kmcnt 0x0
	s_and_b32 s26, s26, 0xffff
	v_mul_lo_u32 v6, v6, s26
	s_delay_alu instid0(VALU_DEP_1) | instskip(NEXT) | instid1(VALU_DEP_3)
	v_lshl_add_u32 v6, v6, 3, v12
	v_lshl_add_u64 v[8:9], v[8:9], 3, v[4:5]
	global_load_b64 v[8:9], v[8:9], off
	s_wait_loadcnt 0x0
	ds_store_b64 v6, v[8:9]
	s_branch .LBB122_8
.LBB122_11:                             ;   in Loop: Header=BB122_4 Depth=1
	s_load_b32 s18, s[20:21], 0xc
	s_mov_b32 s19, s25
	s_mov_b64 s[14:15], 1
	s_mov_b64 s[26:27], s[22:23]
	s_wait_kmcnt 0x0
	s_and_b32 s18, s18, 0xffff
	s_and_saveexec_b32 s34, s33
	s_cbranch_execz .LBB122_3
.LBB122_12:                             ;   in Loop: Header=BB122_4 Depth=1
	s_wait_kmcnt 0x0
	s_mul_u64 s[28:29], s[12:13], s[24:25]
	s_and_not1_b32 vcc_lo, exec_lo, s31
	v_lshl_add_u64 v[4:5], s[28:29], 3, v[0:1]
	global_load_b64 v[6:7], v[4:5], off
	s_wait_loadcnt 0x0
	v_mul_f64_e32 v[6:7], s[8:9], v[6:7]
	s_cbranch_vccnz .LBB122_2
; %bb.13:                               ;   in Loop: Header=BB122_4 Depth=1
	v_mul_u64_e32 v[8:9], s[14:15], v[2:3]
	s_mov_b64 s[28:29], 0
	s_delay_alu instid0(VALU_DEP_1)
	v_lshl_add_u64 v[8:9], v[8:9], 3, s[26:27]
	s_lshl_b64 s[26:27], s[18:19], 3
	s_branch .LBB122_15
.LBB122_14:                             ;   in Loop: Header=BB122_15 Depth=2
	s_wait_xcnt 0x0
	s_or_b32 exec_lo, exec_lo, s35
	v_add_nc_u64_e32 v[8:9], s[26:27], v[8:9]
	s_add_nc_u64 s[28:29], s[28:29], 1
	s_delay_alu instid0(SALU_CYCLE_1)
	s_cmp_eq_u64 s[10:11], s[28:29]
	s_cbranch_scc1 .LBB122_2
.LBB122_15:                             ;   Parent Loop BB122_4 Depth=1
                                        ; =>  This Inner Loop Header: Depth=2
	s_mov_b32 s35, exec_lo
	s_wait_dscnt 0x0
	s_barrier_signal -1
	s_barrier_wait -1
	s_wait_xcnt 0x0
	v_cmpx_eq_u64_e64 s[28:29], v[2:3]
; %bb.16:                               ;   in Loop: Header=BB122_15 Depth=2
	ds_store_b64 v11, v[6:7]
; %bb.17:                               ;   in Loop: Header=BB122_15 Depth=2
	s_or_b32 exec_lo, exec_lo, s35
	s_delay_alu instid0(SALU_CYCLE_1)
	s_mov_b32 s35, exec_lo
	s_wait_dscnt 0x0
	s_barrier_signal -1
	s_barrier_wait -1
	v_cmpx_lt_u64_e64 s[28:29], v[2:3]
	s_cbranch_execz .LBB122_14
; %bb.18:                               ;   in Loop: Header=BB122_15 Depth=2
	flat_load_b64 v[14:15], v[8:9]
	ds_load_b64 v[16:17], v11
	s_wait_loadcnt_dscnt 0x0
	v_fma_f64 v[6:7], -v[14:15], v[16:17], v[6:7]
	s_branch .LBB122_14
.LBB122_19:
	s_endpgm
	.section	.rodata,"a",@progbits
	.p2align	6, 0x0
	.amdhsa_kernel _ZL39rocblas_trsm_block_forward_substitutionIddPKdPdLb1ELb1ELb1EEv18rocblas_operation_llT0_T1_lllT2_lllib
		.amdhsa_group_segment_fixed_size 0
		.amdhsa_private_segment_fixed_size 0
		.amdhsa_kernarg_size 360
		.amdhsa_user_sgpr_count 2
		.amdhsa_user_sgpr_dispatch_ptr 0
		.amdhsa_user_sgpr_queue_ptr 0
		.amdhsa_user_sgpr_kernarg_segment_ptr 1
		.amdhsa_user_sgpr_dispatch_id 0
		.amdhsa_user_sgpr_kernarg_preload_length 0
		.amdhsa_user_sgpr_kernarg_preload_offset 0
		.amdhsa_user_sgpr_private_segment_size 0
		.amdhsa_wavefront_size32 1
		.amdhsa_uses_dynamic_stack 0
		.amdhsa_enable_private_segment 0
		.amdhsa_system_sgpr_workgroup_id_x 1
		.amdhsa_system_sgpr_workgroup_id_y 1
		.amdhsa_system_sgpr_workgroup_id_z 1
		.amdhsa_system_sgpr_workgroup_info 0
		.amdhsa_system_vgpr_workitem_id 1
		.amdhsa_next_free_vgpr 18
		.amdhsa_next_free_sgpr 38
		.amdhsa_named_barrier_count 0
		.amdhsa_reserve_vcc 1
		.amdhsa_float_round_mode_32 0
		.amdhsa_float_round_mode_16_64 0
		.amdhsa_float_denorm_mode_32 3
		.amdhsa_float_denorm_mode_16_64 3
		.amdhsa_fp16_overflow 0
		.amdhsa_memory_ordered 1
		.amdhsa_forward_progress 1
		.amdhsa_inst_pref_size 7
		.amdhsa_round_robin_scheduling 0
		.amdhsa_exception_fp_ieee_invalid_op 0
		.amdhsa_exception_fp_denorm_src 0
		.amdhsa_exception_fp_ieee_div_zero 0
		.amdhsa_exception_fp_ieee_overflow 0
		.amdhsa_exception_fp_ieee_underflow 0
		.amdhsa_exception_fp_ieee_inexact 0
		.amdhsa_exception_int_div_zero 0
	.end_amdhsa_kernel
	.section	.text._ZL39rocblas_trsm_block_forward_substitutionIddPKdPdLb1ELb1ELb1EEv18rocblas_operation_llT0_T1_lllT2_lllib,"axG",@progbits,_ZL39rocblas_trsm_block_forward_substitutionIddPKdPdLb1ELb1ELb1EEv18rocblas_operation_llT0_T1_lllT2_lllib,comdat
.Lfunc_end122:
	.size	_ZL39rocblas_trsm_block_forward_substitutionIddPKdPdLb1ELb1ELb1EEv18rocblas_operation_llT0_T1_lllT2_lllib, .Lfunc_end122-_ZL39rocblas_trsm_block_forward_substitutionIddPKdPdLb1ELb1ELb1EEv18rocblas_operation_llT0_T1_lllT2_lllib
                                        ; -- End function
	.set _ZL39rocblas_trsm_block_forward_substitutionIddPKdPdLb1ELb1ELb1EEv18rocblas_operation_llT0_T1_lllT2_lllib.num_vgpr, 18
	.set _ZL39rocblas_trsm_block_forward_substitutionIddPKdPdLb1ELb1ELb1EEv18rocblas_operation_llT0_T1_lllT2_lllib.num_agpr, 0
	.set _ZL39rocblas_trsm_block_forward_substitutionIddPKdPdLb1ELb1ELb1EEv18rocblas_operation_llT0_T1_lllT2_lllib.numbered_sgpr, 38
	.set _ZL39rocblas_trsm_block_forward_substitutionIddPKdPdLb1ELb1ELb1EEv18rocblas_operation_llT0_T1_lllT2_lllib.num_named_barrier, 0
	.set _ZL39rocblas_trsm_block_forward_substitutionIddPKdPdLb1ELb1ELb1EEv18rocblas_operation_llT0_T1_lllT2_lllib.private_seg_size, 0
	.set _ZL39rocblas_trsm_block_forward_substitutionIddPKdPdLb1ELb1ELb1EEv18rocblas_operation_llT0_T1_lllT2_lllib.uses_vcc, 1
	.set _ZL39rocblas_trsm_block_forward_substitutionIddPKdPdLb1ELb1ELb1EEv18rocblas_operation_llT0_T1_lllT2_lllib.uses_flat_scratch, 0
	.set _ZL39rocblas_trsm_block_forward_substitutionIddPKdPdLb1ELb1ELb1EEv18rocblas_operation_llT0_T1_lllT2_lllib.has_dyn_sized_stack, 0
	.set _ZL39rocblas_trsm_block_forward_substitutionIddPKdPdLb1ELb1ELb1EEv18rocblas_operation_llT0_T1_lllT2_lllib.has_recursion, 0
	.set _ZL39rocblas_trsm_block_forward_substitutionIddPKdPdLb1ELb1ELb1EEv18rocblas_operation_llT0_T1_lllT2_lllib.has_indirect_call, 0
	.section	.AMDGPU.csdata,"",@progbits
; Kernel info:
; codeLenInByte = 832
; TotalNumSgprs: 40
; NumVgprs: 18
; ScratchSize: 0
; MemoryBound: 0
; FloatMode: 240
; IeeeMode: 1
; LDSByteSize: 0 bytes/workgroup (compile time only)
; SGPRBlocks: 0
; VGPRBlocks: 1
; NumSGPRsForWavesPerEU: 40
; NumVGPRsForWavesPerEU: 18
; NamedBarCnt: 0
; Occupancy: 16
; WaveLimiterHint : 0
; COMPUTE_PGM_RSRC2:SCRATCH_EN: 0
; COMPUTE_PGM_RSRC2:USER_SGPR: 2
; COMPUTE_PGM_RSRC2:TRAP_HANDLER: 0
; COMPUTE_PGM_RSRC2:TGID_X_EN: 1
; COMPUTE_PGM_RSRC2:TGID_Y_EN: 1
; COMPUTE_PGM_RSRC2:TGID_Z_EN: 1
; COMPUTE_PGM_RSRC2:TIDIG_COMP_CNT: 1
	.section	.text._ZL40rocblas_trsm_block_backward_substitutionIddPKdPdLb1ELb1ELb1EEv18rocblas_operation_llT0_T1_lllT2_lllib,"axG",@progbits,_ZL40rocblas_trsm_block_backward_substitutionIddPKdPdLb1ELb1ELb1EEv18rocblas_operation_llT0_T1_lllT2_lllib,comdat
	.globl	_ZL40rocblas_trsm_block_backward_substitutionIddPKdPdLb1ELb1ELb1EEv18rocblas_operation_llT0_T1_lllT2_lllib ; -- Begin function _ZL40rocblas_trsm_block_backward_substitutionIddPKdPdLb1ELb1ELb1EEv18rocblas_operation_llT0_T1_lllT2_lllib
	.p2align	8
	.type	_ZL40rocblas_trsm_block_backward_substitutionIddPKdPdLb1ELb1ELb1EEv18rocblas_operation_llT0_T1_lllT2_lllib,@function
_ZL40rocblas_trsm_block_backward_substitutionIddPKdPdLb1ELb1ELb1EEv18rocblas_operation_llT0_T1_lllT2_lllib: ; @_ZL40rocblas_trsm_block_backward_substitutionIddPKdPdLb1ELb1ELb1EEv18rocblas_operation_llT0_T1_lllT2_lllib
; %bb.0:
	s_load_b64 s[2:3], s[0:1], 0x60
	s_bfe_u32 s4, ttmp6, 0x40014
	s_lshr_b32 s5, ttmp7, 16
	s_add_co_i32 s4, s4, 1
	s_bfe_u32 s6, ttmp6, 0x40008
	s_mul_i32 s4, s5, s4
	s_getreg_b32 s22, hwreg(HW_REG_IB_STS2, 6, 4)
	s_add_co_i32 s6, s6, s4
	s_cmp_eq_u32 s22, 0
	s_mov_b32 s21, 0
	s_cselect_b32 s20, s5, s6
	s_wait_kmcnt 0x0
	s_cmp_ge_u32 s20, s2
	s_cbranch_scc1 .LBB123_19
; %bb.1:
	s_clause 0x2
	s_load_b512 s[4:19], s[0:1], 0x8
	s_load_b128 s[24:27], s[0:1], 0x48
	s_load_u16 s30, s[0:1], 0x76
	s_bitcmp1_b32 s3, 0
	s_mov_b64 s[28:29], src_shared_base
	s_cselect_b32 s3, -1, 0
	s_bfe_u32 s23, ttmp6, 0x40010
	s_and_b32 s28, ttmp7, 0xffff
	s_add_co_i32 s23, s23, 1
	s_bfe_u32 s31, ttmp6, 0x40004
	s_mul_i32 s23, s28, s23
	v_bfe_u32 v14, v0, 10, 10
	s_add_co_i32 s31, s31, s23
	v_and_b32_e32 v0, 0x3ff, v0
	v_mov_b32_e32 v3, 0
	s_delay_alu instid0(VALU_DEP_3)
	v_lshl_add_u32 v15, v14, 3, 0
	s_wait_kmcnt 0x0
	s_lshl_b64 s[34:35], s[12:13], 3
	s_lshl_b64 s[36:37], s[24:25], 3
	s_cmp_eq_u32 s22, 0
	s_add_nc_u64 s[18:19], s[18:19], s[36:37]
	s_cselect_b32 s12, s28, s31
	s_add_nc_u64 s[22:23], s[0:1], 0x68
	v_mad_u32 v2, s12, s30, v14
	s_load_b64 s[12:13], s[0:1], 0x58
	s_wait_xcnt 0x0
	s_lshl_b32 s1, s30, 3
	v_cmp_gt_i64_e64 s31, s[4:5], 0
	s_add_co_i32 s24, s1, 0
	v_cmp_gt_i64_e64 s33, s[4:5], 1
	v_lshl_add_u32 v16, v0, 3, s24
	s_mov_b32 s25, s29
	s_add_nc_u64 s[10:11], s[10:11], s[34:35]
	v_mul_u64_e32 v[6:7], s[26:27], v[2:3]
	v_cmp_gt_i64_e32 vcc_lo, s[6:7], v[2:3]
	v_dual_mov_b32 v1, v3 :: v_dual_lshlrev_b32 v2, 3, v0
	s_add_nc_u64 s[6:7], s[4:5], -1
	s_delay_alu instid0(VALU_DEP_1) | instskip(SKIP_4) | instid1(VALU_DEP_1)
	v_lshlrev_b64_e32 v[4:5], 3, v[0:1]
	v_cmp_gt_i64_e64 s0, s[4:5], v[0:1]
	s_and_b32 s34, vcc_lo, s0
	v_lshl_add_u64 v[6:7], v[6:7], 3, s[18:19]
	s_lshl_b64 s[18:19], s[6:7], 3
	v_add_nc_u64_e32 v[6:7], v[6:7], v[4:5]
	s_branch .LBB123_4
.LBB123_2:                              ;   in Loop: Header=BB123_4 Depth=1
	global_store_b64 v[8:9], v[10:11], off
.LBB123_3:                              ;   in Loop: Header=BB123_4 Depth=1
	s_wait_xcnt 0x0
	s_or_b32 exec_lo, exec_lo, s1
	s_add_co_i32 s20, s20, 0x10000
	s_delay_alu instid0(SALU_CYCLE_1)
	s_cmp_lt_u32 s20, s2
	s_cbranch_scc0 .LBB123_19
.LBB123_4:                              ; =>This Loop Header: Depth=1
                                        ;     Child Loop BB123_8 Depth 2
                                        ;     Child Loop BB123_15 Depth 2
	s_mul_u64 s[26:27], s[16:17], s[20:21]
	s_and_not1_b32 vcc_lo, exec_lo, s3
	s_lshl_b64 s[26:27], s[26:27], 3
	s_delay_alu instid0(SALU_CYCLE_1)
	s_add_nc_u64 s[28:29], s[10:11], s[26:27]
	s_cbranch_vccnz .LBB123_10
; %bb.5:                                ;   in Loop: Header=BB123_4 Depth=1
	s_and_not1_b32 vcc_lo, exec_lo, s31
	s_cbranch_vccnz .LBB123_11
; %bb.6:                                ;   in Loop: Header=BB123_4 Depth=1
	v_add_nc_u64_e32 v[8:9], s[28:29], v[2:3]
	s_mov_b32 s26, 0
	s_branch .LBB123_8
.LBB123_7:                              ;   in Loop: Header=BB123_8 Depth=2
	s_wait_xcnt 0x0
	s_or_b32 exec_lo, exec_lo, s1
	s_add_co_i32 s26, s26, s30
	s_delay_alu instid0(SALU_CYCLE_1) | instskip(NEXT) | instid1(SALU_CYCLE_1)
	s_ashr_i32 s27, s26, 31
	v_cmp_le_i64_e64 s1, s[4:5], s[26:27]
	s_and_b32 vcc_lo, exec_lo, s1
	s_cbranch_vccnz .LBB123_11
.LBB123_8:                              ;   Parent Loop BB123_4 Depth=1
                                        ; =>  This Inner Loop Header: Depth=2
	v_add_nc_u32_e32 v10, s26, v14
	s_delay_alu instid0(VALU_DEP_1) | instskip(SKIP_1) | instid1(VALU_DEP_2)
	v_ashrrev_i32_e32 v11, 31, v10
	v_cmp_lt_i32_e64 s1, v0, v10
	v_cmp_gt_i64_e32 vcc_lo, s[4:5], v[10:11]
	s_and_b32 s1, s1, vcc_lo
	s_delay_alu instid0(SALU_CYCLE_1) | instskip(NEXT) | instid1(SALU_CYCLE_1)
	s_and_b32 s27, s0, s1
	s_and_saveexec_b32 s1, s27
	s_cbranch_execz .LBB123_7
; %bb.9:                                ;   in Loop: Header=BB123_8 Depth=2
	v_mul_u64_e32 v[12:13], s[14:15], v[10:11]
	s_load_b32 s27, s[22:23], 0xc
	s_wait_kmcnt 0x0
	s_and_b32 s27, s27, 0xffff
	s_delay_alu instid0(SALU_CYCLE_1) | instskip(NEXT) | instid1(VALU_DEP_2)
	v_mul_lo_u32 v10, v10, s27
	v_lshl_add_u64 v[12:13], v[12:13], 3, v[8:9]
	s_delay_alu instid0(VALU_DEP_2)
	v_lshl_add_u32 v10, v10, 3, v16
	global_load_b64 v[12:13], v[12:13], off
	s_wait_loadcnt 0x0
	ds_store_b64 v10, v[12:13]
	s_branch .LBB123_7
.LBB123_10:                             ;   in Loop: Header=BB123_4 Depth=1
	s_mov_b64 s[26:27], s[14:15]
	s_and_saveexec_b32 s1, s34
	s_cbranch_execz .LBB123_3
	s_branch .LBB123_12
.LBB123_11:                             ;   in Loop: Header=BB123_4 Depth=1
	s_load_b32 s1, s[22:23], 0xc
	s_mov_b32 s27, s21
	s_mov_b64 s[28:29], s[24:25]
	s_wait_kmcnt 0x0
	s_and_b32 s26, s1, 0xffff
	s_and_saveexec_b32 s1, s34
	s_cbranch_execz .LBB123_3
.LBB123_12:                             ;   in Loop: Header=BB123_4 Depth=1
	s_wait_kmcnt 0x0
	s_mul_u64 s[36:37], s[12:13], s[20:21]
	s_and_not1_b32 vcc_lo, exec_lo, s33
	v_lshl_add_u64 v[8:9], s[36:37], 3, v[6:7]
	global_load_b64 v[10:11], v[8:9], off
	s_wait_loadcnt 0x0
	v_mul_f64_e32 v[10:11], s[8:9], v[10:11]
	s_cbranch_vccnz .LBB123_2
; %bb.13:                               ;   in Loop: Header=BB123_4 Depth=1
	v_add_nc_u64_e32 v[12:13], s[28:29], v[4:5]
	s_mul_i32 s28, s19, s26
	s_mul_i32 s29, s18, s27
	s_delay_alu instid0(VALU_DEP_1) | instskip(SKIP_1) | instid1(SALU_CYCLE_1)
	v_mad_nc_u64_u32 v[12:13], s18, s26, v[12:13]
	s_lshl_b64 s[26:27], s[26:27], 3
	s_sub_nc_u64 s[26:27], 0, s[26:27]
	s_delay_alu instid0(VALU_DEP_1)
	v_add3_u32 v13, s29, s28, v13
	s_mov_b64 s[28:29], s[6:7]
	s_branch .LBB123_15
.LBB123_14:                             ;   in Loop: Header=BB123_15 Depth=2
	s_wait_xcnt 0x0
	s_or_b32 exec_lo, exec_lo, s35
	s_add_nc_u64 s[36:37], s[28:29], 1
	v_add_nc_u64_e32 v[12:13], s[26:27], v[12:13]
	v_cmp_lt_u64_e64 s35, s[36:37], 3
	s_add_nc_u64 s[28:29], s[28:29], -1
	s_and_b32 vcc_lo, exec_lo, s35
	s_cbranch_vccnz .LBB123_2
.LBB123_15:                             ;   Parent Loop BB123_4 Depth=1
                                        ; =>  This Inner Loop Header: Depth=2
	s_mov_b32 s35, exec_lo
	s_wait_dscnt 0x0
	s_barrier_signal -1
	s_barrier_wait -1
	s_wait_xcnt 0x0
	v_cmpx_eq_u64_e64 s[28:29], v[0:1]
; %bb.16:                               ;   in Loop: Header=BB123_15 Depth=2
	ds_store_b64 v15, v[10:11]
; %bb.17:                               ;   in Loop: Header=BB123_15 Depth=2
	s_or_b32 exec_lo, exec_lo, s35
	s_delay_alu instid0(SALU_CYCLE_1)
	s_mov_b32 s35, exec_lo
	s_wait_dscnt 0x0
	s_barrier_signal -1
	s_barrier_wait -1
	v_cmpx_gt_i64_e64 s[28:29], v[0:1]
	s_cbranch_execz .LBB123_14
; %bb.18:                               ;   in Loop: Header=BB123_15 Depth=2
	flat_load_b64 v[18:19], v[12:13]
	ds_load_b64 v[20:21], v15
	s_wait_loadcnt_dscnt 0x0
	v_fma_f64 v[10:11], -v[18:19], v[20:21], v[10:11]
	s_branch .LBB123_14
.LBB123_19:
	s_endpgm
	.section	.rodata,"a",@progbits
	.p2align	6, 0x0
	.amdhsa_kernel _ZL40rocblas_trsm_block_backward_substitutionIddPKdPdLb1ELb1ELb1EEv18rocblas_operation_llT0_T1_lllT2_lllib
		.amdhsa_group_segment_fixed_size 0
		.amdhsa_private_segment_fixed_size 0
		.amdhsa_kernarg_size 360
		.amdhsa_user_sgpr_count 2
		.amdhsa_user_sgpr_dispatch_ptr 0
		.amdhsa_user_sgpr_queue_ptr 0
		.amdhsa_user_sgpr_kernarg_segment_ptr 1
		.amdhsa_user_sgpr_dispatch_id 0
		.amdhsa_user_sgpr_kernarg_preload_length 0
		.amdhsa_user_sgpr_kernarg_preload_offset 0
		.amdhsa_user_sgpr_private_segment_size 0
		.amdhsa_wavefront_size32 1
		.amdhsa_uses_dynamic_stack 0
		.amdhsa_enable_private_segment 0
		.amdhsa_system_sgpr_workgroup_id_x 1
		.amdhsa_system_sgpr_workgroup_id_y 1
		.amdhsa_system_sgpr_workgroup_id_z 1
		.amdhsa_system_sgpr_workgroup_info 0
		.amdhsa_system_vgpr_workitem_id 1
		.amdhsa_next_free_vgpr 22
		.amdhsa_next_free_sgpr 38
		.amdhsa_named_barrier_count 0
		.amdhsa_reserve_vcc 1
		.amdhsa_float_round_mode_32 0
		.amdhsa_float_round_mode_16_64 0
		.amdhsa_float_denorm_mode_32 3
		.amdhsa_float_denorm_mode_16_64 3
		.amdhsa_fp16_overflow 0
		.amdhsa_memory_ordered 1
		.amdhsa_forward_progress 1
		.amdhsa_inst_pref_size 7
		.amdhsa_round_robin_scheduling 0
		.amdhsa_exception_fp_ieee_invalid_op 0
		.amdhsa_exception_fp_denorm_src 0
		.amdhsa_exception_fp_ieee_div_zero 0
		.amdhsa_exception_fp_ieee_overflow 0
		.amdhsa_exception_fp_ieee_underflow 0
		.amdhsa_exception_fp_ieee_inexact 0
		.amdhsa_exception_int_div_zero 0
	.end_amdhsa_kernel
	.section	.text._ZL40rocblas_trsm_block_backward_substitutionIddPKdPdLb1ELb1ELb1EEv18rocblas_operation_llT0_T1_lllT2_lllib,"axG",@progbits,_ZL40rocblas_trsm_block_backward_substitutionIddPKdPdLb1ELb1ELb1EEv18rocblas_operation_llT0_T1_lllT2_lllib,comdat
.Lfunc_end123:
	.size	_ZL40rocblas_trsm_block_backward_substitutionIddPKdPdLb1ELb1ELb1EEv18rocblas_operation_llT0_T1_lllT2_lllib, .Lfunc_end123-_ZL40rocblas_trsm_block_backward_substitutionIddPKdPdLb1ELb1ELb1EEv18rocblas_operation_llT0_T1_lllT2_lllib
                                        ; -- End function
	.set _ZL40rocblas_trsm_block_backward_substitutionIddPKdPdLb1ELb1ELb1EEv18rocblas_operation_llT0_T1_lllT2_lllib.num_vgpr, 22
	.set _ZL40rocblas_trsm_block_backward_substitutionIddPKdPdLb1ELb1ELb1EEv18rocblas_operation_llT0_T1_lllT2_lllib.num_agpr, 0
	.set _ZL40rocblas_trsm_block_backward_substitutionIddPKdPdLb1ELb1ELb1EEv18rocblas_operation_llT0_T1_lllT2_lllib.numbered_sgpr, 38
	.set _ZL40rocblas_trsm_block_backward_substitutionIddPKdPdLb1ELb1ELb1EEv18rocblas_operation_llT0_T1_lllT2_lllib.num_named_barrier, 0
	.set _ZL40rocblas_trsm_block_backward_substitutionIddPKdPdLb1ELb1ELb1EEv18rocblas_operation_llT0_T1_lllT2_lllib.private_seg_size, 0
	.set _ZL40rocblas_trsm_block_backward_substitutionIddPKdPdLb1ELb1ELb1EEv18rocblas_operation_llT0_T1_lllT2_lllib.uses_vcc, 1
	.set _ZL40rocblas_trsm_block_backward_substitutionIddPKdPdLb1ELb1ELb1EEv18rocblas_operation_llT0_T1_lllT2_lllib.uses_flat_scratch, 0
	.set _ZL40rocblas_trsm_block_backward_substitutionIddPKdPdLb1ELb1ELb1EEv18rocblas_operation_llT0_T1_lllT2_lllib.has_dyn_sized_stack, 0
	.set _ZL40rocblas_trsm_block_backward_substitutionIddPKdPdLb1ELb1ELb1EEv18rocblas_operation_llT0_T1_lllT2_lllib.has_recursion, 0
	.set _ZL40rocblas_trsm_block_backward_substitutionIddPKdPdLb1ELb1ELb1EEv18rocblas_operation_llT0_T1_lllT2_lllib.has_indirect_call, 0
	.section	.AMDGPU.csdata,"",@progbits
; Kernel info:
; codeLenInByte = 872
; TotalNumSgprs: 40
; NumVgprs: 22
; ScratchSize: 0
; MemoryBound: 0
; FloatMode: 240
; IeeeMode: 1
; LDSByteSize: 0 bytes/workgroup (compile time only)
; SGPRBlocks: 0
; VGPRBlocks: 1
; NumSGPRsForWavesPerEU: 40
; NumVGPRsForWavesPerEU: 22
; NamedBarCnt: 0
; Occupancy: 16
; WaveLimiterHint : 0
; COMPUTE_PGM_RSRC2:SCRATCH_EN: 0
; COMPUTE_PGM_RSRC2:USER_SGPR: 2
; COMPUTE_PGM_RSRC2:TRAP_HANDLER: 0
; COMPUTE_PGM_RSRC2:TGID_X_EN: 1
; COMPUTE_PGM_RSRC2:TGID_Y_EN: 1
; COMPUTE_PGM_RSRC2:TGID_Z_EN: 1
; COMPUTE_PGM_RSRC2:TIDIG_COMP_CNT: 1
	.section	.text._ZL39rocblas_trsm_block_forward_substitutionIddPKdPdLb1ELb0ELb0EEv18rocblas_operation_llT0_T1_lllT2_lllib,"axG",@progbits,_ZL39rocblas_trsm_block_forward_substitutionIddPKdPdLb1ELb0ELb0EEv18rocblas_operation_llT0_T1_lllT2_lllib,comdat
	.globl	_ZL39rocblas_trsm_block_forward_substitutionIddPKdPdLb1ELb0ELb0EEv18rocblas_operation_llT0_T1_lllT2_lllib ; -- Begin function _ZL39rocblas_trsm_block_forward_substitutionIddPKdPdLb1ELb0ELb0EEv18rocblas_operation_llT0_T1_lllT2_lllib
	.p2align	8
	.type	_ZL39rocblas_trsm_block_forward_substitutionIddPKdPdLb1ELb0ELb0EEv18rocblas_operation_llT0_T1_lllT2_lllib,@function
_ZL39rocblas_trsm_block_forward_substitutionIddPKdPdLb1ELb0ELb0EEv18rocblas_operation_llT0_T1_lllT2_lllib: ; @_ZL39rocblas_trsm_block_forward_substitutionIddPKdPdLb1ELb0ELb0EEv18rocblas_operation_llT0_T1_lllT2_lllib
; %bb.0:
	s_load_b64 s[20:21], s[0:1], 0x60
	s_bfe_u32 s2, ttmp6, 0x40014
	s_lshr_b32 s4, ttmp7, 16
	s_add_co_i32 s2, s2, 1
	s_bfe_u32 s5, ttmp6, 0x40008
	s_mul_i32 s2, s4, s2
	s_getreg_b32 s3, hwreg(HW_REG_IB_STS2, 6, 4)
	s_add_co_i32 s5, s5, s2
	s_cmp_eq_u32 s3, 0
	s_mov_b32 s23, 0
	s_cselect_b32 s22, s4, s5
	s_wait_kmcnt 0x0
	s_cmp_ge_u32 s22, s20
	s_cbranch_scc1 .LBB124_27
; %bb.1:
	s_clause 0x2
	s_load_b512 s[4:19], s[0:1], 0x8
	s_load_b128 s[24:27], s[0:1], 0x48
	s_load_u16 s33, s[0:1], 0x76
	s_bitcmp1_b32 s21, 0
	s_mov_b64 s[28:29], src_shared_base
	s_cselect_b32 s2, -1, 0
	s_bfe_u32 s21, ttmp6, 0x40010
	s_and_b32 s28, ttmp7, 0xffff
	s_add_co_i32 s21, s21, 1
	s_bfe_u32 s30, ttmp6, 0x40004
	s_mul_i32 s21, s28, s21
	v_bfe_u32 v12, v0, 10, 10
	s_add_co_i32 s21, s30, s21
	v_mov_b32_e32 v3, 0
	v_and_b32_e32 v0, 0x3ff, v0
	s_delay_alu instid0(VALU_DEP_3) | instskip(NEXT) | instid1(VALU_DEP_3)
	v_lshl_add_u32 v13, v12, 3, 0
	v_mov_b32_e32 v1, v3
	s_wait_kmcnt 0x0
	s_lshl_b64 s[30:31], s[12:13], 3
	s_lshl_b64 s[34:35], s[24:25], 3
	s_cmp_eq_u32 s3, 0
	s_load_b64 s[12:13], s[0:1], 0x58
	s_cselect_b32 s3, s28, s21
	s_add_nc_u64 s[18:19], s[18:19], s[34:35]
	v_mad_u32 v2, s3, s33, v12
	s_add_nc_u64 s[24:25], s[0:1], 0x68
	v_cmp_le_i64_e32 vcc_lo, s[4:5], v[0:1]
	s_wait_xcnt 0x0
	v_cmp_gt_i64_e64 s1, s[4:5], v[0:1]
	s_lshl_b32 s0, s33, 3
	v_cmp_gt_i64_e64 s21, s[4:5], 0
	v_cmp_gt_i64_e64 s36, s[4:5], 1
	s_add_nc_u64 s[10:11], s[10:11], s[30:31]
	v_mul_u64_e32 v[4:5], s[26:27], v[2:3]
	s_mov_b32 s27, s29
	s_add_nc_u64 s[28:29], s[4:5], -1
	v_cmp_gt_i64_e64 s3, s[6:7], v[2:3]
	s_add_co_i32 s26, s0, 0
	v_cmp_eq_u64_e64 s0, s[28:29], v[0:1]
	v_lshl_add_u32 v14, v0, 3, s26
	s_mov_b64 s[6:7], 1
	s_and_b32 s1, s3, s1
	s_xor_b32 s3, vcc_lo, -1
	v_lshl_add_u64 v[4:5], v[4:5], 3, s[18:19]
	s_delay_alu instid0(VALU_DEP_1)
	v_lshl_add_u64 v[2:3], v[0:1], 3, v[4:5]
	s_branch .LBB124_4
.LBB124_2:                              ;   in Loop: Header=BB124_4 Depth=1
	s_or_b32 exec_lo, exec_lo, s30
	global_store_b64 v[4:5], v[6:7], off
.LBB124_3:                              ;   in Loop: Header=BB124_4 Depth=1
	s_wait_xcnt 0x0
	s_or_b32 exec_lo, exec_lo, s37
	s_add_co_i32 s22, s22, 0x10000
	s_delay_alu instid0(SALU_CYCLE_1)
	s_cmp_lt_u32 s22, s20
	s_cbranch_scc0 .LBB124_27
.LBB124_4:                              ; =>This Loop Header: Depth=1
                                        ;     Child Loop BB124_9 Depth 2
                                        ;     Child Loop BB124_21 Depth 2
	s_mul_u64 s[18:19], s[16:17], s[22:23]
	s_and_not1_b32 vcc_lo, exec_lo, s2
	s_lshl_b64 s[18:19], s[18:19], 3
	s_delay_alu instid0(SALU_CYCLE_1)
	s_add_nc_u64 s[18:19], s[10:11], s[18:19]
	s_cbranch_vccz .LBB124_6
; %bb.5:                                ;   in Loop: Header=BB124_4 Depth=1
	s_and_saveexec_b32 s37, s1
	s_cbranch_execz .LBB124_3
	s_branch .LBB124_18
.LBB124_6:                              ;   in Loop: Header=BB124_4 Depth=1
	s_and_not1_b32 vcc_lo, exec_lo, s21
	s_cbranch_vccnz .LBB124_17
; %bb.7:                                ;   in Loop: Header=BB124_4 Depth=1
	v_mul_u64_e32 v[4:5], s[14:15], v[0:1]
	v_mul_hi_u32_u24_e32 v7, s6, v0
	v_mul_u32_u24_e32 v6, s6, v0
	v_mov_b32_e32 v8, v12
	s_mov_b32 s14, s33
	s_delay_alu instid0(VALU_DEP_4) | instskip(NEXT) | instid1(VALU_DEP_1)
	v_lshl_add_u64 v[4:5], v[4:5], 3, s[18:19]
	v_lshl_add_u64 v[6:7], v[6:7], 3, v[4:5]
	s_branch .LBB124_9
.LBB124_8:                              ;   in Loop: Header=BB124_9 Depth=2
	s_or_b32 exec_lo, exec_lo, s18
	s_ashr_i32 s15, s14, 31
	v_add_nc_u32_e32 v8, s33, v8
	v_cmp_le_i64_e64 s15, s[4:5], s[14:15]
	s_add_co_i32 s14, s14, s33
	s_and_b32 vcc_lo, exec_lo, s15
	s_cbranch_vccnz .LBB124_17
.LBB124_9:                              ;   Parent Loop BB124_4 Depth=1
                                        ; =>  This Inner Loop Header: Depth=2
	v_cmp_gt_i32_e32 vcc_lo, v0, v8
	s_mov_b32 s15, 0
                                        ; implicit-def: $vgpr10_vgpr11
	s_and_b32 s18, s3, vcc_lo
	s_delay_alu instid0(SALU_CYCLE_1) | instskip(NEXT) | instid1(SALU_CYCLE_1)
	s_and_saveexec_b32 s19, s18
	s_xor_b32 s18, exec_lo, s19
	s_cbranch_execnz .LBB124_12
; %bb.10:                               ;   in Loop: Header=BB124_9 Depth=2
	s_or_saveexec_b32 s18, s18
	v_mov_b32_e32 v9, v8
	s_xor_b32 exec_lo, exec_lo, s18
	s_cbranch_execnz .LBB124_13
.LBB124_11:                             ;   in Loop: Header=BB124_9 Depth=2
	s_or_b32 exec_lo, exec_lo, s18
	s_and_saveexec_b32 s18, s15
	s_cbranch_execz .LBB124_8
	s_branch .LBB124_16
.LBB124_12:                             ;   in Loop: Header=BB124_9 Depth=2
	v_ashrrev_i32_e32 v9, 31, v8
	s_mov_b32 s15, exec_lo
	s_wait_loadcnt 0x0
	s_delay_alu instid0(VALU_DEP_1) | instskip(NEXT) | instid1(VALU_DEP_1)
	v_mul_u64_e32 v[10:11], s[6:7], v[8:9]
	v_lshl_add_u64 v[10:11], v[10:11], 3, v[4:5]
	global_load_b64 v[10:11], v[10:11], off
	s_wait_xcnt 0x0
	s_or_saveexec_b32 s18, s18
	v_mov_b32_e32 v9, v8
	s_xor_b32 exec_lo, exec_lo, s18
	s_cbranch_execz .LBB124_11
.LBB124_13:                             ;   in Loop: Header=BB124_9 Depth=2
	v_cmp_eq_u32_e32 vcc_lo, v0, v8
	s_mov_b32 s30, s15
                                        ; implicit-def: $vgpr10_vgpr11
	s_and_b32 s31, s3, vcc_lo
	s_delay_alu instid0(SALU_CYCLE_1)
	s_and_saveexec_b32 s19, s31
	s_cbranch_execz .LBB124_15
; %bb.14:                               ;   in Loop: Header=BB124_9 Depth=2
	s_wait_loadcnt 0x0
	global_load_b64 v[10:11], v[6:7], off
	s_or_b32 s30, s15, exec_lo
	s_wait_loadcnt 0x0
	v_div_scale_f64 v[16:17], null, v[10:11], v[10:11], 1.0
	s_delay_alu instid0(VALU_DEP_1) | instskip(SKIP_1) | instid1(TRANS32_DEP_1)
	v_rcp_f64_e32 v[18:19], v[16:17]
	v_nop
	v_fma_f64 v[20:21], -v[16:17], v[18:19], 1.0
	s_delay_alu instid0(VALU_DEP_1) | instskip(NEXT) | instid1(VALU_DEP_1)
	v_fmac_f64_e32 v[18:19], v[18:19], v[20:21]
	v_fma_f64 v[20:21], -v[16:17], v[18:19], 1.0
	s_delay_alu instid0(VALU_DEP_1) | instskip(SKIP_1) | instid1(VALU_DEP_1)
	v_fmac_f64_e32 v[18:19], v[18:19], v[20:21]
	v_div_scale_f64 v[20:21], vcc_lo, 1.0, v[10:11], 1.0
	v_mul_f64_e32 v[22:23], v[20:21], v[18:19]
	s_delay_alu instid0(VALU_DEP_1) | instskip(NEXT) | instid1(VALU_DEP_1)
	v_fma_f64 v[16:17], -v[16:17], v[22:23], v[20:21]
	v_div_fmas_f64 v[16:17], v[16:17], v[18:19], v[22:23]
	s_delay_alu instid0(VALU_DEP_1)
	v_div_fixup_f64 v[10:11], v[16:17], v[10:11], 1.0
.LBB124_15:                             ;   in Loop: Header=BB124_9 Depth=2
	s_wait_xcnt 0x0
	s_or_b32 exec_lo, exec_lo, s19
	v_mov_b32_e32 v9, v0
	s_and_not1_b32 s15, s15, exec_lo
	s_and_b32 s19, s30, exec_lo
	s_delay_alu instid0(SALU_CYCLE_1)
	s_or_b32 s15, s15, s19
	s_or_b32 exec_lo, exec_lo, s18
	s_and_saveexec_b32 s18, s15
	s_cbranch_execz .LBB124_8
.LBB124_16:                             ;   in Loop: Header=BB124_9 Depth=2
	s_load_b32 s15, s[24:25], 0xc
	s_wait_kmcnt 0x0
	s_and_b32 s15, s15, 0xffff
	s_delay_alu instid0(SALU_CYCLE_1) | instskip(NEXT) | instid1(VALU_DEP_1)
	v_mul_lo_u32 v9, v9, s15
	v_lshl_add_u32 v9, v9, 3, v14
	s_wait_loadcnt 0x0
	ds_store_b64 v9, v[10:11]
	s_branch .LBB124_8
.LBB124_17:                             ;   in Loop: Header=BB124_4 Depth=1
	s_load_b32 s6, s[24:25], 0xc
	s_mov_b32 s7, s23
	s_mov_b64 s[14:15], 1
	s_mov_b64 s[18:19], s[26:27]
	s_wait_kmcnt 0x0
	s_and_b32 s6, s6, 0xffff
	s_and_saveexec_b32 s37, s1
	s_cbranch_execz .LBB124_3
.LBB124_18:                             ;   in Loop: Header=BB124_4 Depth=1
	s_wait_kmcnt 0x0
	s_mul_u64 s[30:31], s[12:13], s[22:23]
	s_and_not1_b32 vcc_lo, exec_lo, s36
	v_lshl_add_u64 v[4:5], s[30:31], 3, v[2:3]
	global_load_b64 v[6:7], v[4:5], off
	s_wait_loadcnt 0x0
	v_mul_f64_e32 v[6:7], s[8:9], v[6:7]
	s_cbranch_vccnz .LBB124_25
; %bb.19:                               ;   in Loop: Header=BB124_4 Depth=1
	s_add_nc_u64 s[30:31], s[6:7], s[14:15]
	v_mul_u64_e32 v[10:11], s[14:15], v[0:1]
	v_mul_u64_e32 v[8:9], s[30:31], v[0:1]
	s_lshl_b64 s[30:31], s[6:7], 3
	s_mov_b64 s[34:35], 0
	s_delay_alu instid0(VALU_DEP_2) | instskip(NEXT) | instid1(VALU_DEP_2)
	v_lshl_add_u64 v[10:11], v[10:11], 3, s[18:19]
	v_lshl_add_u64 v[8:9], v[8:9], 3, s[18:19]
	s_branch .LBB124_21
.LBB124_20:                             ;   in Loop: Header=BB124_21 Depth=2
	s_wait_xcnt 0x0
	s_or_b32 exec_lo, exec_lo, s38
	v_add_nc_u64_e32 v[10:11], s[30:31], v[10:11]
	s_add_nc_u64 s[34:35], s[34:35], 1
	s_delay_alu instid0(SALU_CYCLE_1)
	s_cmp_eq_u64 s[28:29], s[34:35]
	s_cbranch_scc1 .LBB124_25
.LBB124_21:                             ;   Parent Loop BB124_4 Depth=1
                                        ; =>  This Inner Loop Header: Depth=2
	s_mov_b32 s38, exec_lo
	s_wait_dscnt 0x0
	s_barrier_signal -1
	s_barrier_wait -1
	s_wait_xcnt 0x0
	v_cmpx_eq_u64_e64 s[34:35], v[0:1]
	s_cbranch_execz .LBB124_23
; %bb.22:                               ;   in Loop: Header=BB124_21 Depth=2
	flat_load_b64 v[16:17], v[8:9]
	s_wait_loadcnt_dscnt 0x0
	v_div_scale_f64 v[18:19], null, v[16:17], v[16:17], 1.0
	v_div_scale_f64 v[24:25], vcc_lo, 1.0, v[16:17], 1.0
	s_delay_alu instid0(VALU_DEP_2) | instskip(SKIP_1) | instid1(TRANS32_DEP_1)
	v_rcp_f64_e32 v[20:21], v[18:19]
	v_nop
	v_fma_f64 v[22:23], -v[18:19], v[20:21], 1.0
	s_delay_alu instid0(VALU_DEP_1) | instskip(NEXT) | instid1(VALU_DEP_1)
	v_fmac_f64_e32 v[20:21], v[20:21], v[22:23]
	v_fma_f64 v[22:23], -v[18:19], v[20:21], 1.0
	s_delay_alu instid0(VALU_DEP_1) | instskip(NEXT) | instid1(VALU_DEP_1)
	v_fmac_f64_e32 v[20:21], v[20:21], v[22:23]
	v_mul_f64_e32 v[22:23], v[24:25], v[20:21]
	s_delay_alu instid0(VALU_DEP_1) | instskip(NEXT) | instid1(VALU_DEP_1)
	v_fma_f64 v[18:19], -v[18:19], v[22:23], v[24:25]
	v_div_fmas_f64 v[18:19], v[18:19], v[20:21], v[22:23]
	s_delay_alu instid0(VALU_DEP_1) | instskip(NEXT) | instid1(VALU_DEP_1)
	v_div_fixup_f64 v[18:19], v[18:19], v[16:17], 1.0
	v_dual_cndmask_b32 v17, v19, v17, s2 :: v_dual_cndmask_b32 v16, v18, v16, s2
	s_delay_alu instid0(VALU_DEP_1)
	v_mul_f64_e32 v[6:7], v[6:7], v[16:17]
	ds_store_b64 v13, v[6:7]
.LBB124_23:                             ;   in Loop: Header=BB124_21 Depth=2
	s_wait_xcnt 0x0
	s_or_b32 exec_lo, exec_lo, s38
	s_delay_alu instid0(SALU_CYCLE_1)
	s_mov_b32 s38, exec_lo
	s_wait_dscnt 0x0
	s_barrier_signal -1
	s_barrier_wait -1
	v_cmpx_lt_u64_e64 s[34:35], v[0:1]
	s_cbranch_execz .LBB124_20
; %bb.24:                               ;   in Loop: Header=BB124_21 Depth=2
	flat_load_b64 v[16:17], v[10:11]
	ds_load_b64 v[18:19], v13
	s_wait_loadcnt_dscnt 0x0
	v_fma_f64 v[6:7], -v[16:17], v[18:19], v[6:7]
	s_branch .LBB124_20
.LBB124_25:                             ;   in Loop: Header=BB124_4 Depth=1
	s_wait_xcnt 0x0
	s_and_saveexec_b32 s30, s0
	s_cbranch_execz .LBB124_2
; %bb.26:                               ;   in Loop: Header=BB124_4 Depth=1
	s_add_nc_u64 s[34:35], s[6:7], s[14:15]
	s_delay_alu instid0(SALU_CYCLE_1) | instskip(NEXT) | instid1(VALU_DEP_1)
	v_mul_u64_e32 v[8:9], s[34:35], v[0:1]
	v_lshl_add_u64 v[8:9], v[8:9], 3, s[18:19]
	flat_load_b64 v[8:9], v[8:9]
	s_wait_loadcnt_dscnt 0x0
	v_div_scale_f64 v[10:11], null, v[8:9], v[8:9], 1.0
	v_div_scale_f64 v[20:21], vcc_lo, 1.0, v[8:9], 1.0
	s_delay_alu instid0(VALU_DEP_2) | instskip(SKIP_1) | instid1(TRANS32_DEP_1)
	v_rcp_f64_e32 v[16:17], v[10:11]
	v_nop
	v_fma_f64 v[18:19], -v[10:11], v[16:17], 1.0
	s_delay_alu instid0(VALU_DEP_1) | instskip(NEXT) | instid1(VALU_DEP_1)
	v_fmac_f64_e32 v[16:17], v[16:17], v[18:19]
	v_fma_f64 v[18:19], -v[10:11], v[16:17], 1.0
	s_delay_alu instid0(VALU_DEP_1) | instskip(NEXT) | instid1(VALU_DEP_1)
	v_fmac_f64_e32 v[16:17], v[16:17], v[18:19]
	v_mul_f64_e32 v[18:19], v[20:21], v[16:17]
	s_delay_alu instid0(VALU_DEP_1) | instskip(NEXT) | instid1(VALU_DEP_1)
	v_fma_f64 v[10:11], -v[10:11], v[18:19], v[20:21]
	v_div_fmas_f64 v[10:11], v[10:11], v[16:17], v[18:19]
	s_delay_alu instid0(VALU_DEP_1) | instskip(SKIP_1) | instid1(VALU_DEP_1)
	v_div_fixup_f64 v[10:11], v[10:11], v[8:9], 1.0
	s_wait_xcnt 0x0
	v_dual_cndmask_b32 v9, v11, v9, s2 :: v_dual_cndmask_b32 v8, v10, v8, s2
	s_delay_alu instid0(VALU_DEP_1)
	v_mul_f64_e32 v[6:7], v[6:7], v[8:9]
	s_branch .LBB124_2
.LBB124_27:
	s_endpgm
	.section	.rodata,"a",@progbits
	.p2align	6, 0x0
	.amdhsa_kernel _ZL39rocblas_trsm_block_forward_substitutionIddPKdPdLb1ELb0ELb0EEv18rocblas_operation_llT0_T1_lllT2_lllib
		.amdhsa_group_segment_fixed_size 0
		.amdhsa_private_segment_fixed_size 0
		.amdhsa_kernarg_size 360
		.amdhsa_user_sgpr_count 2
		.amdhsa_user_sgpr_dispatch_ptr 0
		.amdhsa_user_sgpr_queue_ptr 0
		.amdhsa_user_sgpr_kernarg_segment_ptr 1
		.amdhsa_user_sgpr_dispatch_id 0
		.amdhsa_user_sgpr_kernarg_preload_length 0
		.amdhsa_user_sgpr_kernarg_preload_offset 0
		.amdhsa_user_sgpr_private_segment_size 0
		.amdhsa_wavefront_size32 1
		.amdhsa_uses_dynamic_stack 0
		.amdhsa_enable_private_segment 0
		.amdhsa_system_sgpr_workgroup_id_x 1
		.amdhsa_system_sgpr_workgroup_id_y 1
		.amdhsa_system_sgpr_workgroup_id_z 1
		.amdhsa_system_sgpr_workgroup_info 0
		.amdhsa_system_vgpr_workitem_id 1
		.amdhsa_next_free_vgpr 26
		.amdhsa_next_free_sgpr 39
		.amdhsa_named_barrier_count 0
		.amdhsa_reserve_vcc 1
		.amdhsa_float_round_mode_32 0
		.amdhsa_float_round_mode_16_64 0
		.amdhsa_float_denorm_mode_32 3
		.amdhsa_float_denorm_mode_16_64 3
		.amdhsa_fp16_overflow 0
		.amdhsa_memory_ordered 1
		.amdhsa_forward_progress 1
		.amdhsa_inst_pref_size 12
		.amdhsa_round_robin_scheduling 0
		.amdhsa_exception_fp_ieee_invalid_op 0
		.amdhsa_exception_fp_denorm_src 0
		.amdhsa_exception_fp_ieee_div_zero 0
		.amdhsa_exception_fp_ieee_overflow 0
		.amdhsa_exception_fp_ieee_underflow 0
		.amdhsa_exception_fp_ieee_inexact 0
		.amdhsa_exception_int_div_zero 0
	.end_amdhsa_kernel
	.section	.text._ZL39rocblas_trsm_block_forward_substitutionIddPKdPdLb1ELb0ELb0EEv18rocblas_operation_llT0_T1_lllT2_lllib,"axG",@progbits,_ZL39rocblas_trsm_block_forward_substitutionIddPKdPdLb1ELb0ELb0EEv18rocblas_operation_llT0_T1_lllT2_lllib,comdat
.Lfunc_end124:
	.size	_ZL39rocblas_trsm_block_forward_substitutionIddPKdPdLb1ELb0ELb0EEv18rocblas_operation_llT0_T1_lllT2_lllib, .Lfunc_end124-_ZL39rocblas_trsm_block_forward_substitutionIddPKdPdLb1ELb0ELb0EEv18rocblas_operation_llT0_T1_lllT2_lllib
                                        ; -- End function
	.set _ZL39rocblas_trsm_block_forward_substitutionIddPKdPdLb1ELb0ELb0EEv18rocblas_operation_llT0_T1_lllT2_lllib.num_vgpr, 26
	.set _ZL39rocblas_trsm_block_forward_substitutionIddPKdPdLb1ELb0ELb0EEv18rocblas_operation_llT0_T1_lllT2_lllib.num_agpr, 0
	.set _ZL39rocblas_trsm_block_forward_substitutionIddPKdPdLb1ELb0ELb0EEv18rocblas_operation_llT0_T1_lllT2_lllib.numbered_sgpr, 39
	.set _ZL39rocblas_trsm_block_forward_substitutionIddPKdPdLb1ELb0ELb0EEv18rocblas_operation_llT0_T1_lllT2_lllib.num_named_barrier, 0
	.set _ZL39rocblas_trsm_block_forward_substitutionIddPKdPdLb1ELb0ELb0EEv18rocblas_operation_llT0_T1_lllT2_lllib.private_seg_size, 0
	.set _ZL39rocblas_trsm_block_forward_substitutionIddPKdPdLb1ELb0ELb0EEv18rocblas_operation_llT0_T1_lllT2_lllib.uses_vcc, 1
	.set _ZL39rocblas_trsm_block_forward_substitutionIddPKdPdLb1ELb0ELb0EEv18rocblas_operation_llT0_T1_lllT2_lllib.uses_flat_scratch, 0
	.set _ZL39rocblas_trsm_block_forward_substitutionIddPKdPdLb1ELb0ELb0EEv18rocblas_operation_llT0_T1_lllT2_lllib.has_dyn_sized_stack, 0
	.set _ZL39rocblas_trsm_block_forward_substitutionIddPKdPdLb1ELb0ELb0EEv18rocblas_operation_llT0_T1_lllT2_lllib.has_recursion, 0
	.set _ZL39rocblas_trsm_block_forward_substitutionIddPKdPdLb1ELb0ELb0EEv18rocblas_operation_llT0_T1_lllT2_lllib.has_indirect_call, 0
	.section	.AMDGPU.csdata,"",@progbits
; Kernel info:
; codeLenInByte = 1448
; TotalNumSgprs: 41
; NumVgprs: 26
; ScratchSize: 0
; MemoryBound: 1
; FloatMode: 240
; IeeeMode: 1
; LDSByteSize: 0 bytes/workgroup (compile time only)
; SGPRBlocks: 0
; VGPRBlocks: 1
; NumSGPRsForWavesPerEU: 41
; NumVGPRsForWavesPerEU: 26
; NamedBarCnt: 0
; Occupancy: 16
; WaveLimiterHint : 0
; COMPUTE_PGM_RSRC2:SCRATCH_EN: 0
; COMPUTE_PGM_RSRC2:USER_SGPR: 2
; COMPUTE_PGM_RSRC2:TRAP_HANDLER: 0
; COMPUTE_PGM_RSRC2:TGID_X_EN: 1
; COMPUTE_PGM_RSRC2:TGID_Y_EN: 1
; COMPUTE_PGM_RSRC2:TGID_Z_EN: 1
; COMPUTE_PGM_RSRC2:TIDIG_COMP_CNT: 1
	.section	.text._ZL40rocblas_trsm_block_backward_substitutionIddPKdPdLb1ELb0ELb0EEv18rocblas_operation_llT0_T1_lllT2_lllib,"axG",@progbits,_ZL40rocblas_trsm_block_backward_substitutionIddPKdPdLb1ELb0ELb0EEv18rocblas_operation_llT0_T1_lllT2_lllib,comdat
	.globl	_ZL40rocblas_trsm_block_backward_substitutionIddPKdPdLb1ELb0ELb0EEv18rocblas_operation_llT0_T1_lllT2_lllib ; -- Begin function _ZL40rocblas_trsm_block_backward_substitutionIddPKdPdLb1ELb0ELb0EEv18rocblas_operation_llT0_T1_lllT2_lllib
	.p2align	8
	.type	_ZL40rocblas_trsm_block_backward_substitutionIddPKdPdLb1ELb0ELb0EEv18rocblas_operation_llT0_T1_lllT2_lllib,@function
_ZL40rocblas_trsm_block_backward_substitutionIddPKdPdLb1ELb0ELb0EEv18rocblas_operation_llT0_T1_lllT2_lllib: ; @_ZL40rocblas_trsm_block_backward_substitutionIddPKdPdLb1ELb0ELb0EEv18rocblas_operation_llT0_T1_lllT2_lllib
; %bb.0:
	s_load_b64 s[24:25], s[0:1], 0x60
	s_bfe_u32 s2, ttmp6, 0x40014
	s_lshr_b32 s3, ttmp7, 16
	s_add_co_i32 s2, s2, 1
	s_bfe_u32 s5, ttmp6, 0x40008
	s_mul_i32 s4, s3, s2
	s_getreg_b32 s2, hwreg(HW_REG_IB_STS2, 6, 4)
	s_add_co_i32 s5, s5, s4
	s_cmp_eq_u32 s2, 0
	s_mov_b32 s27, 0
	s_cselect_b32 s26, s3, s5
	s_wait_kmcnt 0x0
	s_cmp_ge_u32 s26, s24
	s_cbranch_scc1 .LBB125_29
; %bb.1:
	s_clause 0x2
	s_load_b128 s[20:23], s[0:1], 0x48
	s_load_u16 s33, s[0:1], 0x76
	s_load_b512 s[4:19], s[0:1], 0x8
	v_and_b32_e32 v2, 0x3ff, v0
	v_mov_b32_e32 v1, 0
	s_bitcmp1_b32 s25, 0
	s_add_nc_u64 s[28:29], s[0:1], 0x68
	v_bfe_u32 v18, v0, 10, 10
	s_delay_alu instid0(VALU_DEP_2) | instskip(SKIP_2) | instid1(VALU_DEP_3)
	v_dual_mov_b32 v3, v1 :: v_dual_lshlrev_b32 v6, 3, v2
	v_mov_b32_e32 v7, v1
	s_mov_b64 s[30:31], src_shared_base
	v_lshl_add_u32 v19, v18, 3, 0
	s_wait_kmcnt 0x0
	v_mul_u64_e32 v[8:9], s[22:23], v[2:3]
	s_load_b64 s[22:23], s[0:1], 0x58
	v_mul_u64_e32 v[4:5], s[14:15], v[2:3]
	s_wait_xcnt 0x0
	s_cselect_b32 s0, -1, 0
	s_bfe_u32 s3, ttmp6, 0x40010
	s_and_b32 s1, ttmp7, 0xffff
	s_add_co_i32 s3, s3, 1
	s_bfe_u32 s25, ttmp6, 0x40004
	s_mul_i32 s3, s1, s3
	s_lshl_b64 s[34:35], s[12:13], 3
	s_add_co_i32 s25, s25, s3
	s_lshl_b64 s[20:21], s[20:21], 3
	s_cmp_eq_u32 s2, 0
	s_add_nc_u64 s[18:19], s[18:19], s[20:21]
	s_cselect_b32 s1, s1, s25
	v_cmp_le_i64_e64 s25, s[4:5], v[2:3]
	v_mad_u32 v0, s1, s33, v18
	v_cmp_gt_i64_e64 s2, s[4:5], v[2:3]
	s_lshl_b32 s3, s33, 3
	v_cmp_gt_i64_e64 s38, s[4:5], 0
	v_cmp_gt_i64_e64 s39, s[4:5], 1
	s_add_co_i32 s30, s3, 0
	v_cmp_eq_u32_e64 s1, 0, v2
	v_add_nc_u32_e32 v20, s30, v6
	s_add_nc_u64 s[12:13], s[4:5], -1
	s_xor_b32 s41, s25, -1
	v_cmp_gt_i64_e32 vcc_lo, s[6:7], v[0:1]
	s_add_nc_u64 s[6:7], s[10:11], s[34:35]
	s_lshl_b64 s[10:11], s[12:13], 3
	v_lshl_add_u64 v[8:9], v[8:9], 3, s[18:19]
	s_and_b32 s40, vcc_lo, s2
	s_delay_alu instid0(VALU_DEP_1)
	v_lshl_add_u64 v[8:9], v[0:1], 3, v[8:9]
	v_lshlrev_b32_e32 v0, 3, v2
	s_branch .LBB125_4
.LBB125_2:                              ;   in Loop: Header=BB125_4 Depth=1
	s_or_b32 exec_lo, exec_lo, s34
	global_store_b64 v[10:11], v[12:13], off
.LBB125_3:                              ;   in Loop: Header=BB125_4 Depth=1
	s_wait_xcnt 0x0
	s_or_b32 exec_lo, exec_lo, s3
	s_add_co_i32 s26, s26, 0x10000
	s_delay_alu instid0(SALU_CYCLE_1)
	s_cmp_lt_u32 s26, s24
	s_cbranch_scc0 .LBB125_29
.LBB125_4:                              ; =>This Loop Header: Depth=1
                                        ;     Child Loop BB125_8 Depth 2
                                        ;     Child Loop BB125_23 Depth 2
	s_mul_u64 s[18:19], s[16:17], s[26:27]
	s_and_not1_b32 vcc_lo, exec_lo, s0
	s_lshl_b64 s[18:19], s[18:19], 3
	s_delay_alu instid0(SALU_CYCLE_1)
	s_add_nc_u64 s[18:19], s[6:7], s[18:19]
	s_cbranch_vccnz .LBB125_18
; %bb.5:                                ;   in Loop: Header=BB125_4 Depth=1
	s_and_not1_b32 vcc_lo, exec_lo, s38
	s_cbranch_vccnz .LBB125_19
; %bb.6:                                ;   in Loop: Header=BB125_4 Depth=1
	v_add_nc_u64_e32 v[10:11], s[18:19], v[0:1]
	v_mov_b32_e32 v14, v18
	s_mov_b32 s18, s33
	s_delay_alu instid0(VALU_DEP_2)
	v_lshl_add_u64 v[12:13], v[4:5], 3, v[10:11]
	s_branch .LBB125_8
.LBB125_7:                              ;   in Loop: Header=BB125_8 Depth=2
	s_or_b32 exec_lo, exec_lo, s19
	s_ashr_i32 s19, s18, 31
	v_add_nc_u32_e32 v14, s33, v14
	v_cmp_le_i64_e64 s3, s[4:5], s[18:19]
	s_add_co_i32 s18, s18, s33
	s_and_b32 vcc_lo, exec_lo, s3
	s_cbranch_vccnz .LBB125_19
.LBB125_8:                              ;   Parent Loop BB125_4 Depth=1
                                        ; =>  This Inner Loop Header: Depth=2
	s_mov_b32 s3, 0
	s_mov_b32 s20, s25
                                        ; implicit-def: $vgpr16_vgpr17
	s_and_saveexec_b32 s19, s2
	s_cbranch_execnz .LBB125_11
; %bb.9:                                ;   in Loop: Header=BB125_8 Depth=2
	s_or_b32 exec_lo, exec_lo, s19
	v_mov_b32_e32 v15, v14
	s_and_saveexec_b32 s19, s20
	s_cbranch_execnz .LBB125_14
.LBB125_10:                             ;   in Loop: Header=BB125_8 Depth=2
	s_or_b32 exec_lo, exec_lo, s19
	s_and_saveexec_b32 s19, s3
	s_cbranch_execz .LBB125_7
	s_branch .LBB125_17
.LBB125_11:                             ;   in Loop: Header=BB125_8 Depth=2
	v_ashrrev_i32_e32 v15, 31, v14
	v_cmp_lt_i32_e64 s3, v2, v14
	s_mov_b32 s20, -1
                                        ; implicit-def: $vgpr16_vgpr17
	v_cmp_gt_i64_e32 vcc_lo, s[4:5], v[14:15]
	s_and_b32 s34, s3, vcc_lo
	s_mov_b32 s3, 0
	s_and_saveexec_b32 s21, s34
	s_cbranch_execz .LBB125_13
; %bb.12:                               ;   in Loop: Header=BB125_8 Depth=2
	s_wait_loadcnt 0x0
	v_mul_u64_e32 v[16:17], s[14:15], v[14:15]
	s_mov_b32 s3, exec_lo
	s_xor_b32 s20, exec_lo, -1
	s_delay_alu instid0(VALU_DEP_1)
	v_lshl_add_u64 v[16:17], v[16:17], 3, v[10:11]
	global_load_b64 v[16:17], v[16:17], off
.LBB125_13:                             ;   in Loop: Header=BB125_8 Depth=2
	s_wait_xcnt 0x0
	s_or_b32 exec_lo, exec_lo, s21
	s_delay_alu instid0(SALU_CYCLE_1)
	s_and_not1_b32 s21, s25, exec_lo
	s_and_b32 s20, s20, exec_lo
	s_and_b32 s3, s3, exec_lo
	s_or_b32 s20, s21, s20
	s_or_b32 exec_lo, exec_lo, s19
	v_mov_b32_e32 v15, v14
	s_and_saveexec_b32 s19, s20
	s_cbranch_execz .LBB125_10
.LBB125_14:                             ;   in Loop: Header=BB125_8 Depth=2
	v_cmp_eq_u32_e32 vcc_lo, v2, v14
	s_mov_b32 s21, s3
                                        ; implicit-def: $vgpr16_vgpr17
	s_and_b32 s34, s41, vcc_lo
	s_delay_alu instid0(SALU_CYCLE_1)
	s_and_saveexec_b32 s20, s34
	s_cbranch_execz .LBB125_16
; %bb.15:                               ;   in Loop: Header=BB125_8 Depth=2
	s_wait_loadcnt 0x0
	global_load_b64 v[16:17], v[12:13], off
	s_or_b32 s21, s3, exec_lo
	s_wait_loadcnt 0x0
	v_div_scale_f64 v[22:23], null, v[16:17], v[16:17], 1.0
	s_delay_alu instid0(VALU_DEP_1) | instskip(SKIP_1) | instid1(TRANS32_DEP_1)
	v_rcp_f64_e32 v[24:25], v[22:23]
	v_nop
	v_fma_f64 v[26:27], -v[22:23], v[24:25], 1.0
	s_delay_alu instid0(VALU_DEP_1) | instskip(NEXT) | instid1(VALU_DEP_1)
	v_fmac_f64_e32 v[24:25], v[24:25], v[26:27]
	v_fma_f64 v[26:27], -v[22:23], v[24:25], 1.0
	s_delay_alu instid0(VALU_DEP_1) | instskip(SKIP_1) | instid1(VALU_DEP_1)
	v_fmac_f64_e32 v[24:25], v[24:25], v[26:27]
	v_div_scale_f64 v[26:27], vcc_lo, 1.0, v[16:17], 1.0
	v_mul_f64_e32 v[28:29], v[26:27], v[24:25]
	s_delay_alu instid0(VALU_DEP_1) | instskip(NEXT) | instid1(VALU_DEP_1)
	v_fma_f64 v[22:23], -v[22:23], v[28:29], v[26:27]
	v_div_fmas_f64 v[22:23], v[22:23], v[24:25], v[28:29]
	s_delay_alu instid0(VALU_DEP_1)
	v_div_fixup_f64 v[16:17], v[22:23], v[16:17], 1.0
.LBB125_16:                             ;   in Loop: Header=BB125_8 Depth=2
	s_wait_xcnt 0x0
	s_or_b32 exec_lo, exec_lo, s20
	v_mov_b32_e32 v15, v2
	s_and_not1_b32 s3, s3, exec_lo
	s_and_b32 s20, s21, exec_lo
	s_delay_alu instid0(SALU_CYCLE_1)
	s_or_b32 s3, s3, s20
	s_or_b32 exec_lo, exec_lo, s19
	s_and_saveexec_b32 s19, s3
	s_cbranch_execz .LBB125_7
.LBB125_17:                             ;   in Loop: Header=BB125_8 Depth=2
	s_load_b32 s3, s[28:29], 0xc
	s_wait_kmcnt 0x0
	s_and_b32 s3, s3, 0xffff
	s_delay_alu instid0(SALU_CYCLE_1) | instskip(NEXT) | instid1(VALU_DEP_1)
	v_mul_lo_u32 v15, v15, s3
	v_lshl_add_u32 v15, v15, 3, v20
	s_wait_loadcnt 0x0
	ds_store_b64 v15, v[16:17]
	s_branch .LBB125_7
.LBB125_18:                             ;   in Loop: Header=BB125_4 Depth=1
	s_mov_b64 s[20:21], s[14:15]
	s_and_saveexec_b32 s3, s40
	s_cbranch_execz .LBB125_3
	s_branch .LBB125_20
.LBB125_19:                             ;   in Loop: Header=BB125_4 Depth=1
	s_load_b32 s3, s[28:29], 0xc
	s_mov_b32 s21, s27
	s_mov_b64 s[18:19], s[30:31]
	s_wait_kmcnt 0x0
	s_and_b32 s20, s3, 0xffff
	s_and_saveexec_b32 s3, s40
	s_cbranch_execz .LBB125_3
.LBB125_20:                             ;   in Loop: Header=BB125_4 Depth=1
	s_wait_kmcnt 0x0
	s_mul_u64 s[34:35], s[22:23], s[26:27]
	s_and_not1_b32 vcc_lo, exec_lo, s39
	v_lshl_add_u64 v[10:11], s[34:35], 3, v[8:9]
	global_load_b64 v[12:13], v[10:11], off
	s_wait_loadcnt 0x0
	v_mul_f64_e32 v[12:13], s[8:9], v[12:13]
	s_cbranch_vccnz .LBB125_27
; %bb.21:                               ;   in Loop: Header=BB125_4 Depth=1
	v_mad_nc_u64_u32 v[16:17], v2, s20, v[2:3]
	v_add_nc_u64_e32 v[14:15], s[18:19], v[6:7]
	s_mul_i32 s34, s11, s20
	s_mul_i32 s35, s10, s21
	s_mov_b64 s[36:37], s[12:13]
	s_delay_alu instid0(VALU_DEP_1) | instskip(NEXT) | instid1(VALU_DEP_3)
	v_mad_nc_u64_u32 v[14:15], s10, s20, v[14:15]
	v_mad_u32 v17, v2, s21, v17
	s_delay_alu instid0(VALU_DEP_2) | instskip(SKIP_1) | instid1(SALU_CYCLE_1)
	v_add3_u32 v15, s35, s34, v15
	s_lshl_b64 s[34:35], s[20:21], 3
	s_sub_nc_u64 s[34:35], 0, s[34:35]
	s_delay_alu instid0(VALU_DEP_2)
	v_lshl_add_u64 v[16:17], v[16:17], 3, s[18:19]
	s_branch .LBB125_23
.LBB125_22:                             ;   in Loop: Header=BB125_23 Depth=2
	s_wait_xcnt 0x0
	s_or_b32 exec_lo, exec_lo, s42
	s_add_nc_u64 s[42:43], s[36:37], 1
	v_add_nc_u64_e32 v[14:15], s[34:35], v[14:15]
	v_cmp_lt_u64_e64 s42, s[42:43], 3
	s_add_nc_u64 s[36:37], s[36:37], -1
	s_and_b32 vcc_lo, exec_lo, s42
	s_cbranch_vccnz .LBB125_27
.LBB125_23:                             ;   Parent Loop BB125_4 Depth=1
                                        ; =>  This Inner Loop Header: Depth=2
	s_mov_b32 s42, exec_lo
	s_wait_dscnt 0x0
	s_barrier_signal -1
	s_barrier_wait -1
	s_wait_xcnt 0x0
	v_cmpx_eq_u64_e64 s[36:37], v[2:3]
	s_cbranch_execz .LBB125_25
; %bb.24:                               ;   in Loop: Header=BB125_23 Depth=2
	flat_load_b64 v[22:23], v[16:17]
	s_wait_loadcnt_dscnt 0x0
	v_div_scale_f64 v[24:25], null, v[22:23], v[22:23], 1.0
	v_div_scale_f64 v[30:31], vcc_lo, 1.0, v[22:23], 1.0
	s_delay_alu instid0(VALU_DEP_2) | instskip(SKIP_1) | instid1(TRANS32_DEP_1)
	v_rcp_f64_e32 v[26:27], v[24:25]
	v_nop
	v_fma_f64 v[28:29], -v[24:25], v[26:27], 1.0
	s_delay_alu instid0(VALU_DEP_1) | instskip(NEXT) | instid1(VALU_DEP_1)
	v_fmac_f64_e32 v[26:27], v[26:27], v[28:29]
	v_fma_f64 v[28:29], -v[24:25], v[26:27], 1.0
	s_delay_alu instid0(VALU_DEP_1) | instskip(NEXT) | instid1(VALU_DEP_1)
	v_fmac_f64_e32 v[26:27], v[26:27], v[28:29]
	v_mul_f64_e32 v[28:29], v[30:31], v[26:27]
	s_delay_alu instid0(VALU_DEP_1) | instskip(NEXT) | instid1(VALU_DEP_1)
	v_fma_f64 v[24:25], -v[24:25], v[28:29], v[30:31]
	v_div_fmas_f64 v[24:25], v[24:25], v[26:27], v[28:29]
	s_delay_alu instid0(VALU_DEP_1) | instskip(NEXT) | instid1(VALU_DEP_1)
	v_div_fixup_f64 v[24:25], v[24:25], v[22:23], 1.0
	v_dual_cndmask_b32 v23, v25, v23, s0 :: v_dual_cndmask_b32 v22, v24, v22, s0
	s_delay_alu instid0(VALU_DEP_1)
	v_mul_f64_e32 v[12:13], v[12:13], v[22:23]
	ds_store_b64 v19, v[12:13]
.LBB125_25:                             ;   in Loop: Header=BB125_23 Depth=2
	s_wait_xcnt 0x0
	s_or_b32 exec_lo, exec_lo, s42
	s_delay_alu instid0(SALU_CYCLE_1)
	s_mov_b32 s42, exec_lo
	s_wait_dscnt 0x0
	s_barrier_signal -1
	s_barrier_wait -1
	v_cmpx_gt_i64_e64 s[36:37], v[2:3]
	s_cbranch_execz .LBB125_22
; %bb.26:                               ;   in Loop: Header=BB125_23 Depth=2
	flat_load_b64 v[22:23], v[14:15]
	ds_load_b64 v[24:25], v19
	s_wait_loadcnt_dscnt 0x0
	v_fma_f64 v[12:13], -v[22:23], v[24:25], v[12:13]
	s_branch .LBB125_22
.LBB125_27:                             ;   in Loop: Header=BB125_4 Depth=1
	s_wait_xcnt 0x0
	s_and_saveexec_b32 s34, s1
	s_cbranch_execz .LBB125_2
; %bb.28:                               ;   in Loop: Header=BB125_4 Depth=1
	v_mad_nc_u64_u32 v[14:15], v2, s20, v[2:3]
	s_delay_alu instid0(VALU_DEP_1) | instskip(NEXT) | instid1(VALU_DEP_1)
	v_mad_u32 v15, v2, s21, v15
	v_lshl_add_u64 v[14:15], v[14:15], 3, s[18:19]
	flat_load_b64 v[14:15], v[14:15]
	s_wait_loadcnt_dscnt 0x0
	v_div_scale_f64 v[16:17], null, v[14:15], v[14:15], 1.0
	v_div_scale_f64 v[26:27], vcc_lo, 1.0, v[14:15], 1.0
	s_delay_alu instid0(VALU_DEP_2) | instskip(SKIP_1) | instid1(TRANS32_DEP_1)
	v_rcp_f64_e32 v[22:23], v[16:17]
	v_nop
	v_fma_f64 v[24:25], -v[16:17], v[22:23], 1.0
	s_delay_alu instid0(VALU_DEP_1) | instskip(NEXT) | instid1(VALU_DEP_1)
	v_fmac_f64_e32 v[22:23], v[22:23], v[24:25]
	v_fma_f64 v[24:25], -v[16:17], v[22:23], 1.0
	s_delay_alu instid0(VALU_DEP_1) | instskip(NEXT) | instid1(VALU_DEP_1)
	v_fmac_f64_e32 v[22:23], v[22:23], v[24:25]
	v_mul_f64_e32 v[24:25], v[26:27], v[22:23]
	s_delay_alu instid0(VALU_DEP_1) | instskip(NEXT) | instid1(VALU_DEP_1)
	v_fma_f64 v[16:17], -v[16:17], v[24:25], v[26:27]
	v_div_fmas_f64 v[16:17], v[16:17], v[22:23], v[24:25]
	s_delay_alu instid0(VALU_DEP_1) | instskip(SKIP_1) | instid1(VALU_DEP_1)
	v_div_fixup_f64 v[16:17], v[16:17], v[14:15], 1.0
	s_wait_xcnt 0x0
	v_dual_cndmask_b32 v15, v17, v15, s0 :: v_dual_cndmask_b32 v14, v16, v14, s0
	s_delay_alu instid0(VALU_DEP_1)
	v_mul_f64_e32 v[12:13], v[12:13], v[14:15]
	s_branch .LBB125_2
.LBB125_29:
	s_endpgm
	.section	.rodata,"a",@progbits
	.p2align	6, 0x0
	.amdhsa_kernel _ZL40rocblas_trsm_block_backward_substitutionIddPKdPdLb1ELb0ELb0EEv18rocblas_operation_llT0_T1_lllT2_lllib
		.amdhsa_group_segment_fixed_size 0
		.amdhsa_private_segment_fixed_size 0
		.amdhsa_kernarg_size 360
		.amdhsa_user_sgpr_count 2
		.amdhsa_user_sgpr_dispatch_ptr 0
		.amdhsa_user_sgpr_queue_ptr 0
		.amdhsa_user_sgpr_kernarg_segment_ptr 1
		.amdhsa_user_sgpr_dispatch_id 0
		.amdhsa_user_sgpr_kernarg_preload_length 0
		.amdhsa_user_sgpr_kernarg_preload_offset 0
		.amdhsa_user_sgpr_private_segment_size 0
		.amdhsa_wavefront_size32 1
		.amdhsa_uses_dynamic_stack 0
		.amdhsa_enable_private_segment 0
		.amdhsa_system_sgpr_workgroup_id_x 1
		.amdhsa_system_sgpr_workgroup_id_y 1
		.amdhsa_system_sgpr_workgroup_id_z 1
		.amdhsa_system_sgpr_workgroup_info 0
		.amdhsa_system_vgpr_workitem_id 1
		.amdhsa_next_free_vgpr 32
		.amdhsa_next_free_sgpr 44
		.amdhsa_named_barrier_count 0
		.amdhsa_reserve_vcc 1
		.amdhsa_float_round_mode_32 0
		.amdhsa_float_round_mode_16_64 0
		.amdhsa_float_denorm_mode_32 3
		.amdhsa_float_denorm_mode_16_64 3
		.amdhsa_fp16_overflow 0
		.amdhsa_memory_ordered 1
		.amdhsa_forward_progress 1
		.amdhsa_inst_pref_size 13
		.amdhsa_round_robin_scheduling 0
		.amdhsa_exception_fp_ieee_invalid_op 0
		.amdhsa_exception_fp_denorm_src 0
		.amdhsa_exception_fp_ieee_div_zero 0
		.amdhsa_exception_fp_ieee_overflow 0
		.amdhsa_exception_fp_ieee_underflow 0
		.amdhsa_exception_fp_ieee_inexact 0
		.amdhsa_exception_int_div_zero 0
	.end_amdhsa_kernel
	.section	.text._ZL40rocblas_trsm_block_backward_substitutionIddPKdPdLb1ELb0ELb0EEv18rocblas_operation_llT0_T1_lllT2_lllib,"axG",@progbits,_ZL40rocblas_trsm_block_backward_substitutionIddPKdPdLb1ELb0ELb0EEv18rocblas_operation_llT0_T1_lllT2_lllib,comdat
.Lfunc_end125:
	.size	_ZL40rocblas_trsm_block_backward_substitutionIddPKdPdLb1ELb0ELb0EEv18rocblas_operation_llT0_T1_lllT2_lllib, .Lfunc_end125-_ZL40rocblas_trsm_block_backward_substitutionIddPKdPdLb1ELb0ELb0EEv18rocblas_operation_llT0_T1_lllT2_lllib
                                        ; -- End function
	.set _ZL40rocblas_trsm_block_backward_substitutionIddPKdPdLb1ELb0ELb0EEv18rocblas_operation_llT0_T1_lllT2_lllib.num_vgpr, 32
	.set _ZL40rocblas_trsm_block_backward_substitutionIddPKdPdLb1ELb0ELb0EEv18rocblas_operation_llT0_T1_lllT2_lllib.num_agpr, 0
	.set _ZL40rocblas_trsm_block_backward_substitutionIddPKdPdLb1ELb0ELb0EEv18rocblas_operation_llT0_T1_lllT2_lllib.numbered_sgpr, 44
	.set _ZL40rocblas_trsm_block_backward_substitutionIddPKdPdLb1ELb0ELb0EEv18rocblas_operation_llT0_T1_lllT2_lllib.num_named_barrier, 0
	.set _ZL40rocblas_trsm_block_backward_substitutionIddPKdPdLb1ELb0ELb0EEv18rocblas_operation_llT0_T1_lllT2_lllib.private_seg_size, 0
	.set _ZL40rocblas_trsm_block_backward_substitutionIddPKdPdLb1ELb0ELb0EEv18rocblas_operation_llT0_T1_lllT2_lllib.uses_vcc, 1
	.set _ZL40rocblas_trsm_block_backward_substitutionIddPKdPdLb1ELb0ELb0EEv18rocblas_operation_llT0_T1_lllT2_lllib.uses_flat_scratch, 0
	.set _ZL40rocblas_trsm_block_backward_substitutionIddPKdPdLb1ELb0ELb0EEv18rocblas_operation_llT0_T1_lllT2_lllib.has_dyn_sized_stack, 0
	.set _ZL40rocblas_trsm_block_backward_substitutionIddPKdPdLb1ELb0ELb0EEv18rocblas_operation_llT0_T1_lllT2_lllib.has_recursion, 0
	.set _ZL40rocblas_trsm_block_backward_substitutionIddPKdPdLb1ELb0ELb0EEv18rocblas_operation_llT0_T1_lllT2_lllib.has_indirect_call, 0
	.section	.AMDGPU.csdata,"",@progbits
; Kernel info:
; codeLenInByte = 1540
; TotalNumSgprs: 46
; NumVgprs: 32
; ScratchSize: 0
; MemoryBound: 1
; FloatMode: 240
; IeeeMode: 1
; LDSByteSize: 0 bytes/workgroup (compile time only)
; SGPRBlocks: 0
; VGPRBlocks: 1
; NumSGPRsForWavesPerEU: 46
; NumVGPRsForWavesPerEU: 32
; NamedBarCnt: 0
; Occupancy: 16
; WaveLimiterHint : 0
; COMPUTE_PGM_RSRC2:SCRATCH_EN: 0
; COMPUTE_PGM_RSRC2:USER_SGPR: 2
; COMPUTE_PGM_RSRC2:TRAP_HANDLER: 0
; COMPUTE_PGM_RSRC2:TGID_X_EN: 1
; COMPUTE_PGM_RSRC2:TGID_Y_EN: 1
; COMPUTE_PGM_RSRC2:TGID_Z_EN: 1
; COMPUTE_PGM_RSRC2:TIDIG_COMP_CNT: 1
	.section	.text._ZL39rocblas_trsm_block_forward_substitutionIddPKdPdLb1ELb0ELb1EEv18rocblas_operation_llT0_T1_lllT2_lllib,"axG",@progbits,_ZL39rocblas_trsm_block_forward_substitutionIddPKdPdLb1ELb0ELb1EEv18rocblas_operation_llT0_T1_lllT2_lllib,comdat
	.globl	_ZL39rocblas_trsm_block_forward_substitutionIddPKdPdLb1ELb0ELb1EEv18rocblas_operation_llT0_T1_lllT2_lllib ; -- Begin function _ZL39rocblas_trsm_block_forward_substitutionIddPKdPdLb1ELb0ELb1EEv18rocblas_operation_llT0_T1_lllT2_lllib
	.p2align	8
	.type	_ZL39rocblas_trsm_block_forward_substitutionIddPKdPdLb1ELb0ELb1EEv18rocblas_operation_llT0_T1_lllT2_lllib,@function
_ZL39rocblas_trsm_block_forward_substitutionIddPKdPdLb1ELb0ELb1EEv18rocblas_operation_llT0_T1_lllT2_lllib: ; @_ZL39rocblas_trsm_block_forward_substitutionIddPKdPdLb1ELb0ELb1EEv18rocblas_operation_llT0_T1_lllT2_lllib
; %bb.0:
	s_load_b64 s[2:3], s[0:1], 0x60
	s_bfe_u32 s4, ttmp6, 0x40014
	s_lshr_b32 s5, ttmp7, 16
	s_add_co_i32 s4, s4, 1
	s_bfe_u32 s6, ttmp6, 0x40008
	s_mul_i32 s4, s5, s4
	s_getreg_b32 s22, hwreg(HW_REG_IB_STS2, 6, 4)
	s_add_co_i32 s6, s6, s4
	s_cmp_eq_u32 s22, 0
	s_mov_b32 s21, 0
	s_cselect_b32 s20, s5, s6
	s_wait_kmcnt 0x0
	s_cmp_ge_u32 s20, s2
	s_cbranch_scc1 .LBB126_19
; %bb.1:
	s_clause 0x2
	s_load_b512 s[4:19], s[0:1], 0x8
	s_load_b128 s[24:27], s[0:1], 0x48
	s_load_u16 s30, s[0:1], 0x76
	s_bitcmp1_b32 s3, 0
	s_mov_b64 s[28:29], src_shared_base
	s_cselect_b32 s3, -1, 0
	s_bfe_u32 s23, ttmp6, 0x40010
	s_and_b32 s28, ttmp7, 0xffff
	s_add_co_i32 s23, s23, 1
	s_bfe_u32 s31, ttmp6, 0x40004
	s_mul_i32 s23, s28, s23
	v_bfe_u32 v10, v0, 10, 10
	s_add_co_i32 s31, s31, s23
	v_mov_b32_e32 v3, 0
	v_and_b32_e32 v0, 0x3ff, v0
	s_delay_alu instid0(VALU_DEP_3) | instskip(NEXT) | instid1(VALU_DEP_3)
	v_lshl_add_u32 v11, v10, 3, 0
	v_mov_b32_e32 v1, v3
	s_wait_kmcnt 0x0
	s_lshl_b64 s[34:35], s[12:13], 3
	s_lshl_b64 s[36:37], s[24:25], 3
	s_cmp_eq_u32 s22, 0
	s_add_nc_u64 s[18:19], s[18:19], s[36:37]
	s_cselect_b32 s12, s28, s31
	s_add_nc_u64 s[22:23], s[0:1], 0x68
	v_mad_u32 v2, s12, s30, v10
	s_load_b64 s[12:13], s[0:1], 0x58
	s_wait_xcnt 0x0
	v_cmp_gt_i64_e64 s0, s[4:5], v[0:1]
	s_lshl_b32 s24, s30, 3
	v_cmp_gt_i64_e64 s1, s[4:5], 0
	s_add_co_i32 s24, s24, 0
	v_cmp_gt_i64_e64 s31, s[4:5], 1
	v_lshl_add_u32 v12, v0, 3, s24
	s_mov_b32 s25, s29
	v_mul_u64_e32 v[4:5], s[26:27], v[2:3]
	v_cmp_gt_i64_e32 vcc_lo, s[6:7], v[2:3]
	s_add_nc_u64 s[6:7], s[10:11], s[34:35]
	s_add_nc_u64 s[10:11], s[4:5], -1
	s_and_b32 s33, vcc_lo, s0
	s_delay_alu instid0(VALU_DEP_2) | instskip(SKIP_1) | instid1(VALU_DEP_1)
	v_lshl_add_u64 v[4:5], v[4:5], 3, s[18:19]
	s_mov_b64 s[18:19], 1
	v_lshl_add_u64 v[2:3], v[0:1], 3, v[4:5]
	s_branch .LBB126_4
.LBB126_2:                              ;   in Loop: Header=BB126_4 Depth=1
	global_store_b64 v[4:5], v[6:7], off
.LBB126_3:                              ;   in Loop: Header=BB126_4 Depth=1
	s_wait_xcnt 0x0
	s_or_b32 exec_lo, exec_lo, s34
	s_add_co_i32 s20, s20, 0x10000
	s_delay_alu instid0(SALU_CYCLE_1)
	s_cmp_lt_u32 s20, s2
	s_cbranch_scc0 .LBB126_19
.LBB126_4:                              ; =>This Loop Header: Depth=1
                                        ;     Child Loop BB126_9 Depth 2
                                        ;     Child Loop BB126_15 Depth 2
	s_mul_u64 s[26:27], s[16:17], s[20:21]
	s_and_not1_b32 vcc_lo, exec_lo, s3
	s_lshl_b64 s[26:27], s[26:27], 3
	s_delay_alu instid0(SALU_CYCLE_1)
	s_add_nc_u64 s[26:27], s[6:7], s[26:27]
	s_cbranch_vccz .LBB126_6
; %bb.5:                                ;   in Loop: Header=BB126_4 Depth=1
	s_and_saveexec_b32 s34, s33
	s_cbranch_execz .LBB126_3
	s_branch .LBB126_12
.LBB126_6:                              ;   in Loop: Header=BB126_4 Depth=1
	s_and_not1_b32 vcc_lo, exec_lo, s1
	s_cbranch_vccnz .LBB126_11
; %bb.7:                                ;   in Loop: Header=BB126_4 Depth=1
	v_mul_u64_e32 v[4:5], s[14:15], v[0:1]
	s_mov_b32 s14, 0
	s_delay_alu instid0(VALU_DEP_1)
	v_lshl_add_u64 v[4:5], v[4:5], 3, s[26:27]
	s_branch .LBB126_9
.LBB126_8:                              ;   in Loop: Header=BB126_9 Depth=2
	s_wait_xcnt 0x0
	s_or_b32 exec_lo, exec_lo, s15
	s_add_co_i32 s14, s14, s30
	s_delay_alu instid0(SALU_CYCLE_1) | instskip(NEXT) | instid1(SALU_CYCLE_1)
	s_ashr_i32 s15, s14, 31
	v_cmp_le_i64_e64 s15, s[4:5], s[14:15]
	s_and_b32 vcc_lo, exec_lo, s15
	s_cbranch_vccnz .LBB126_11
.LBB126_9:                              ;   Parent Loop BB126_4 Depth=1
                                        ; =>  This Inner Loop Header: Depth=2
	v_add_nc_u32_e32 v6, s14, v10
	s_delay_alu instid0(VALU_DEP_1) | instskip(SKIP_1) | instid1(SALU_CYCLE_1)
	v_cmp_gt_i32_e32 vcc_lo, v0, v6
	s_and_b32 s26, s0, vcc_lo
	s_and_saveexec_b32 s15, s26
	s_cbranch_execz .LBB126_8
; %bb.10:                               ;   in Loop: Header=BB126_9 Depth=2
	v_ashrrev_i32_e32 v7, 31, v6
	s_load_b32 s26, s[22:23], 0xc
	s_delay_alu instid0(VALU_DEP_1) | instskip(SKIP_2) | instid1(SALU_CYCLE_1)
	v_mul_u64_e32 v[8:9], s[18:19], v[6:7]
	s_wait_kmcnt 0x0
	s_and_b32 s26, s26, 0xffff
	v_mul_lo_u32 v6, v6, s26
	s_delay_alu instid0(VALU_DEP_1) | instskip(NEXT) | instid1(VALU_DEP_3)
	v_lshl_add_u32 v6, v6, 3, v12
	v_lshl_add_u64 v[8:9], v[8:9], 3, v[4:5]
	global_load_b64 v[8:9], v[8:9], off
	s_wait_loadcnt 0x0
	ds_store_b64 v6, v[8:9]
	s_branch .LBB126_8
.LBB126_11:                             ;   in Loop: Header=BB126_4 Depth=1
	s_load_b32 s18, s[22:23], 0xc
	s_mov_b32 s19, s21
	s_mov_b64 s[14:15], 1
	s_mov_b64 s[26:27], s[24:25]
	s_wait_kmcnt 0x0
	s_and_b32 s18, s18, 0xffff
	s_and_saveexec_b32 s34, s33
	s_cbranch_execz .LBB126_3
.LBB126_12:                             ;   in Loop: Header=BB126_4 Depth=1
	s_wait_kmcnt 0x0
	s_mul_u64 s[28:29], s[12:13], s[20:21]
	s_and_not1_b32 vcc_lo, exec_lo, s31
	v_lshl_add_u64 v[4:5], s[28:29], 3, v[2:3]
	global_load_b64 v[6:7], v[4:5], off
	s_wait_loadcnt 0x0
	v_mul_f64_e32 v[6:7], s[8:9], v[6:7]
	s_cbranch_vccnz .LBB126_2
; %bb.13:                               ;   in Loop: Header=BB126_4 Depth=1
	v_mul_u64_e32 v[8:9], s[14:15], v[0:1]
	s_mov_b64 s[28:29], 0
	s_delay_alu instid0(VALU_DEP_1)
	v_lshl_add_u64 v[8:9], v[8:9], 3, s[26:27]
	s_lshl_b64 s[26:27], s[18:19], 3
	s_branch .LBB126_15
.LBB126_14:                             ;   in Loop: Header=BB126_15 Depth=2
	s_wait_xcnt 0x0
	s_or_b32 exec_lo, exec_lo, s35
	v_add_nc_u64_e32 v[8:9], s[26:27], v[8:9]
	s_add_nc_u64 s[28:29], s[28:29], 1
	s_delay_alu instid0(SALU_CYCLE_1)
	s_cmp_eq_u64 s[10:11], s[28:29]
	s_cbranch_scc1 .LBB126_2
.LBB126_15:                             ;   Parent Loop BB126_4 Depth=1
                                        ; =>  This Inner Loop Header: Depth=2
	s_mov_b32 s35, exec_lo
	s_wait_dscnt 0x0
	s_barrier_signal -1
	s_barrier_wait -1
	s_wait_xcnt 0x0
	v_cmpx_eq_u64_e64 s[28:29], v[0:1]
; %bb.16:                               ;   in Loop: Header=BB126_15 Depth=2
	ds_store_b64 v11, v[6:7]
; %bb.17:                               ;   in Loop: Header=BB126_15 Depth=2
	s_or_b32 exec_lo, exec_lo, s35
	s_delay_alu instid0(SALU_CYCLE_1)
	s_mov_b32 s35, exec_lo
	s_wait_dscnt 0x0
	s_barrier_signal -1
	s_barrier_wait -1
	v_cmpx_lt_u64_e64 s[28:29], v[0:1]
	s_cbranch_execz .LBB126_14
; %bb.18:                               ;   in Loop: Header=BB126_15 Depth=2
	flat_load_b64 v[14:15], v[8:9]
	ds_load_b64 v[16:17], v11
	s_wait_loadcnt_dscnt 0x0
	v_fma_f64 v[6:7], -v[14:15], v[16:17], v[6:7]
	s_branch .LBB126_14
.LBB126_19:
	s_endpgm
	.section	.rodata,"a",@progbits
	.p2align	6, 0x0
	.amdhsa_kernel _ZL39rocblas_trsm_block_forward_substitutionIddPKdPdLb1ELb0ELb1EEv18rocblas_operation_llT0_T1_lllT2_lllib
		.amdhsa_group_segment_fixed_size 0
		.amdhsa_private_segment_fixed_size 0
		.amdhsa_kernarg_size 360
		.amdhsa_user_sgpr_count 2
		.amdhsa_user_sgpr_dispatch_ptr 0
		.amdhsa_user_sgpr_queue_ptr 0
		.amdhsa_user_sgpr_kernarg_segment_ptr 1
		.amdhsa_user_sgpr_dispatch_id 0
		.amdhsa_user_sgpr_kernarg_preload_length 0
		.amdhsa_user_sgpr_kernarg_preload_offset 0
		.amdhsa_user_sgpr_private_segment_size 0
		.amdhsa_wavefront_size32 1
		.amdhsa_uses_dynamic_stack 0
		.amdhsa_enable_private_segment 0
		.amdhsa_system_sgpr_workgroup_id_x 1
		.amdhsa_system_sgpr_workgroup_id_y 1
		.amdhsa_system_sgpr_workgroup_id_z 1
		.amdhsa_system_sgpr_workgroup_info 0
		.amdhsa_system_vgpr_workitem_id 1
		.amdhsa_next_free_vgpr 18
		.amdhsa_next_free_sgpr 38
		.amdhsa_named_barrier_count 0
		.amdhsa_reserve_vcc 1
		.amdhsa_float_round_mode_32 0
		.amdhsa_float_round_mode_16_64 0
		.amdhsa_float_denorm_mode_32 3
		.amdhsa_float_denorm_mode_16_64 3
		.amdhsa_fp16_overflow 0
		.amdhsa_memory_ordered 1
		.amdhsa_forward_progress 1
		.amdhsa_inst_pref_size 7
		.amdhsa_round_robin_scheduling 0
		.amdhsa_exception_fp_ieee_invalid_op 0
		.amdhsa_exception_fp_denorm_src 0
		.amdhsa_exception_fp_ieee_div_zero 0
		.amdhsa_exception_fp_ieee_overflow 0
		.amdhsa_exception_fp_ieee_underflow 0
		.amdhsa_exception_fp_ieee_inexact 0
		.amdhsa_exception_int_div_zero 0
	.end_amdhsa_kernel
	.section	.text._ZL39rocblas_trsm_block_forward_substitutionIddPKdPdLb1ELb0ELb1EEv18rocblas_operation_llT0_T1_lllT2_lllib,"axG",@progbits,_ZL39rocblas_trsm_block_forward_substitutionIddPKdPdLb1ELb0ELb1EEv18rocblas_operation_llT0_T1_lllT2_lllib,comdat
.Lfunc_end126:
	.size	_ZL39rocblas_trsm_block_forward_substitutionIddPKdPdLb1ELb0ELb1EEv18rocblas_operation_llT0_T1_lllT2_lllib, .Lfunc_end126-_ZL39rocblas_trsm_block_forward_substitutionIddPKdPdLb1ELb0ELb1EEv18rocblas_operation_llT0_T1_lllT2_lllib
                                        ; -- End function
	.set _ZL39rocblas_trsm_block_forward_substitutionIddPKdPdLb1ELb0ELb1EEv18rocblas_operation_llT0_T1_lllT2_lllib.num_vgpr, 18
	.set _ZL39rocblas_trsm_block_forward_substitutionIddPKdPdLb1ELb0ELb1EEv18rocblas_operation_llT0_T1_lllT2_lllib.num_agpr, 0
	.set _ZL39rocblas_trsm_block_forward_substitutionIddPKdPdLb1ELb0ELb1EEv18rocblas_operation_llT0_T1_lllT2_lllib.numbered_sgpr, 38
	.set _ZL39rocblas_trsm_block_forward_substitutionIddPKdPdLb1ELb0ELb1EEv18rocblas_operation_llT0_T1_lllT2_lllib.num_named_barrier, 0
	.set _ZL39rocblas_trsm_block_forward_substitutionIddPKdPdLb1ELb0ELb1EEv18rocblas_operation_llT0_T1_lllT2_lllib.private_seg_size, 0
	.set _ZL39rocblas_trsm_block_forward_substitutionIddPKdPdLb1ELb0ELb1EEv18rocblas_operation_llT0_T1_lllT2_lllib.uses_vcc, 1
	.set _ZL39rocblas_trsm_block_forward_substitutionIddPKdPdLb1ELb0ELb1EEv18rocblas_operation_llT0_T1_lllT2_lllib.uses_flat_scratch, 0
	.set _ZL39rocblas_trsm_block_forward_substitutionIddPKdPdLb1ELb0ELb1EEv18rocblas_operation_llT0_T1_lllT2_lllib.has_dyn_sized_stack, 0
	.set _ZL39rocblas_trsm_block_forward_substitutionIddPKdPdLb1ELb0ELb1EEv18rocblas_operation_llT0_T1_lllT2_lllib.has_recursion, 0
	.set _ZL39rocblas_trsm_block_forward_substitutionIddPKdPdLb1ELb0ELb1EEv18rocblas_operation_llT0_T1_lllT2_lllib.has_indirect_call, 0
	.section	.AMDGPU.csdata,"",@progbits
; Kernel info:
; codeLenInByte = 832
; TotalNumSgprs: 40
; NumVgprs: 18
; ScratchSize: 0
; MemoryBound: 0
; FloatMode: 240
; IeeeMode: 1
; LDSByteSize: 0 bytes/workgroup (compile time only)
; SGPRBlocks: 0
; VGPRBlocks: 1
; NumSGPRsForWavesPerEU: 40
; NumVGPRsForWavesPerEU: 18
; NamedBarCnt: 0
; Occupancy: 16
; WaveLimiterHint : 0
; COMPUTE_PGM_RSRC2:SCRATCH_EN: 0
; COMPUTE_PGM_RSRC2:USER_SGPR: 2
; COMPUTE_PGM_RSRC2:TRAP_HANDLER: 0
; COMPUTE_PGM_RSRC2:TGID_X_EN: 1
; COMPUTE_PGM_RSRC2:TGID_Y_EN: 1
; COMPUTE_PGM_RSRC2:TGID_Z_EN: 1
; COMPUTE_PGM_RSRC2:TIDIG_COMP_CNT: 1
	.section	.text._ZL40rocblas_trsm_block_backward_substitutionIddPKdPdLb1ELb0ELb1EEv18rocblas_operation_llT0_T1_lllT2_lllib,"axG",@progbits,_ZL40rocblas_trsm_block_backward_substitutionIddPKdPdLb1ELb0ELb1EEv18rocblas_operation_llT0_T1_lllT2_lllib,comdat
	.globl	_ZL40rocblas_trsm_block_backward_substitutionIddPKdPdLb1ELb0ELb1EEv18rocblas_operation_llT0_T1_lllT2_lllib ; -- Begin function _ZL40rocblas_trsm_block_backward_substitutionIddPKdPdLb1ELb0ELb1EEv18rocblas_operation_llT0_T1_lllT2_lllib
	.p2align	8
	.type	_ZL40rocblas_trsm_block_backward_substitutionIddPKdPdLb1ELb0ELb1EEv18rocblas_operation_llT0_T1_lllT2_lllib,@function
_ZL40rocblas_trsm_block_backward_substitutionIddPKdPdLb1ELb0ELb1EEv18rocblas_operation_llT0_T1_lllT2_lllib: ; @_ZL40rocblas_trsm_block_backward_substitutionIddPKdPdLb1ELb0ELb1EEv18rocblas_operation_llT0_T1_lllT2_lllib
; %bb.0:
	s_load_b64 s[2:3], s[0:1], 0x60
	s_bfe_u32 s4, ttmp6, 0x40014
	s_lshr_b32 s5, ttmp7, 16
	s_add_co_i32 s4, s4, 1
	s_bfe_u32 s6, ttmp6, 0x40008
	s_mul_i32 s4, s5, s4
	s_getreg_b32 s28, hwreg(HW_REG_IB_STS2, 6, 4)
	s_add_co_i32 s6, s6, s4
	s_cmp_eq_u32 s28, 0
	s_mov_b32 s25, 0
	s_cselect_b32 s24, s5, s6
	s_wait_kmcnt 0x0
	s_cmp_ge_u32 s24, s2
	s_cbranch_scc1 .LBB127_19
; %bb.1:
	s_load_b128 s[20:23], s[0:1], 0x48
	v_and_b32_e32 v2, 0x3ff, v0
	v_mov_b32_e32 v1, 0
	s_load_b512 s[4:19], s[0:1], 0x8
	s_mov_b64 s[30:31], src_shared_base
	s_bitcmp1_b32 s3, 0
	s_delay_alu instid0(VALU_DEP_1)
	v_dual_mov_b32 v3, v1 :: v_dual_lshlrev_b32 v4, 3, v2
	v_mov_b32_e32 v5, v1
	s_add_nc_u64 s[26:27], s[0:1], 0x68
	s_cselect_b32 s3, -1, 0
	s_bfe_u32 s33, ttmp6, 0x40004
	v_bfe_u32 v14, v0, 10, 10
	s_mov_b32 s29, s31
	s_delay_alu instid0(VALU_DEP_1)
	v_lshl_add_u32 v15, v14, 3, 0
	s_wait_kmcnt 0x0
	v_mul_u64_e32 v[6:7], s[22:23], v[2:3]
	s_clause 0x1
	s_load_u16 s30, s[0:1], 0x76
	s_load_b64 s[22:23], s[0:1], 0x58
	s_wait_xcnt 0x0
	s_bfe_u32 s0, ttmp6, 0x40010
	s_and_b32 s1, ttmp7, 0xffff
	s_add_co_i32 s0, s0, 1
	s_lshl_b64 s[12:13], s[12:13], 3
	s_mul_i32 s0, s1, s0
	s_lshl_b64 s[20:21], s[20:21], 3
	s_add_co_i32 s33, s33, s0
	s_cmp_eq_u32 s28, 0
	s_add_nc_u64 s[18:19], s[18:19], s[20:21]
	s_cselect_b32 s0, s1, s33
	v_cmp_gt_i64_e64 s31, s[4:5], 0
	v_cmp_gt_i64_e64 s33, s[4:5], 1
	s_wait_kmcnt 0x0
	v_mad_u32 v0, s0, s30, v14
	v_cmp_gt_i64_e64 s0, s[4:5], v[2:3]
	s_lshl_b32 s1, s30, 3
	s_delay_alu instid0(SALU_CYCLE_1) | instskip(NEXT) | instid1(SALU_CYCLE_1)
	s_add_co_i32 s28, s1, 0
	v_add_nc_u32_e32 v16, s28, v4
	v_cmp_gt_i64_e32 vcc_lo, s[6:7], v[0:1]
	v_lshl_add_u64 v[6:7], v[6:7], 3, s[18:19]
	s_add_nc_u64 s[6:7], s[10:11], s[12:13]
	s_add_nc_u64 s[10:11], s[4:5], -1
	s_delay_alu instid0(SALU_CYCLE_1) | instskip(NEXT) | instid1(VALU_DEP_1)
	s_lshl_b64 s[12:13], s[10:11], 3
	v_lshl_add_u64 v[6:7], v[0:1], 3, v[6:7]
	v_lshlrev_b32_e32 v0, 3, v2
	s_and_b32 s34, vcc_lo, s0
	s_branch .LBB127_4
.LBB127_2:                              ;   in Loop: Header=BB127_4 Depth=1
	global_store_b64 v[8:9], v[10:11], off
.LBB127_3:                              ;   in Loop: Header=BB127_4 Depth=1
	s_wait_xcnt 0x0
	s_or_b32 exec_lo, exec_lo, s1
	s_add_co_i32 s24, s24, 0x10000
	s_delay_alu instid0(SALU_CYCLE_1)
	s_cmp_lt_u32 s24, s2
	s_cbranch_scc0 .LBB127_19
.LBB127_4:                              ; =>This Loop Header: Depth=1
                                        ;     Child Loop BB127_8 Depth 2
                                        ;     Child Loop BB127_15 Depth 2
	s_mul_u64 s[18:19], s[16:17], s[24:25]
	s_and_not1_b32 vcc_lo, exec_lo, s3
	s_lshl_b64 s[18:19], s[18:19], 3
	s_delay_alu instid0(SALU_CYCLE_1)
	s_add_nc_u64 s[20:21], s[6:7], s[18:19]
	s_cbranch_vccnz .LBB127_10
; %bb.5:                                ;   in Loop: Header=BB127_4 Depth=1
	s_and_not1_b32 vcc_lo, exec_lo, s31
	s_cbranch_vccnz .LBB127_11
; %bb.6:                                ;   in Loop: Header=BB127_4 Depth=1
	v_add_nc_u64_e32 v[8:9], s[20:21], v[0:1]
	s_mov_b32 s18, 0
	s_branch .LBB127_8
.LBB127_7:                              ;   in Loop: Header=BB127_8 Depth=2
	s_wait_xcnt 0x0
	s_or_b32 exec_lo, exec_lo, s1
	s_add_co_i32 s18, s18, s30
	s_delay_alu instid0(SALU_CYCLE_1) | instskip(NEXT) | instid1(SALU_CYCLE_1)
	s_ashr_i32 s19, s18, 31
	v_cmp_le_i64_e64 s1, s[4:5], s[18:19]
	s_and_b32 vcc_lo, exec_lo, s1
	s_cbranch_vccnz .LBB127_11
.LBB127_8:                              ;   Parent Loop BB127_4 Depth=1
                                        ; =>  This Inner Loop Header: Depth=2
	v_add_nc_u32_e32 v10, s18, v14
	s_delay_alu instid0(VALU_DEP_1) | instskip(SKIP_1) | instid1(VALU_DEP_2)
	v_ashrrev_i32_e32 v11, 31, v10
	v_cmp_lt_i32_e64 s1, v2, v10
	v_cmp_gt_i64_e32 vcc_lo, s[4:5], v[10:11]
	s_and_b32 s1, s1, vcc_lo
	s_delay_alu instid0(SALU_CYCLE_1) | instskip(NEXT) | instid1(SALU_CYCLE_1)
	s_and_b32 s19, s0, s1
	s_and_saveexec_b32 s1, s19
	s_cbranch_execz .LBB127_7
; %bb.9:                                ;   in Loop: Header=BB127_8 Depth=2
	v_mul_u64_e32 v[12:13], s[14:15], v[10:11]
	s_load_b32 s19, s[26:27], 0xc
	s_wait_kmcnt 0x0
	s_and_b32 s19, s19, 0xffff
	s_delay_alu instid0(SALU_CYCLE_1) | instskip(NEXT) | instid1(VALU_DEP_2)
	v_mul_lo_u32 v10, v10, s19
	v_lshl_add_u64 v[12:13], v[12:13], 3, v[8:9]
	s_delay_alu instid0(VALU_DEP_2)
	v_lshl_add_u32 v10, v10, 3, v16
	global_load_b64 v[12:13], v[12:13], off
	s_wait_loadcnt 0x0
	ds_store_b64 v10, v[12:13]
	s_branch .LBB127_7
.LBB127_10:                             ;   in Loop: Header=BB127_4 Depth=1
	s_mov_b64 s[18:19], s[14:15]
	s_and_saveexec_b32 s1, s34
	s_cbranch_execz .LBB127_3
	s_branch .LBB127_12
.LBB127_11:                             ;   in Loop: Header=BB127_4 Depth=1
	s_load_b32 s1, s[26:27], 0xc
	s_mov_b32 s19, s25
	s_mov_b64 s[20:21], s[28:29]
	s_wait_kmcnt 0x0
	s_and_b32 s18, s1, 0xffff
	s_and_saveexec_b32 s1, s34
	s_cbranch_execz .LBB127_3
.LBB127_12:                             ;   in Loop: Header=BB127_4 Depth=1
	s_mul_u64 s[36:37], s[22:23], s[24:25]
	s_and_not1_b32 vcc_lo, exec_lo, s33
	v_lshl_add_u64 v[8:9], s[36:37], 3, v[6:7]
	global_load_b64 v[10:11], v[8:9], off
	s_wait_loadcnt 0x0
	v_mul_f64_e32 v[10:11], s[8:9], v[10:11]
	s_cbranch_vccnz .LBB127_2
; %bb.13:                               ;   in Loop: Header=BB127_4 Depth=1
	v_add_nc_u64_e32 v[12:13], s[20:21], v[4:5]
	s_mul_i32 s20, s13, s18
	s_mul_i32 s21, s12, s19
	s_delay_alu instid0(VALU_DEP_1) | instskip(SKIP_1) | instid1(SALU_CYCLE_1)
	v_mad_nc_u64_u32 v[12:13], s12, s18, v[12:13]
	s_lshl_b64 s[18:19], s[18:19], 3
	s_sub_nc_u64 s[18:19], 0, s[18:19]
	s_delay_alu instid0(VALU_DEP_1)
	v_add3_u32 v13, s21, s20, v13
	s_mov_b64 s[20:21], s[10:11]
	s_branch .LBB127_15
.LBB127_14:                             ;   in Loop: Header=BB127_15 Depth=2
	s_wait_xcnt 0x0
	s_or_b32 exec_lo, exec_lo, s35
	s_add_nc_u64 s[36:37], s[20:21], 1
	v_add_nc_u64_e32 v[12:13], s[18:19], v[12:13]
	v_cmp_lt_u64_e64 s35, s[36:37], 3
	s_add_nc_u64 s[20:21], s[20:21], -1
	s_and_b32 vcc_lo, exec_lo, s35
	s_cbranch_vccnz .LBB127_2
.LBB127_15:                             ;   Parent Loop BB127_4 Depth=1
                                        ; =>  This Inner Loop Header: Depth=2
	s_mov_b32 s35, exec_lo
	s_wait_dscnt 0x0
	s_barrier_signal -1
	s_barrier_wait -1
	s_wait_xcnt 0x0
	v_cmpx_eq_u64_e64 s[20:21], v[2:3]
; %bb.16:                               ;   in Loop: Header=BB127_15 Depth=2
	ds_store_b64 v15, v[10:11]
; %bb.17:                               ;   in Loop: Header=BB127_15 Depth=2
	s_or_b32 exec_lo, exec_lo, s35
	s_delay_alu instid0(SALU_CYCLE_1)
	s_mov_b32 s35, exec_lo
	s_wait_dscnt 0x0
	s_barrier_signal -1
	s_barrier_wait -1
	v_cmpx_gt_i64_e64 s[20:21], v[2:3]
	s_cbranch_execz .LBB127_14
; %bb.18:                               ;   in Loop: Header=BB127_15 Depth=2
	flat_load_b64 v[18:19], v[12:13]
	ds_load_b64 v[20:21], v15
	s_wait_loadcnt_dscnt 0x0
	v_fma_f64 v[10:11], -v[18:19], v[20:21], v[10:11]
	s_branch .LBB127_14
.LBB127_19:
	s_endpgm
	.section	.rodata,"a",@progbits
	.p2align	6, 0x0
	.amdhsa_kernel _ZL40rocblas_trsm_block_backward_substitutionIddPKdPdLb1ELb0ELb1EEv18rocblas_operation_llT0_T1_lllT2_lllib
		.amdhsa_group_segment_fixed_size 0
		.amdhsa_private_segment_fixed_size 0
		.amdhsa_kernarg_size 360
		.amdhsa_user_sgpr_count 2
		.amdhsa_user_sgpr_dispatch_ptr 0
		.amdhsa_user_sgpr_queue_ptr 0
		.amdhsa_user_sgpr_kernarg_segment_ptr 1
		.amdhsa_user_sgpr_dispatch_id 0
		.amdhsa_user_sgpr_kernarg_preload_length 0
		.amdhsa_user_sgpr_kernarg_preload_offset 0
		.amdhsa_user_sgpr_private_segment_size 0
		.amdhsa_wavefront_size32 1
		.amdhsa_uses_dynamic_stack 0
		.amdhsa_enable_private_segment 0
		.amdhsa_system_sgpr_workgroup_id_x 1
		.amdhsa_system_sgpr_workgroup_id_y 1
		.amdhsa_system_sgpr_workgroup_id_z 1
		.amdhsa_system_sgpr_workgroup_info 0
		.amdhsa_system_vgpr_workitem_id 1
		.amdhsa_next_free_vgpr 22
		.amdhsa_next_free_sgpr 38
		.amdhsa_named_barrier_count 0
		.amdhsa_reserve_vcc 1
		.amdhsa_float_round_mode_32 0
		.amdhsa_float_round_mode_16_64 0
		.amdhsa_float_denorm_mode_32 3
		.amdhsa_float_denorm_mode_16_64 3
		.amdhsa_fp16_overflow 0
		.amdhsa_memory_ordered 1
		.amdhsa_forward_progress 1
		.amdhsa_inst_pref_size 7
		.amdhsa_round_robin_scheduling 0
		.amdhsa_exception_fp_ieee_invalid_op 0
		.amdhsa_exception_fp_denorm_src 0
		.amdhsa_exception_fp_ieee_div_zero 0
		.amdhsa_exception_fp_ieee_overflow 0
		.amdhsa_exception_fp_ieee_underflow 0
		.amdhsa_exception_fp_ieee_inexact 0
		.amdhsa_exception_int_div_zero 0
	.end_amdhsa_kernel
	.section	.text._ZL40rocblas_trsm_block_backward_substitutionIddPKdPdLb1ELb0ELb1EEv18rocblas_operation_llT0_T1_lllT2_lllib,"axG",@progbits,_ZL40rocblas_trsm_block_backward_substitutionIddPKdPdLb1ELb0ELb1EEv18rocblas_operation_llT0_T1_lllT2_lllib,comdat
.Lfunc_end127:
	.size	_ZL40rocblas_trsm_block_backward_substitutionIddPKdPdLb1ELb0ELb1EEv18rocblas_operation_llT0_T1_lllT2_lllib, .Lfunc_end127-_ZL40rocblas_trsm_block_backward_substitutionIddPKdPdLb1ELb0ELb1EEv18rocblas_operation_llT0_T1_lllT2_lllib
                                        ; -- End function
	.set _ZL40rocblas_trsm_block_backward_substitutionIddPKdPdLb1ELb0ELb1EEv18rocblas_operation_llT0_T1_lllT2_lllib.num_vgpr, 22
	.set _ZL40rocblas_trsm_block_backward_substitutionIddPKdPdLb1ELb0ELb1EEv18rocblas_operation_llT0_T1_lllT2_lllib.num_agpr, 0
	.set _ZL40rocblas_trsm_block_backward_substitutionIddPKdPdLb1ELb0ELb1EEv18rocblas_operation_llT0_T1_lllT2_lllib.numbered_sgpr, 38
	.set _ZL40rocblas_trsm_block_backward_substitutionIddPKdPdLb1ELb0ELb1EEv18rocblas_operation_llT0_T1_lllT2_lllib.num_named_barrier, 0
	.set _ZL40rocblas_trsm_block_backward_substitutionIddPKdPdLb1ELb0ELb1EEv18rocblas_operation_llT0_T1_lllT2_lllib.private_seg_size, 0
	.set _ZL40rocblas_trsm_block_backward_substitutionIddPKdPdLb1ELb0ELb1EEv18rocblas_operation_llT0_T1_lllT2_lllib.uses_vcc, 1
	.set _ZL40rocblas_trsm_block_backward_substitutionIddPKdPdLb1ELb0ELb1EEv18rocblas_operation_llT0_T1_lllT2_lllib.uses_flat_scratch, 0
	.set _ZL40rocblas_trsm_block_backward_substitutionIddPKdPdLb1ELb0ELb1EEv18rocblas_operation_llT0_T1_lllT2_lllib.has_dyn_sized_stack, 0
	.set _ZL40rocblas_trsm_block_backward_substitutionIddPKdPdLb1ELb0ELb1EEv18rocblas_operation_llT0_T1_lllT2_lllib.has_recursion, 0
	.set _ZL40rocblas_trsm_block_backward_substitutionIddPKdPdLb1ELb0ELb1EEv18rocblas_operation_llT0_T1_lllT2_lllib.has_indirect_call, 0
	.section	.AMDGPU.csdata,"",@progbits
; Kernel info:
; codeLenInByte = 884
; TotalNumSgprs: 40
; NumVgprs: 22
; ScratchSize: 0
; MemoryBound: 0
; FloatMode: 240
; IeeeMode: 1
; LDSByteSize: 0 bytes/workgroup (compile time only)
; SGPRBlocks: 0
; VGPRBlocks: 1
; NumSGPRsForWavesPerEU: 40
; NumVGPRsForWavesPerEU: 22
; NamedBarCnt: 0
; Occupancy: 16
; WaveLimiterHint : 0
; COMPUTE_PGM_RSRC2:SCRATCH_EN: 0
; COMPUTE_PGM_RSRC2:USER_SGPR: 2
; COMPUTE_PGM_RSRC2:TRAP_HANDLER: 0
; COMPUTE_PGM_RSRC2:TGID_X_EN: 1
; COMPUTE_PGM_RSRC2:TGID_Y_EN: 1
; COMPUTE_PGM_RSRC2:TGID_Z_EN: 1
; COMPUTE_PGM_RSRC2:TIDIG_COMP_CNT: 1
	.section	.text._ZL26setup_batched_array_kernelILi128EdEvPT0_lPS1_,"axG",@progbits,_ZL26setup_batched_array_kernelILi128EdEvPT0_lPS1_,comdat
	.globl	_ZL26setup_batched_array_kernelILi128EdEvPT0_lPS1_ ; -- Begin function _ZL26setup_batched_array_kernelILi128EdEvPT0_lPS1_
	.p2align	8
	.type	_ZL26setup_batched_array_kernelILi128EdEvPT0_lPS1_,@function
_ZL26setup_batched_array_kernelILi128EdEvPT0_lPS1_: ; @_ZL26setup_batched_array_kernelILi128EdEvPT0_lPS1_
; %bb.0:
	s_load_b128 s[4:7], s[0:1], 0x0
	s_bfe_u32 s2, ttmp6, 0x4000c
	s_wait_xcnt 0x0
	s_load_b64 s[0:1], s[0:1], 0x10
	s_add_co_i32 s2, s2, 1
	s_and_b32 s3, ttmp6, 15
	s_mul_i32 s2, ttmp9, s2
	s_getreg_b32 s8, hwreg(HW_REG_IB_STS2, 6, 4)
	s_add_co_i32 s2, s3, s2
	s_cmp_eq_u32 s8, 0
	s_mov_b32 s3, 0
	s_cselect_b32 s2, ttmp9, s2
	s_delay_alu instid0(SALU_CYCLE_1) | instskip(SKIP_2) | instid1(SALU_CYCLE_1)
	v_mov_b32_e32 v2, s2
	s_wait_kmcnt 0x0
	s_mul_u64 s[6:7], s[6:7], s[2:3]
	s_lshl_b64 s[6:7], s[6:7], 3
	s_delay_alu instid0(SALU_CYCLE_1) | instskip(NEXT) | instid1(SALU_CYCLE_1)
	s_add_nc_u64 s[4:5], s[4:5], s[6:7]
	v_mov_b64_e32 v[0:1], s[4:5]
	global_store_b64 v2, v[0:1], s[0:1] scale_offset
	s_endpgm
	.section	.rodata,"a",@progbits
	.p2align	6, 0x0
	.amdhsa_kernel _ZL26setup_batched_array_kernelILi128EdEvPT0_lPS1_
		.amdhsa_group_segment_fixed_size 0
		.amdhsa_private_segment_fixed_size 0
		.amdhsa_kernarg_size 24
		.amdhsa_user_sgpr_count 2
		.amdhsa_user_sgpr_dispatch_ptr 0
		.amdhsa_user_sgpr_queue_ptr 0
		.amdhsa_user_sgpr_kernarg_segment_ptr 1
		.amdhsa_user_sgpr_dispatch_id 0
		.amdhsa_user_sgpr_kernarg_preload_length 0
		.amdhsa_user_sgpr_kernarg_preload_offset 0
		.amdhsa_user_sgpr_private_segment_size 0
		.amdhsa_wavefront_size32 1
		.amdhsa_uses_dynamic_stack 0
		.amdhsa_enable_private_segment 0
		.amdhsa_system_sgpr_workgroup_id_x 1
		.amdhsa_system_sgpr_workgroup_id_y 0
		.amdhsa_system_sgpr_workgroup_id_z 0
		.amdhsa_system_sgpr_workgroup_info 0
		.amdhsa_system_vgpr_workitem_id 0
		.amdhsa_next_free_vgpr 3
		.amdhsa_next_free_sgpr 9
		.amdhsa_named_barrier_count 0
		.amdhsa_reserve_vcc 0
		.amdhsa_float_round_mode_32 0
		.amdhsa_float_round_mode_16_64 0
		.amdhsa_float_denorm_mode_32 3
		.amdhsa_float_denorm_mode_16_64 3
		.amdhsa_fp16_overflow 0
		.amdhsa_memory_ordered 1
		.amdhsa_forward_progress 1
		.amdhsa_inst_pref_size 1
		.amdhsa_round_robin_scheduling 0
		.amdhsa_exception_fp_ieee_invalid_op 0
		.amdhsa_exception_fp_denorm_src 0
		.amdhsa_exception_fp_ieee_div_zero 0
		.amdhsa_exception_fp_ieee_overflow 0
		.amdhsa_exception_fp_ieee_underflow 0
		.amdhsa_exception_fp_ieee_inexact 0
		.amdhsa_exception_int_div_zero 0
	.end_amdhsa_kernel
	.section	.text._ZL26setup_batched_array_kernelILi128EdEvPT0_lPS1_,"axG",@progbits,_ZL26setup_batched_array_kernelILi128EdEvPT0_lPS1_,comdat
.Lfunc_end128:
	.size	_ZL26setup_batched_array_kernelILi128EdEvPT0_lPS1_, .Lfunc_end128-_ZL26setup_batched_array_kernelILi128EdEvPT0_lPS1_
                                        ; -- End function
	.set _ZL26setup_batched_array_kernelILi128EdEvPT0_lPS1_.num_vgpr, 3
	.set _ZL26setup_batched_array_kernelILi128EdEvPT0_lPS1_.num_agpr, 0
	.set _ZL26setup_batched_array_kernelILi128EdEvPT0_lPS1_.numbered_sgpr, 9
	.set _ZL26setup_batched_array_kernelILi128EdEvPT0_lPS1_.num_named_barrier, 0
	.set _ZL26setup_batched_array_kernelILi128EdEvPT0_lPS1_.private_seg_size, 0
	.set _ZL26setup_batched_array_kernelILi128EdEvPT0_lPS1_.uses_vcc, 0
	.set _ZL26setup_batched_array_kernelILi128EdEvPT0_lPS1_.uses_flat_scratch, 0
	.set _ZL26setup_batched_array_kernelILi128EdEvPT0_lPS1_.has_dyn_sized_stack, 0
	.set _ZL26setup_batched_array_kernelILi128EdEvPT0_lPS1_.has_recursion, 0
	.set _ZL26setup_batched_array_kernelILi128EdEvPT0_lPS1_.has_indirect_call, 0
	.section	.AMDGPU.csdata,"",@progbits
; Kernel info:
; codeLenInByte = 108
; TotalNumSgprs: 9
; NumVgprs: 3
; ScratchSize: 0
; MemoryBound: 0
; FloatMode: 240
; IeeeMode: 1
; LDSByteSize: 0 bytes/workgroup (compile time only)
; SGPRBlocks: 0
; VGPRBlocks: 0
; NumSGPRsForWavesPerEU: 9
; NumVGPRsForWavesPerEU: 3
; NamedBarCnt: 0
; Occupancy: 16
; WaveLimiterHint : 0
; COMPUTE_PGM_RSRC2:SCRATCH_EN: 0
; COMPUTE_PGM_RSRC2:USER_SGPR: 2
; COMPUTE_PGM_RSRC2:TRAP_HANDLER: 0
; COMPUTE_PGM_RSRC2:TGID_X_EN: 1
; COMPUTE_PGM_RSRC2:TGID_Y_EN: 0
; COMPUTE_PGM_RSRC2:TGID_Z_EN: 0
; COMPUTE_PGM_RSRC2:TIDIG_COMP_CNT: 0
	.section	.text._ZL25rocblas_trtri_trsm_kernelILi128ELi16ELi8EdPKdPdEv13rocblas_fill_17rocblas_diagonal_T3_lilT4_lli,"axG",@progbits,_ZL25rocblas_trtri_trsm_kernelILi128ELi16ELi8EdPKdPdEv13rocblas_fill_17rocblas_diagonal_T3_lilT4_lli,comdat
	.globl	_ZL25rocblas_trtri_trsm_kernelILi128ELi16ELi8EdPKdPdEv13rocblas_fill_17rocblas_diagonal_T3_lilT4_lli ; -- Begin function _ZL25rocblas_trtri_trsm_kernelILi128ELi16ELi8EdPKdPdEv13rocblas_fill_17rocblas_diagonal_T3_lilT4_lli
	.p2align	8
	.type	_ZL25rocblas_trtri_trsm_kernelILi128ELi16ELi8EdPKdPdEv13rocblas_fill_17rocblas_diagonal_T3_lilT4_lli,@function
_ZL25rocblas_trtri_trsm_kernelILi128ELi16ELi8EdPKdPdEv13rocblas_fill_17rocblas_diagonal_T3_lilT4_lli: ; @_ZL25rocblas_trtri_trsm_kernelILi128ELi16ELi8EdPKdPdEv13rocblas_fill_17rocblas_diagonal_T3_lilT4_lli
; %bb.0:
	s_load_b32 s92, s[0:1], 0x40
	s_bfe_u32 s2, ttmp6, 0x40014
	s_lshr_b32 s3, ttmp7, 16
	s_add_co_i32 s2, s2, 1
	s_bfe_u32 s4, ttmp6, 0x40008
	s_mul_i32 s2, s3, s2
	s_getreg_b32 s8, hwreg(HW_REG_IB_STS2, 6, 4)
	s_add_co_i32 s4, s4, s2
	s_cmp_eq_u32 s8, 0
	s_mov_b32 s49, 0
	s_cselect_b32 s38, s3, s4
	s_wait_kmcnt 0x0
	s_cmp_ge_u32 s38, s92
	s_cbranch_scc1 .LBB129_143
; %bb.1:
	s_clause 0x3
	s_load_b32 s50, s[0:1], 0x18
	s_load_b128 s[4:7], s[0:1], 0x8
	s_load_b64 s[2:3], s[0:1], 0x0
	s_load_b256 s[40:47], s[0:1], 0x20
	s_wait_xcnt 0x0
	v_cmp_gt_u32_e64 s1, 32, v0
	v_cmp_gt_u32_e32 vcc_lo, 16, v0
	s_bfe_u32 s10, ttmp6, 0x4000c
	s_and_b32 s9, ttmp6, 15
	s_add_co_i32 s10, s10, 1
	v_cndmask_b32_e64 v1, 0, 0x1800, s1
	s_mul_i32 s10, ttmp9, s10
	v_dual_lshrrev_b32 v11, 4, v0 :: v_dual_bitop2_b32 v9, 15, v0 bitop3:0x40
	s_add_co_i32 s9, s9, s10
	s_delay_alu instid0(VALU_DEP_2)
	v_cndmask_b32_e64 v18, v1, 0x1000, vcc_lo
	v_cndmask_b32_e64 v1, 0xffffffe0, -16, s1
	v_cmp_lt_u32_e64 s0, 31, v0
	v_bitop3_b32 v6, v0, 0xf0, v0 bitop3:0xc
	v_lshl_or_b32 v20, v0, 3, 0x800
	v_cndmask_b32_e64 v10, 0x810, 0, vcc_lo
	v_cndmask_b32_e64 v1, v1, 0, vcc_lo
	s_wait_kmcnt 0x0
	s_ashr_i32 s51, s50, 31
	s_cmp_eq_u32 s8, 0
	v_dual_lshlrev_b32 v19, 3, v9 :: v_dual_lshlrev_b32 v12, 7, v11
	v_dual_mov_b32 v1, 0 :: v_dual_add_nc_u32 v4, v0, v1
	s_cselect_b32 s39, ttmp9, s9
	s_lshl_b64 s[52:53], s[50:51], 4
	s_lshl_b32 s48, s39, 1
	s_delay_alu instid0(VALU_DEP_1)
	v_sub_nc_u32_e32 v7, 0xffffff10, v4
	v_sub_nc_u32_e32 v13, 0xffffff20, v4
	s_add_nc_u64 s[8:9], s[52:53], 16
	s_and_b32 s12, s48, 6
	s_mul_u64 s[10:11], s[8:9], s[48:49]
	v_lshl_add_u32 v22, v7, 3, v18
	v_sub_nc_u32_e32 v7, 0xffffff30, v4
	v_lshl_add_u32 v23, v13, 3, v18
	v_sub_nc_u32_e32 v13, 0xffffff40, v4
	s_bfe_u32 s48, s39, 0x1d0002
	s_lshl_b64 s[6:7], s[6:7], 3
	v_lshl_add_u32 v24, v7, 3, v18
	v_sub_nc_u32_e32 v7, 0xffffff50, v4
	v_lshl_add_u32 v25, v13, 3, v18
	v_sub_nc_u32_e32 v13, 0xffffff60, v4
	s_lshl_b64 s[84:85], s[44:45], 3
	s_lshl_b64 s[10:11], s[10:11], 3
	v_lshl_add_u32 v26, v7, 3, v18
	v_sub_nc_u32_e32 v7, 0xffffff70, v4
	v_lshl_add_u32 v27, v13, 3, v18
	v_sub_nc_u32_e32 v13, 0xffffff80, v4
	s_lshl_b64 s[86:87], s[48:49], 17
	s_cmp_lg_u32 s2, 0x7a
	v_lshl_add_u32 v28, v7, 3, v18
	v_sub_nc_u32_e32 v7, 0xffffff90, v4
	v_lshl_add_u32 v29, v13, 3, v18
	v_sub_nc_u32_e32 v13, 0xffffffa0, v4
	s_cselect_b32 s93, -1, 0
	s_lshl_b64 s[56:57], s[50:51], 7
	v_lshl_add_u32 v30, v7, 3, v18
	v_sub_nc_u32_e32 v7, 0xffffffb0, v4
	v_lshl_add_u32 v31, v13, 3, v18
	v_sub_nc_u32_e32 v13, 0xffffffc0, v4
	s_lshl_b64 s[72:73], s[50:51], 6
	s_lshl_b64 s[80:81], s[50:51], 5
	v_lshl_add_u32 v32, v7, 3, v18
	v_sub_nc_u32_e32 v7, 0xffffffd0, v4
	v_lshl_add_u32 v33, v13, 3, v18
	v_sub_nc_u32_e32 v13, 0xffffffe0, v4
	s_mul_i32 s48, s12, 0x4080
	s_add_nc_u64 s[12:13], s[42:43], s[86:87]
	v_lshl_add_u32 v34, v7, 3, v18
	v_mul_i32_i24_e32 v7, 0x88, v4
	v_lshl_add_u32 v35, v13, 3, v18
	v_lshlrev_b32_e32 v13, 7, v4
	v_cmp_gt_u32_e64 s2, 48, v0
	s_cmp_lg_u32 s3, 0x84
	v_cmp_gt_u32_e64 s3, 0x100, v0
	v_bitop3_b32 v0, v0, 15, v0 bitop3:0xc
	v_dual_sub_nc_u32 v7, v7, v13 :: v_dual_add_nc_u32 v44, 1, v11
	s_add_nc_u64 s[4:5], s[4:5], s[10:11]
	s_add_nc_u64 s[10:11], s[12:13], s[48:49]
	s_cselect_b32 s94, -1, 0
	s_delay_alu instid0(VALU_DEP_1) | instskip(SKIP_3) | instid1(VALU_DEP_2)
	v_add_nc_u32_e32 v7, v7, v18
	s_and_b32 s48, s39, 3
	v_dual_lshlrev_b32 v21, 3, v4 :: v_dual_sub_nc_u32 v14, -16, v4
	s_mul_u64 s[88:89], s[48:49], 0x8100
	v_add_nc_u32_e32 v41, 0x80, v7
	v_add_nc_u32_e32 v43, 0x100, v7
	v_lshl_or_b32 v45, v6, 3, 0x1878
	v_dual_lshlrev_b32 v6, 3, v0 :: v_dual_lshlrev_b32 v7, 7, v9
	v_dual_lshlrev_b32 v0, 3, v10 :: v_dual_bitop2_b32 v46, v12, v19 bitop3:0x54
	s_or_b64 s[86:87], s[86:87], s[88:89]
	s_add_nc_u64 s[54:55], s[10:11], s[84:85]
	s_add_nc_u64 s[84:85], s[84:85], s[86:87]
	v_lshl_add_u32 v36, v14, 3, v18
	v_dual_sub_nc_u32 v14, v6, v7 :: v_dual_add_nc_u32 v49, -1, v9
	v_add_nc_u64_e32 v[6:7], s[84:85], v[0:1]
	v_dual_mov_b32 v5, v1 :: v_dual_bitop2_b32 v8, v12, v9 bitop3:0x54
	v_mad_i32_i24 v39, 0x88, v4, v18
	v_dual_sub_nc_u32 v37, v18, v21 :: v_dual_add_nc_u32 v38, v18, v21
	s_add_nc_u64 s[44:45], s[4:5], s[6:7]
	s_delay_alu instid0(VALU_DEP_3) | instskip(NEXT) | instid1(VALU_DEP_3)
	v_lshl_add_u64 v[6:7], v[4:5], 3, v[6:7]
	v_dual_sub_nc_u32 v40, v39, v13 :: v_dual_lshlrev_b32 v13, 3, v11
	v_cndmask_b32_e64 v3, s9, 0, vcc_lo
	v_cndmask_b32_e64 v2, s8, 0, vcc_lo
	s_delay_alu instid0(VALU_DEP_4)
	v_add_nc_u64_e32 v[6:7], s[42:43], v[6:7]
	v_cmp_gt_u32_e64 s4, 16, v4
	v_cmp_gt_u32_e64 s5, 15, v4
	;; [unrolled: 1-line block ×15, first 2 shown]
	v_cmp_eq_u32_e64 s19, 0, v4
	v_cmp_ne_u32_e64 s20, 0, v4
	v_cmp_lt_u32_e64 s21, 1, v4
	v_cmp_lt_u32_e64 s22, 2, v4
	;; [unrolled: 1-line block ×14, first 2 shown]
	v_cmp_gt_i32_e64 s36, 16, v4
	v_cmp_lt_i32_e64 s37, -1, v4
	v_or_b32_e32 v42, 0x90, v18
	v_dual_add_nc_u32 v47, -1, v11 :: v_dual_add_nc_u32 v52, 1, v9
	v_or3_b32 v48, v12, v13, 0x1000
	v_or_b32_e32 v50, 0x800, v46
	v_add_nc_u32_e32 v51, 0x1780, v14
	v_or_b32_e32 v53, 0x800, v12
	v_or_b32_e32 v54, 0x1800, v19
	v_add_nc_u32_e32 v55, 0x78, v37
	v_add_nc_u32_e32 v56, 1, v4
	v_dual_lshlrev_b32 v0, 3, v8 :: v_dual_lshlrev_b32 v8, 3, v10
	s_lshl_b64 s[82:83], s[50:51], 3
	s_mul_u64 s[58:59], s[50:51], 0x78
	s_mul_u64 s[60:61], s[50:51], 0x70
	;; [unrolled: 1-line block ×11, first 2 shown]
	s_sub_nc_u64 s[84:85], 0, s[82:83]
	s_lshl_b64 s[86:87], s[46:47], 3
	s_branch .LBB129_3
.LBB129_2:                              ;   in Loop: Header=BB129_3 Depth=1
	s_or_b32 exec_lo, exec_lo, s39
	s_add_co_i32 s38, s38, 0x10000
	s_delay_alu instid0(SALU_CYCLE_1)
	s_cmp_lt_u32 s38, s92
	s_cbranch_scc0 .LBB129_143
.LBB129_3:                              ; =>This Loop Header: Depth=1
                                        ;     Child Loop BB129_86 Depth 2
                                        ;       Child Loop BB129_92 Depth 3
                                        ;       Child Loop BB129_101 Depth 3
                                        ;     Child Loop BB129_108 Depth 2
                                        ;     Child Loop BB129_114 Depth 2
	;; [unrolled: 1-line block ×6, first 2 shown]
	s_mov_b32 s39, s49
	s_delay_alu instid0(SALU_CYCLE_1) | instskip(NEXT) | instid1(SALU_CYCLE_1)
	s_mul_u64 s[88:89], s[40:41], s[38:39]
	s_lshl_b64 s[88:89], s[88:89], 3
	s_delay_alu instid0(SALU_CYCLE_1) | instskip(SKIP_1) | instid1(SALU_CYCLE_1)
	s_add_nc_u64 s[88:89], s[44:45], s[88:89]
	s_and_saveexec_b32 s48, s0
	s_xor_b32 s48, exec_lo, s48
	s_cbranch_execz .LBB129_10
; %bb.4:                                ;   in Loop: Header=BB129_3 Depth=1
	s_and_saveexec_b32 s90, s2
	s_cbranch_execz .LBB129_9
; %bb.5:                                ;   in Loop: Header=BB129_3 Depth=1
	s_and_not1_b32 vcc_lo, exec_lo, s93
	s_mov_b32 s91, -1
	s_cbranch_vccnz .LBB129_7
; %bb.6:                                ;   in Loop: Header=BB129_3 Depth=1
	s_add_nc_u64 s[96:97], s[88:89], s[56:57]
	s_mov_b32 s91, 0
	v_lshl_add_u64 v[10:11], v[4:5], 3, s[96:97]
	s_delay_alu instid0(VALU_DEP_1)
	v_add_nc_u64_e32 v[12:13], s[58:59], v[10:11]
	global_load_b64 v[14:15], v[12:13], off
	s_wait_xcnt 0x0
	v_add_nc_u64_e32 v[12:13], s[84:85], v[12:13]
	global_load_b64 v[16:17], v[12:13], off
	s_wait_xcnt 0x0
	v_add_nc_u64_e32 v[12:13], s[84:85], v[12:13]
	s_wait_loadcnt 0x0
	ds_store_2addr_b64 v21, v[16:17], v[14:15] offset0:224 offset1:240
	global_load_b64 v[14:15], v[12:13], off
	s_wait_xcnt 0x0
	v_add_nc_u64_e32 v[12:13], s[84:85], v[12:13]
	global_load_b64 v[16:17], v[12:13], off
	s_wait_xcnt 0x0
	v_add_nc_u64_e32 v[12:13], s[84:85], v[12:13]
	s_wait_loadcnt 0x0
	ds_store_2addr_b64 v21, v[16:17], v[14:15] offset0:192 offset1:208
	;; [unrolled: 8-line block ×7, first 2 shown]
	global_load_b64 v[12:13], v[12:13], off
	global_load_b64 v[10:11], v[10:11], off
	s_wait_loadcnt 0x0
	ds_store_2addr_b64 v21, v[10:11], v[12:13] offset1:16
.LBB129_7:                              ;   in Loop: Header=BB129_3 Depth=1
	s_and_not1_b32 vcc_lo, exec_lo, s91
	s_cbranch_vccnz .LBB129_9
; %bb.8:                                ;   in Loop: Header=BB129_3 Depth=1
	s_wait_xcnt 0x0
	v_lshl_add_u64 v[10:11], v[4:5], 3, s[88:89]
	global_load_b64 v[12:13], v[10:11], off offset:128
	s_wait_xcnt 0x0
	v_lshl_add_u64 v[10:11], s[50:51], 3, v[10:11]
	global_load_b64 v[14:15], v[10:11], off offset:128
	s_wait_xcnt 0x0
	v_add_nc_u64_e32 v[10:11], s[82:83], v[10:11]
	s_wait_loadcnt 0x0
	ds_store_2addr_b64 v21, v[12:13], v[14:15] offset1:16
	global_load_b64 v[12:13], v[10:11], off offset:128
	s_wait_xcnt 0x0
	v_add_nc_u64_e32 v[10:11], s[82:83], v[10:11]
	global_load_b64 v[14:15], v[10:11], off offset:128
	s_wait_xcnt 0x0
	v_add_nc_u64_e32 v[10:11], s[82:83], v[10:11]
	s_wait_loadcnt 0x0
	ds_store_2addr_b64 v21, v[12:13], v[14:15] offset0:32 offset1:48
	global_load_b64 v[12:13], v[10:11], off offset:128
	s_wait_xcnt 0x0
	v_add_nc_u64_e32 v[10:11], s[82:83], v[10:11]
	global_load_b64 v[14:15], v[10:11], off offset:128
	s_wait_xcnt 0x0
	v_add_nc_u64_e32 v[10:11], s[82:83], v[10:11]
	s_wait_loadcnt 0x0
	ds_store_2addr_b64 v21, v[12:13], v[14:15] offset0:64 offset1:80
	;; [unrolled: 8-line block ×6, first 2 shown]
	global_load_b64 v[12:13], v[10:11], off offset:128
	s_wait_xcnt 0x0
	v_add_nc_u64_e32 v[10:11], s[82:83], v[10:11]
	global_load_b64 v[10:11], v[10:11], off offset:128
	s_wait_loadcnt 0x0
	ds_store_2addr_b64 v21, v[12:13], v[10:11] offset0:224 offset1:240
.LBB129_9:                              ;   in Loop: Header=BB129_3 Depth=1
	s_wait_xcnt 0x0
	s_or_b32 exec_lo, exec_lo, s90
.LBB129_10:                             ;   in Loop: Header=BB129_3 Depth=1
	s_and_not1_saveexec_b32 s48, s48
	s_cbranch_execz .LBB129_77
; %bb.11:                               ;   in Loop: Header=BB129_3 Depth=1
	v_lshl_add_u64 v[10:11], v[2:3], 3, s[88:89]
	s_and_not1_b32 vcc_lo, exec_lo, s93
	s_mov_b32 s88, -1
	s_delay_alu instid0(VALU_DEP_1)
	v_lshl_add_u64 v[10:11], v[4:5], 3, v[10:11]
	s_cbranch_vccnz .LBB129_45
; %bb.12:                               ;   in Loop: Header=BB129_3 Depth=1
	v_mov_b64_e32 v[12:13], 0
	v_mov_b64_e32 v[14:15], 0
	s_and_saveexec_b32 s88, s4
	s_cbranch_execz .LBB129_14
; %bb.13:                               ;   in Loop: Header=BB129_3 Depth=1
	v_add_nc_u64_e32 v[14:15], s[58:59], v[10:11]
	global_load_b64 v[14:15], v[14:15], off
.LBB129_14:                             ;   in Loop: Header=BB129_3 Depth=1
	s_wait_xcnt 0x0
	s_or_b32 exec_lo, exec_lo, s88
	s_wait_loadcnt 0x0
	ds_store_b64 v22, v[14:15] offset:2040
	s_and_saveexec_b32 s88, s5
	s_cbranch_execz .LBB129_16
; %bb.15:                               ;   in Loop: Header=BB129_3 Depth=1
	v_add_nc_u64_e32 v[12:13], s[60:61], v[10:11]
	global_load_b64 v[12:13], v[12:13], off
.LBB129_16:                             ;   in Loop: Header=BB129_3 Depth=1
	s_wait_xcnt 0x0
	s_or_b32 exec_lo, exec_lo, s88
	v_mov_b64_e32 v[14:15], 0
	v_mov_b64_e32 v[16:17], 0
	s_wait_loadcnt 0x0
	ds_store_b64 v23, v[12:13] offset:2040
	s_and_saveexec_b32 s88, s6
	s_cbranch_execz .LBB129_18
; %bb.17:                               ;   in Loop: Header=BB129_3 Depth=1
	v_add_nc_u64_e32 v[12:13], s[62:63], v[10:11]
	global_load_b64 v[16:17], v[12:13], off
.LBB129_18:                             ;   in Loop: Header=BB129_3 Depth=1
	s_wait_xcnt 0x0
	s_or_b32 exec_lo, exec_lo, s88
	s_wait_loadcnt 0x0
	ds_store_b64 v24, v[16:17] offset:2040
	s_and_saveexec_b32 s88, s7
	s_cbranch_execz .LBB129_20
; %bb.19:                               ;   in Loop: Header=BB129_3 Depth=1
	v_add_nc_u64_e32 v[12:13], s[64:65], v[10:11]
	global_load_b64 v[14:15], v[12:13], off
.LBB129_20:                             ;   in Loop: Header=BB129_3 Depth=1
	s_wait_xcnt 0x0
	s_or_b32 exec_lo, exec_lo, s88
	v_mov_b64_e32 v[12:13], 0
	v_mov_b64_e32 v[16:17], 0
	s_wait_loadcnt 0x0
	ds_store_b64 v25, v[14:15] offset:2040
	;; [unrolled: 22-line block ×7, first 2 shown]
	s_and_saveexec_b32 s88, s18
	s_cbranch_execz .LBB129_42
; %bb.41:                               ;   in Loop: Header=BB129_3 Depth=1
	v_lshl_add_u64 v[12:13], s[50:51], 3, v[10:11]
	global_load_b64 v[16:17], v[12:13], off
.LBB129_42:                             ;   in Loop: Header=BB129_3 Depth=1
	s_wait_xcnt 0x0
	s_or_b32 exec_lo, exec_lo, s88
	s_wait_loadcnt 0x0
	ds_store_b64 v36, v[16:17] offset:2040
	s_and_saveexec_b32 s88, s19
	s_cbranch_execz .LBB129_44
; %bb.43:                               ;   in Loop: Header=BB129_3 Depth=1
	global_load_b64 v[14:15], v[10:11], off
.LBB129_44:                             ;   in Loop: Header=BB129_3 Depth=1
	s_wait_xcnt 0x0
	s_or_b32 exec_lo, exec_lo, s88
	s_mov_b32 s88, 0
	s_wait_loadcnt 0x0
	ds_store_b64 v37, v[14:15] offset:2040
.LBB129_45:                             ;   in Loop: Header=BB129_3 Depth=1
	s_and_b32 vcc_lo, exec_lo, s88
	s_cbranch_vccz .LBB129_77
; %bb.46:                               ;   in Loop: Header=BB129_3 Depth=1
	global_load_b64 v[16:17], v[10:11], off
	v_mov_b64_e32 v[12:13], 0
	v_mov_b64_e32 v[14:15], 0
	s_wait_loadcnt 0x0
	ds_store_b64 v38, v[16:17]
	s_wait_xcnt 0x0
	s_and_saveexec_b32 s88, s20
	s_cbranch_execz .LBB129_48
; %bb.47:                               ;   in Loop: Header=BB129_3 Depth=1
	v_lshl_add_u64 v[14:15], s[50:51], 3, v[10:11]
	global_load_b64 v[14:15], v[14:15], off
.LBB129_48:                             ;   in Loop: Header=BB129_3 Depth=1
	s_wait_xcnt 0x0
	s_or_b32 exec_lo, exec_lo, s88
	s_wait_loadcnt 0x0
	ds_store_b64 v38, v[14:15] offset:128
	s_and_saveexec_b32 s88, s21
	s_cbranch_execz .LBB129_50
; %bb.49:                               ;   in Loop: Header=BB129_3 Depth=1
	v_add_nc_u64_e32 v[12:13], s[52:53], v[10:11]
	global_load_b64 v[12:13], v[12:13], off
.LBB129_50:                             ;   in Loop: Header=BB129_3 Depth=1
	s_wait_xcnt 0x0
	s_or_b32 exec_lo, exec_lo, s88
	v_mov_b64_e32 v[14:15], 0
	v_mov_b64_e32 v[16:17], 0
	s_wait_loadcnt 0x0
	ds_store_b64 v38, v[12:13] offset:256
	s_and_saveexec_b32 s88, s22
	s_cbranch_execz .LBB129_52
; %bb.51:                               ;   in Loop: Header=BB129_3 Depth=1
	v_add_nc_u64_e32 v[12:13], s[42:43], v[10:11]
	global_load_b64 v[16:17], v[12:13], off
.LBB129_52:                             ;   in Loop: Header=BB129_3 Depth=1
	s_wait_xcnt 0x0
	s_or_b32 exec_lo, exec_lo, s88
	s_wait_loadcnt 0x0
	ds_store_b64 v38, v[16:17] offset:384
	s_and_saveexec_b32 s88, s23
	s_cbranch_execz .LBB129_54
; %bb.53:                               ;   in Loop: Header=BB129_3 Depth=1
	v_add_nc_u64_e32 v[12:13], s[80:81], v[10:11]
	global_load_b64 v[14:15], v[12:13], off
.LBB129_54:                             ;   in Loop: Header=BB129_3 Depth=1
	s_wait_xcnt 0x0
	s_or_b32 exec_lo, exec_lo, s88
	v_mov_b64_e32 v[12:13], 0
	v_mov_b64_e32 v[16:17], 0
	s_wait_loadcnt 0x0
	ds_store_b64 v38, v[14:15] offset:512
	s_and_saveexec_b32 s88, s24
	s_cbranch_execz .LBB129_56
; %bb.55:                               ;   in Loop: Header=BB129_3 Depth=1
	v_add_nc_u64_e32 v[14:15], s[78:79], v[10:11]
	global_load_b64 v[16:17], v[14:15], off
.LBB129_56:                             ;   in Loop: Header=BB129_3 Depth=1
	;; [unrolled: 22-line block ×6, first 2 shown]
	s_wait_xcnt 0x0
	s_or_b32 exec_lo, exec_lo, s88
	s_wait_loadcnt 0x0
	ds_store_b64 v38, v[16:17] offset:1664
	s_and_saveexec_b32 s88, s34
	s_cbranch_execz .LBB129_74
; %bb.73:                               ;   in Loop: Header=BB129_3 Depth=1
	v_add_nc_u64_e32 v[12:13], s[60:61], v[10:11]
	global_load_b64 v[12:13], v[12:13], off
.LBB129_74:                             ;   in Loop: Header=BB129_3 Depth=1
	s_wait_xcnt 0x0
	s_or_b32 exec_lo, exec_lo, s88
	v_mov_b64_e32 v[14:15], 0
	s_wait_loadcnt 0x0
	ds_store_b64 v38, v[12:13] offset:1792
	s_and_saveexec_b32 s88, s35
	s_cbranch_execz .LBB129_76
; %bb.75:                               ;   in Loop: Header=BB129_3 Depth=1
	v_add_nc_u64_e32 v[10:11], s[58:59], v[10:11]
	global_load_b64 v[14:15], v[10:11], off
.LBB129_76:                             ;   in Loop: Header=BB129_3 Depth=1
	s_wait_xcnt 0x0
	s_or_b32 exec_lo, exec_lo, s88
	s_wait_loadcnt 0x0
	ds_store_b64 v38, v[14:15] offset:1920
.LBB129_77:                             ;   in Loop: Header=BB129_3 Depth=1
	s_or_b32 exec_lo, exec_lo, s48
	s_wait_dscnt 0x0
	s_barrier_signal -1
	s_barrier_wait -1
	s_and_saveexec_b32 s48, s1
	s_cbranch_execz .LBB129_83
; %bb.78:                               ;   in Loop: Header=BB129_3 Depth=1
	v_mov_b64_e32 v[12:13], 1.0
	s_and_not1_b32 vcc_lo, exec_lo, s94
	s_cbranch_vccnz .LBB129_82
; %bb.79:                               ;   in Loop: Header=BB129_3 Depth=1
	ds_load_b64 v[10:11], v39
	v_mov_b64_e32 v[12:13], 1.0
	s_mov_b32 s88, exec_lo
	s_wait_dscnt 0x0
	v_cmpx_neq_f64_e32 0, v[10:11]
	s_cbranch_execz .LBB129_81
; %bb.80:                               ;   in Loop: Header=BB129_3 Depth=1
	v_div_scale_f64 v[12:13], null, v[10:11], v[10:11], 1.0
	s_delay_alu instid0(VALU_DEP_1) | instskip(SKIP_1) | instid1(TRANS32_DEP_1)
	v_rcp_f64_e32 v[14:15], v[12:13]
	v_nop
	v_fma_f64 v[16:17], -v[12:13], v[14:15], 1.0
	s_delay_alu instid0(VALU_DEP_1) | instskip(NEXT) | instid1(VALU_DEP_1)
	v_fmac_f64_e32 v[14:15], v[14:15], v[16:17]
	v_fma_f64 v[16:17], -v[12:13], v[14:15], 1.0
	s_delay_alu instid0(VALU_DEP_1) | instskip(SKIP_1) | instid1(VALU_DEP_1)
	v_fmac_f64_e32 v[14:15], v[14:15], v[16:17]
	v_div_scale_f64 v[16:17], vcc_lo, 1.0, v[10:11], 1.0
	v_mul_f64_e32 v[58:59], v[16:17], v[14:15]
	s_delay_alu instid0(VALU_DEP_1) | instskip(NEXT) | instid1(VALU_DEP_1)
	v_fma_f64 v[12:13], -v[12:13], v[58:59], v[16:17]
	v_div_fmas_f64 v[12:13], v[12:13], v[14:15], v[58:59]
	s_delay_alu instid0(VALU_DEP_1)
	v_div_fixup_f64 v[12:13], v[12:13], v[10:11], 1.0
.LBB129_81:                             ;   in Loop: Header=BB129_3 Depth=1
	s_or_b32 exec_lo, exec_lo, s88
.LBB129_82:                             ;   in Loop: Header=BB129_3 Depth=1
	ds_store_b64 v39, v[12:13]
.LBB129_83:                             ;   in Loop: Header=BB129_3 Depth=1
	s_or_b32 exec_lo, exec_lo, s48
	s_wait_dscnt 0x0
	s_barrier_signal -1
	s_barrier_wait -1
	s_and_saveexec_b32 s48, s1
	s_cbranch_execz .LBB129_105
; %bb.84:                               ;   in Loop: Header=BB129_3 Depth=1
	v_dual_mov_b32 v9, v43 :: v_dual_bitop2_b32 v13, 8, v18 bitop3:0x54
	v_dual_mov_b32 v12, v42 :: v_dual_mov_b32 v14, v41
	s_mov_b32 s88, 0
	s_branch .LBB129_86
.LBB129_85:                             ;   in Loop: Header=BB129_86 Depth=2
	v_add_nc_u32_e32 v14, 0x100, v14
	v_add_nc_u32_e32 v13, 0x110, v13
	;; [unrolled: 1-line block ×4, first 2 shown]
	s_cmp_eq_u32 s88, 16
	s_cbranch_scc1 .LBB129_105
.LBB129_86:                             ;   Parent Loop BB129_3 Depth=1
                                        ; =>  This Loop Header: Depth=2
                                        ;       Child Loop BB129_92 Depth 3
                                        ;       Child Loop BB129_101 Depth 3
	s_mov_b32 s89, exec_lo
                                        ; implicit-def: $sgpr90
	v_cmpx_ge_i32_e64 s88, v4
	s_xor_b32 s89, exec_lo, s89
; %bb.87:                               ;   in Loop: Header=BB129_86 Depth=2
	s_lshl_b32 s90, s88, 7
; %bb.88:                               ;   in Loop: Header=BB129_86 Depth=2
	s_or_saveexec_b32 s89, s89
	v_mov_b64_e32 v[10:11], 0
	v_mov_b32_e32 v15, s90
	s_xor_b32 exec_lo, exec_lo, s89
	s_cbranch_execz .LBB129_90
; %bb.89:                               ;   in Loop: Header=BB129_86 Depth=2
	v_mad_u32 v15, 0x88, s88, v18
	s_lshl_b32 s90, s88, 7
	s_delay_alu instid0(SALU_CYCLE_1)
	v_add_nc_u32_e32 v10, s90, v40
	ds_load_b64 v[10:11], v10
	ds_load_b64 v[16:17], v15
	v_mov_b32_e32 v15, s90
	s_wait_dscnt 0x0
	v_fma_f64 v[10:11], v[10:11], v[16:17], 0
.LBB129_90:                             ;   in Loop: Header=BB129_86 Depth=2
	s_or_b32 exec_lo, exec_lo, s89
	s_delay_alu instid0(VALU_DEP_1) | instskip(SKIP_2) | instid1(SALU_CYCLE_1)
	v_dual_mov_b32 v16, v13 :: v_dual_add_nc_u32 v15, v40, v15
	v_mov_b32_e32 v17, v14
	s_or_b32 s89, s88, 1
	s_mov_b32 s90, s89
	s_branch .LBB129_92
.LBB129_91:                             ;   in Loop: Header=BB129_92 Depth=3
	s_or_b32 exec_lo, exec_lo, s91
	v_add_nc_u32_e32 v17, 0x80, v17
	v_add_nc_u32_e32 v16, 8, v16
	s_add_co_i32 s90, s90, 1
	s_delay_alu instid0(SALU_CYCLE_1)
	s_cmp_eq_u32 s90, 16
	s_cbranch_scc1 .LBB129_96
.LBB129_92:                             ;   Parent Loop BB129_3 Depth=1
                                        ;     Parent Loop BB129_86 Depth=2
                                        ; =>    This Inner Loop Header: Depth=3
	s_mov_b32 s91, exec_lo
	v_cmpx_eq_u32_e64 s90, v4
	s_cbranch_execz .LBB129_94
; %bb.93:                               ;   in Loop: Header=BB129_92 Depth=3
	s_delay_alu instid0(VALU_DEP_4)
	v_add_f64_e64 v[58:59], -v[10:11], 0
	ds_load_b64 v[60:61], v39
	s_wait_dscnt 0x0
	v_mul_f64_e32 v[58:59], v[58:59], v[60:61]
	ds_store_b64 v15, v[58:59]
.LBB129_94:                             ;   in Loop: Header=BB129_92 Depth=3
	s_or_b32 exec_lo, exec_lo, s91
	s_delay_alu instid0(SALU_CYCLE_1)
	s_mov_b32 s91, exec_lo
	v_cmpx_lt_i32_e64 s90, v4
	s_cbranch_execz .LBB129_91
; %bb.95:                               ;   in Loop: Header=BB129_92 Depth=3
	ds_load_b64 v[58:59], v17
	ds_load_b64 v[60:61], v16
	s_wait_dscnt 0x0
	v_fmac_f64_e32 v[10:11], v[58:59], v[60:61]
	s_branch .LBB129_91
.LBB129_96:                             ;   in Loop: Header=BB129_86 Depth=2
	v_mov_b64_e32 v[10:11], 0
	s_mov_b32 s90, exec_lo
	v_cmpx_lt_i32_e64 s89, v4
	s_cbranch_execz .LBB129_98
; %bb.97:                               ;   in Loop: Header=BB129_86 Depth=2
	v_mad_u32 v15, 0x88, s89, v18
	v_lshl_add_u32 v10, s89, 7, v40
	ds_load_b64 v[10:11], v10
	ds_load_b64 v[16:17], v15
	s_wait_dscnt 0x0
	v_fma_f64 v[10:11], v[10:11], v[16:17], 0
.LBB129_98:                             ;   in Loop: Header=BB129_86 Depth=2
	s_or_b32 exec_lo, exec_lo, s90
	s_add_co_i32 s88, s88, 2
	s_cmp_gt_u32 s89, 14
	s_cbranch_scc1 .LBB129_85
; %bb.99:                               ;   in Loop: Header=BB129_86 Depth=2
	v_dual_mov_b32 v15, v9 :: v_dual_mov_b32 v16, v12
	s_lshl_b32 s89, s89, 7
	s_mov_b32 s90, s88
	s_branch .LBB129_101
.LBB129_100:                            ;   in Loop: Header=BB129_101 Depth=3
	s_or_b32 exec_lo, exec_lo, s91
	v_add_nc_u32_e32 v16, 8, v16
	v_add_nc_u32_e32 v15, 0x80, v15
	s_add_co_i32 s90, s90, 1
	s_delay_alu instid0(SALU_CYCLE_1)
	s_cmp_lg_u32 s90, 16
	s_cbranch_scc0 .LBB129_85
.LBB129_101:                            ;   Parent Loop BB129_3 Depth=1
                                        ;     Parent Loop BB129_86 Depth=2
                                        ; =>    This Inner Loop Header: Depth=3
	s_mov_b32 s91, exec_lo
	v_cmpx_eq_u32_e64 s90, v4
	s_cbranch_execz .LBB129_103
; %bb.102:                              ;   in Loop: Header=BB129_101 Depth=3
	s_delay_alu instid0(VALU_DEP_3)
	v_add_f64_e64 v[58:59], -v[10:11], 0
	ds_load_b64 v[60:61], v39
	v_add_nc_u32_e32 v17, s89, v40
	s_wait_dscnt 0x0
	v_mul_f64_e32 v[58:59], v[58:59], v[60:61]
	ds_store_b64 v17, v[58:59]
.LBB129_103:                            ;   in Loop: Header=BB129_101 Depth=3
	s_or_b32 exec_lo, exec_lo, s91
	s_delay_alu instid0(SALU_CYCLE_1)
	s_mov_b32 s91, exec_lo
	v_cmpx_lt_i32_e64 s90, v4
	s_cbranch_execz .LBB129_100
; %bb.104:                              ;   in Loop: Header=BB129_101 Depth=3
	ds_load_b64 v[58:59], v15
	ds_load_b64 v[60:61], v16
	s_wait_dscnt 0x0
	v_fmac_f64_e32 v[10:11], v[58:59], v[60:61]
	s_branch .LBB129_100
.LBB129_105:                            ;   in Loop: Header=BB129_3 Depth=1
	s_or_b32 exec_lo, exec_lo, s48
	s_delay_alu instid0(SALU_CYCLE_1)
	s_and_b32 vcc_lo, exec_lo, s93
	s_wait_dscnt 0x0
	s_barrier_signal -1
	s_barrier_wait -1
	s_cbranch_vccz .LBB129_110
; %bb.106:                              ;   in Loop: Header=BB129_3 Depth=1
	s_mov_b32 s88, 0
	s_mov_b32 s48, 0
                                        ; implicit-def: $vgpr10_vgpr11
	s_and_saveexec_b32 s89, s3
	s_cbranch_execz .LBB129_111
; %bb.107:                              ;   in Loop: Header=BB129_3 Depth=1
	v_mov_b64_e32 v[10:11], 0
	v_dual_mov_b32 v9, v19 :: v_dual_mov_b32 v12, v45
	v_mov_b32_e32 v13, v44
.LBB129_108:                            ;   Parent Loop BB129_3 Depth=1
                                        ; =>  This Inner Loop Header: Depth=2
	ds_load_b64 v[14:15], v9
	ds_load_b64 v[16:17], v12
	v_dual_add_nc_u32 v13, -1, v13 :: v_dual_add_nc_u32 v12, -8, v12
	v_add_nc_u32_e32 v9, 0x80, v9
	s_delay_alu instid0(VALU_DEP_2)
	v_cmp_eq_u32_e32 vcc_lo, 0, v13
	s_or_b32 s48, vcc_lo, s48
	s_wait_dscnt 0x0
	v_fmac_f64_e32 v[10:11], v[14:15], v[16:17]
	s_and_not1_b32 exec_lo, exec_lo, s48
	s_cbranch_execnz .LBB129_108
; %bb.109:                              ;   in Loop: Header=BB129_3 Depth=1
	s_or_b32 exec_lo, exec_lo, s48
	s_delay_alu instid0(SALU_CYCLE_1) | instskip(SKIP_1) | instid1(SALU_CYCLE_1)
	s_mov_b32 s48, exec_lo
	s_or_b32 exec_lo, exec_lo, s89
	s_and_b32 vcc_lo, exec_lo, s88
	s_cbranch_vccnz .LBB129_112
	s_branch .LBB129_117
.LBB129_110:                            ;   in Loop: Header=BB129_3 Depth=1
	s_mov_b32 s48, 0
                                        ; implicit-def: $vgpr10_vgpr11
	s_cbranch_execnz .LBB129_112
	s_branch .LBB129_117
.LBB129_111:                            ;   in Loop: Header=BB129_3 Depth=1
	s_or_b32 exec_lo, exec_lo, s89
	s_delay_alu instid0(SALU_CYCLE_1)
	s_and_b32 vcc_lo, exec_lo, s88
	s_cbranch_vccz .LBB129_117
.LBB129_112:                            ;   in Loop: Header=BB129_3 Depth=1
                                        ; implicit-def: $vgpr10_vgpr11
	s_and_saveexec_b32 s88, s3
	s_cbranch_execz .LBB129_116
; %bb.113:                              ;   in Loop: Header=BB129_3 Depth=1
	v_mov_b64_e32 v[10:11], 0
	v_dual_mov_b32 v9, v46 :: v_dual_mov_b32 v12, v48
	v_mov_b32_e32 v13, v47
	s_mov_b32 s89, 0
.LBB129_114:                            ;   Parent Loop BB129_3 Depth=1
                                        ; =>  This Inner Loop Header: Depth=2
	ds_load_b64 v[14:15], v9
	ds_load_b64 v[16:17], v12
	v_dual_add_nc_u32 v13, 1, v13 :: v_dual_add_nc_u32 v12, 8, v12
	v_add_nc_u32_e32 v9, 0x80, v9
	s_delay_alu instid0(VALU_DEP_2)
	v_cmp_lt_u32_e32 vcc_lo, 14, v13
	s_or_b32 s89, vcc_lo, s89
	s_wait_dscnt 0x0
	v_fmac_f64_e32 v[10:11], v[14:15], v[16:17]
	s_and_not1_b32 exec_lo, exec_lo, s89
	s_cbranch_execnz .LBB129_114
; %bb.115:                              ;   in Loop: Header=BB129_3 Depth=1
	s_or_b32 exec_lo, exec_lo, s89
	s_delay_alu instid0(SALU_CYCLE_1)
	s_or_b32 s48, s48, exec_lo
.LBB129_116:                            ;   in Loop: Header=BB129_3 Depth=1
	s_or_b32 exec_lo, exec_lo, s88
.LBB129_117:                            ;   in Loop: Header=BB129_3 Depth=1
	s_and_saveexec_b32 s88, s48
; %bb.118:                              ;   in Loop: Header=BB129_3 Depth=1
	ds_store_b64 v20, v[10:11]
; %bb.119:                              ;   in Loop: Header=BB129_3 Depth=1
	s_or_b32 exec_lo, exec_lo, s88
	s_delay_alu instid0(SALU_CYCLE_1)
	s_and_b32 vcc_lo, exec_lo, s93
	s_wait_dscnt 0x0
	s_barrier_signal -1
	s_barrier_wait -1
	s_cbranch_vccz .LBB129_125
; %bb.120:                              ;   in Loop: Header=BB129_3 Depth=1
	s_mov_b32 s88, 0
	s_mov_b32 s48, 0
                                        ; implicit-def: $vgpr10_vgpr11
	s_and_saveexec_b32 s89, s3
	s_cbranch_execz .LBB129_124
; %bb.121:                              ;   in Loop: Header=BB129_3 Depth=1
	v_mov_b64_e32 v[10:11], 0
	v_dual_mov_b32 v9, v51 :: v_dual_mov_b32 v12, v50
	v_mov_b32_e32 v13, v49
.LBB129_122:                            ;   Parent Loop BB129_3 Depth=1
                                        ; =>  This Inner Loop Header: Depth=2
	ds_load_b64 v[14:15], v9
	ds_load_b64 v[16:17], v12
	v_dual_add_nc_u32 v13, 1, v13 :: v_dual_add_nc_u32 v12, 8, v12
	v_add_nc_u32_e32 v9, 0xffffff80, v9
	s_delay_alu instid0(VALU_DEP_2)
	v_cmp_lt_u32_e32 vcc_lo, 14, v13
	s_or_b32 s48, vcc_lo, s48
	s_wait_dscnt 0x0
	v_fma_f64 v[10:11], -v[14:15], v[16:17], v[10:11]
	s_and_not1_b32 exec_lo, exec_lo, s48
	s_cbranch_execnz .LBB129_122
; %bb.123:                              ;   in Loop: Header=BB129_3 Depth=1
	s_or_b32 exec_lo, exec_lo, s48
	s_delay_alu instid0(SALU_CYCLE_1)
	s_mov_b32 s48, exec_lo
.LBB129_124:                            ;   in Loop: Header=BB129_3 Depth=1
	s_or_b32 exec_lo, exec_lo, s89
	s_mov_b64 s[90:91], 0x4000
	s_and_b32 vcc_lo, exec_lo, s88
	s_cbranch_vccnz .LBB129_126
	s_branch .LBB129_131
.LBB129_125:                            ;   in Loop: Header=BB129_3 Depth=1
	s_mov_b32 s48, 0
                                        ; implicit-def: $vgpr10_vgpr11
	s_mov_b64 s[90:91], 0x4000
	s_cbranch_execz .LBB129_131
.LBB129_126:                            ;   in Loop: Header=BB129_3 Depth=1
                                        ; implicit-def: $vgpr10_vgpr11
	s_and_saveexec_b32 s88, s3
	s_cbranch_execz .LBB129_130
; %bb.127:                              ;   in Loop: Header=BB129_3 Depth=1
	v_mov_b64_e32 v[10:11], 0
	v_dual_mov_b32 v9, v54 :: v_dual_mov_b32 v12, v53
	v_mov_b32_e32 v13, v52
	s_mov_b32 s89, 0
.LBB129_128:                            ;   Parent Loop BB129_3 Depth=1
                                        ; =>  This Inner Loop Header: Depth=2
	ds_load_b64 v[14:15], v9
	ds_load_b64 v[16:17], v12
	v_dual_add_nc_u32 v13, -1, v13 :: v_dual_add_nc_u32 v12, 8, v12
	v_add_nc_u32_e32 v9, 0x80, v9
	s_delay_alu instid0(VALU_DEP_2)
	v_cmp_eq_u32_e32 vcc_lo, 0, v13
	s_or_b32 s89, vcc_lo, s89
	s_wait_dscnt 0x0
	v_fma_f64 v[10:11], -v[14:15], v[16:17], v[10:11]
	s_and_not1_b32 exec_lo, exec_lo, s89
	s_cbranch_execnz .LBB129_128
; %bb.129:                              ;   in Loop: Header=BB129_3 Depth=1
	s_or_b32 exec_lo, exec_lo, s89
	s_delay_alu instid0(SALU_CYCLE_1)
	s_or_b32 s48, s48, exec_lo
.LBB129_130:                            ;   in Loop: Header=BB129_3 Depth=1
	s_or_b32 exec_lo, exec_lo, s88
	s_mov_b64 s[90:91], 0x80
.LBB129_131:                            ;   in Loop: Header=BB129_3 Depth=1
	s_mul_u64 s[88:89], s[46:47], s[38:39]
	s_delay_alu instid0(SALU_CYCLE_1) | instskip(NEXT) | instid1(SALU_CYCLE_1)
	s_lshl_b64 s[88:89], s[88:89], 3
	s_add_nc_u64 s[88:89], s[54:55], s[88:89]
	s_and_saveexec_b32 s39, s48
	s_cbranch_execz .LBB129_133
; %bb.132:                              ;   in Loop: Header=BB129_3 Depth=1
	v_add_nc_u64_e32 v[12:13], s[88:89], v[0:1]
	s_delay_alu instid0(VALU_DEP_1)
	v_add_nc_u64_e32 v[12:13], s[90:91], v[12:13]
	global_store_b64 v[12:13], v[10:11], off
.LBB129_133:                            ;   in Loop: Header=BB129_3 Depth=1
	s_wait_xcnt 0x0
	s_or_b32 exec_lo, exec_lo, s39
	s_and_saveexec_b32 s39, s1
	s_cbranch_execz .LBB129_2
; %bb.134:                              ;   in Loop: Header=BB129_3 Depth=1
	s_and_not1_b32 vcc_lo, exec_lo, s93
	s_mov_b32 s48, -1
	s_cbranch_vccnz .LBB129_139
; %bb.135:                              ;   in Loop: Header=BB129_3 Depth=1
	s_and_saveexec_b32 s90, s36
	s_cbranch_execz .LBB129_138
; %bb.136:                              ;   in Loop: Header=BB129_3 Depth=1
	v_mov_b32_e32 v9, v1
	s_mov_b32 s48, 16
	s_delay_alu instid0(VALU_DEP_1) | instskip(SKIP_2) | instid1(VALU_DEP_2)
	v_add_nc_u64_e32 v[10:11], s[88:89], v[8:9]
	v_mov_b32_e32 v9, v55
	s_mov_b32 s88, 0
	v_lshl_add_u64 v[10:11], v[4:5], 3, v[10:11]
.LBB129_137:                            ;   Parent Loop BB129_3 Depth=1
                                        ; =>  This Inner Loop Header: Depth=2
	ds_load_b64 v[12:13], v9
	s_add_co_i32 s48, s48, -1
	v_add_nc_u32_e32 v9, 0x80, v9
	s_lshl_b64 s[96:97], s[48:49], 10
	v_cmp_le_i32_e32 vcc_lo, s48, v4
	v_add_nc_u64_e32 v[14:15], s[96:97], v[10:11]
	s_or_b32 s88, vcc_lo, s88
	s_wait_dscnt 0x0
	global_store_b64 v[14:15], v[12:13], off
	s_wait_xcnt 0x0
	s_and_not1_b32 exec_lo, exec_lo, s88
	s_cbranch_execnz .LBB129_137
.LBB129_138:                            ;   in Loop: Header=BB129_3 Depth=1
	s_or_b32 exec_lo, exec_lo, s90
	s_mov_b32 s48, 0
.LBB129_139:                            ;   in Loop: Header=BB129_3 Depth=1
	s_delay_alu instid0(SALU_CYCLE_1)
	s_and_not1_b32 vcc_lo, exec_lo, s48
	s_cbranch_vccnz .LBB129_2
; %bb.140:                              ;   in Loop: Header=BB129_3 Depth=1
	s_and_b32 exec_lo, exec_lo, s37
	s_cbranch_execz .LBB129_2
; %bb.141:                              ;   in Loop: Header=BB129_3 Depth=1
	v_mad_nc_u64_u32 v[10:11], s86, s38, v[6:7]
	v_dual_mov_b32 v9, v40 :: v_dual_mov_b32 v12, v56
	s_mov_b32 s48, 0
	s_delay_alu instid0(VALU_DEP_2)
	v_mad_u32 v11, s87, s38, v11
.LBB129_142:                            ;   Parent Loop BB129_3 Depth=1
                                        ; =>  This Inner Loop Header: Depth=2
	ds_load_b64 v[14:15], v9
	v_add_nc_u32_e32 v12, -1, v12
	v_add_nc_u32_e32 v9, 0x80, v9
	s_delay_alu instid0(VALU_DEP_2)
	v_cmp_eq_u32_e32 vcc_lo, 0, v12
	s_or_b32 s48, vcc_lo, s48
	s_wait_dscnt 0x0
	global_store_b64 v[10:11], v[14:15], off
	s_wait_xcnt 0x0
	v_add_nc_u64_e32 v[10:11], 0x400, v[10:11]
	s_and_not1_b32 exec_lo, exec_lo, s48
	s_cbranch_execnz .LBB129_142
	s_branch .LBB129_2
.LBB129_143:
	s_endpgm
	.section	.rodata,"a",@progbits
	.p2align	6, 0x0
	.amdhsa_kernel _ZL25rocblas_trtri_trsm_kernelILi128ELi16ELi8EdPKdPdEv13rocblas_fill_17rocblas_diagonal_T3_lilT4_lli
		.amdhsa_group_segment_fixed_size 8192
		.amdhsa_private_segment_fixed_size 0
		.amdhsa_kernarg_size 68
		.amdhsa_user_sgpr_count 2
		.amdhsa_user_sgpr_dispatch_ptr 0
		.amdhsa_user_sgpr_queue_ptr 0
		.amdhsa_user_sgpr_kernarg_segment_ptr 1
		.amdhsa_user_sgpr_dispatch_id 0
		.amdhsa_user_sgpr_kernarg_preload_length 0
		.amdhsa_user_sgpr_kernarg_preload_offset 0
		.amdhsa_user_sgpr_private_segment_size 0
		.amdhsa_wavefront_size32 1
		.amdhsa_uses_dynamic_stack 0
		.amdhsa_enable_private_segment 0
		.amdhsa_system_sgpr_workgroup_id_x 1
		.amdhsa_system_sgpr_workgroup_id_y 0
		.amdhsa_system_sgpr_workgroup_id_z 1
		.amdhsa_system_sgpr_workgroup_info 0
		.amdhsa_system_vgpr_workitem_id 0
		.amdhsa_next_free_vgpr 62
		.amdhsa_next_free_sgpr 98
		.amdhsa_named_barrier_count 0
		.amdhsa_reserve_vcc 1
		.amdhsa_float_round_mode_32 0
		.amdhsa_float_round_mode_16_64 0
		.amdhsa_float_denorm_mode_32 3
		.amdhsa_float_denorm_mode_16_64 3
		.amdhsa_fp16_overflow 0
		.amdhsa_memory_ordered 1
		.amdhsa_forward_progress 1
		.amdhsa_inst_pref_size 44
		.amdhsa_round_robin_scheduling 0
		.amdhsa_exception_fp_ieee_invalid_op 0
		.amdhsa_exception_fp_denorm_src 0
		.amdhsa_exception_fp_ieee_div_zero 0
		.amdhsa_exception_fp_ieee_overflow 0
		.amdhsa_exception_fp_ieee_underflow 0
		.amdhsa_exception_fp_ieee_inexact 0
		.amdhsa_exception_int_div_zero 0
	.end_amdhsa_kernel
	.section	.text._ZL25rocblas_trtri_trsm_kernelILi128ELi16ELi8EdPKdPdEv13rocblas_fill_17rocblas_diagonal_T3_lilT4_lli,"axG",@progbits,_ZL25rocblas_trtri_trsm_kernelILi128ELi16ELi8EdPKdPdEv13rocblas_fill_17rocblas_diagonal_T3_lilT4_lli,comdat
.Lfunc_end129:
	.size	_ZL25rocblas_trtri_trsm_kernelILi128ELi16ELi8EdPKdPdEv13rocblas_fill_17rocblas_diagonal_T3_lilT4_lli, .Lfunc_end129-_ZL25rocblas_trtri_trsm_kernelILi128ELi16ELi8EdPKdPdEv13rocblas_fill_17rocblas_diagonal_T3_lilT4_lli
                                        ; -- End function
	.set _ZL25rocblas_trtri_trsm_kernelILi128ELi16ELi8EdPKdPdEv13rocblas_fill_17rocblas_diagonal_T3_lilT4_lli.num_vgpr, 62
	.set _ZL25rocblas_trtri_trsm_kernelILi128ELi16ELi8EdPKdPdEv13rocblas_fill_17rocblas_diagonal_T3_lilT4_lli.num_agpr, 0
	.set _ZL25rocblas_trtri_trsm_kernelILi128ELi16ELi8EdPKdPdEv13rocblas_fill_17rocblas_diagonal_T3_lilT4_lli.numbered_sgpr, 98
	.set _ZL25rocblas_trtri_trsm_kernelILi128ELi16ELi8EdPKdPdEv13rocblas_fill_17rocblas_diagonal_T3_lilT4_lli.num_named_barrier, 0
	.set _ZL25rocblas_trtri_trsm_kernelILi128ELi16ELi8EdPKdPdEv13rocblas_fill_17rocblas_diagonal_T3_lilT4_lli.private_seg_size, 0
	.set _ZL25rocblas_trtri_trsm_kernelILi128ELi16ELi8EdPKdPdEv13rocblas_fill_17rocblas_diagonal_T3_lilT4_lli.uses_vcc, 1
	.set _ZL25rocblas_trtri_trsm_kernelILi128ELi16ELi8EdPKdPdEv13rocblas_fill_17rocblas_diagonal_T3_lilT4_lli.uses_flat_scratch, 0
	.set _ZL25rocblas_trtri_trsm_kernelILi128ELi16ELi8EdPKdPdEv13rocblas_fill_17rocblas_diagonal_T3_lilT4_lli.has_dyn_sized_stack, 0
	.set _ZL25rocblas_trtri_trsm_kernelILi128ELi16ELi8EdPKdPdEv13rocblas_fill_17rocblas_diagonal_T3_lilT4_lli.has_recursion, 0
	.set _ZL25rocblas_trtri_trsm_kernelILi128ELi16ELi8EdPKdPdEv13rocblas_fill_17rocblas_diagonal_T3_lilT4_lli.has_indirect_call, 0
	.section	.AMDGPU.csdata,"",@progbits
; Kernel info:
; codeLenInByte = 5520
; TotalNumSgprs: 100
; NumVgprs: 62
; ScratchSize: 0
; MemoryBound: 0
; FloatMode: 240
; IeeeMode: 1
; LDSByteSize: 8192 bytes/workgroup (compile time only)
; SGPRBlocks: 0
; VGPRBlocks: 3
; NumSGPRsForWavesPerEU: 100
; NumVGPRsForWavesPerEU: 62
; NamedBarCnt: 0
; Occupancy: 16
; WaveLimiterHint : 0
; COMPUTE_PGM_RSRC2:SCRATCH_EN: 0
; COMPUTE_PGM_RSRC2:USER_SGPR: 2
; COMPUTE_PGM_RSRC2:TRAP_HANDLER: 0
; COMPUTE_PGM_RSRC2:TGID_X_EN: 1
; COMPUTE_PGM_RSRC2:TGID_Y_EN: 0
; COMPUTE_PGM_RSRC2:TGID_Z_EN: 1
; COMPUTE_PGM_RSRC2:TIDIG_COMP_CNT: 0
	.section	.text._ZL18rocblas_trtri_fillILi128EdPdEvP15_rocblas_handle13rocblas_fill_ililT1_llii,"axG",@progbits,_ZL18rocblas_trtri_fillILi128EdPdEvP15_rocblas_handle13rocblas_fill_ililT1_llii,comdat
	.globl	_ZL18rocblas_trtri_fillILi128EdPdEvP15_rocblas_handle13rocblas_fill_ililT1_llii ; -- Begin function _ZL18rocblas_trtri_fillILi128EdPdEvP15_rocblas_handle13rocblas_fill_ililT1_llii
	.p2align	8
	.type	_ZL18rocblas_trtri_fillILi128EdPdEvP15_rocblas_handle13rocblas_fill_ililT1_llii,@function
_ZL18rocblas_trtri_fillILi128EdPdEvP15_rocblas_handle13rocblas_fill_ililT1_llii: ; @_ZL18rocblas_trtri_fillILi128EdPdEvP15_rocblas_handle13rocblas_fill_ililT1_llii
; %bb.0:
	s_load_b64 s[2:3], s[0:1], 0x40
	s_bfe_u32 s4, ttmp6, 0x40014
	s_lshr_b32 s5, ttmp7, 16
	s_add_co_i32 s4, s4, 1
	s_bfe_u32 s6, ttmp6, 0x40008
	s_mul_i32 s4, s5, s4
	s_getreg_b32 s17, hwreg(HW_REG_IB_STS2, 6, 4)
	s_add_co_i32 s6, s6, s4
	s_cmp_eq_u32 s17, 0
	s_mov_b32 s19, 0
	s_cselect_b32 s16, s5, s6
	s_wait_kmcnt 0x0
	s_cmp_ge_u32 s16, s3
	s_cbranch_scc1 .LBB130_17
; %bb.1:
	s_clause 0x2
	s_load_b32 s20, s[0:1], 0x18
	s_load_b128 s[12:15], s[0:1], 0x8
	s_load_b256 s[4:11], s[0:1], 0x20
	s_bfe_u32 s18, ttmp6, 0x4000c
	s_and_b32 s22, ttmp6, 15
	s_add_co_i32 s18, s18, 1
	s_ashr_i32 s23, s2, 31
	s_mul_i32 s18, ttmp9, s18
	v_mov_b64_e32 v[6:7], 0
	s_add_co_i32 s22, s22, s18
	s_mov_b64 s[28:29], 0xffffffff
	s_add_nc_u64 s[34:35], s[0:1], 0x48
	s_wait_kmcnt 0x0
	s_ashr_i32 s21, s20, 31
	v_cvt_f32_u32_e32 v1, s14
	s_lshl_b64 s[24:25], s[8:9], 3
	s_cmp_eq_u32 s17, 0
	s_cvt_f32_u32 s17, s14
	s_cselect_b32 s18, ttmp9, s22
	v_rcp_iflag_f32_e32 v1, v1
	s_lshl_b64 s[8:9], s[18:19], 7
	s_cvt_f32_u32 s18, s15
	v_or_b32_e32 v0, s8, v0
	s_add_co_i32 s8, s13, -2
	s_mov_b32 s22, s2
	s_fmamk_f32 s17, s18, 0x4f800000, s17
	v_mul_f32_e32 v1, 0x4f7ffffe, v1
	v_cvt_f64_i32_e32 v[2:3], s8
	s_sub_co_i32 s8, 0, s14
	v_s_rcp_f32 s17, s17
	s_add_nc_u64 s[6:7], s[6:7], s[24:25]
	v_cvt_u32_f32_e32 v5, v1
	v_mov_b32_e32 v1, s9
	s_add_co_i32 s24, s13, -1
	s_sub_nc_u64 s[36:37], 0, s[14:15]
	s_ashr_i32 s25, s24, 31
	v_mul_lo_u32 v4, s8, v5
	s_mul_f32 s17, s17, 0x5f7ffffc
	s_mul_u64 s[8:9], s[14:15], s[22:23]
	s_ashr_i32 s23, s13, 31
	s_mov_b32 s22, s13
	s_mul_f32 s13, s17, 0x2f800000
	v_cmp_gt_u64_e64 s2, s[8:9], v[0:1]
	s_mul_u64 s[26:27], s[24:25], s[22:23]
	s_delay_alu instid0(SALU_CYCLE_1)
	s_trunc_f32 s13, s13
	s_lshl_b64 s[24:25], s[26:27], 2
	v_mul_hi_u32 v8, v5, v4
	v_mov_b32_e32 v4, 0
	s_fmamk_f32 s17, s13, 0xcf800000, s17
	s_cvt_u32_f32 s31, s13
	s_add_nc_u64 s[24:25], s[24:25], -7
	s_lshr_b64 s[26:27], s[26:27], 1
	s_cvt_u32_f32 s30, s17
	s_delay_alu instid0(VALU_DEP_2)
	v_add_nc_u32_e32 v14, v5, v8
	s_branch .LBB130_3
.LBB130_2:                              ;   in Loop: Header=BB130_3 Depth=1
	s_or_b32 exec_lo, exec_lo, s1
	s_add_co_i32 s16, s16, 0x10000
	s_delay_alu instid0(SALU_CYCLE_1)
	s_cmp_lt_u32 s16, s3
	s_cbranch_scc0 .LBB130_17
.LBB130_3:                              ; =>This Loop Header: Depth=1
                                        ;     Child Loop BB130_6 Depth 2
	s_and_saveexec_b32 s1, s2
	s_cbranch_execz .LBB130_2
; %bb.4:                                ;   in Loop: Header=BB130_3 Depth=1
	s_clause 0x1
	s_load_b32 s0, s[34:35], 0xc
	s_load_b32 s18, s[34:35], 0x0
	s_mov_b32 s17, s19
	v_mov_b64_e32 v[8:9], v[0:1]
	s_mul_u64 s[38:39], s[10:11], s[16:17]
	s_mov_b32 s41, s19
	s_lshl_b64 s[38:39], s[38:39], 3
	s_mov_b32 s13, 0
	s_add_nc_u64 s[38:39], s[6:7], s[38:39]
	s_wait_kmcnt 0x0
	s_and_b32 s40, s0, 0xffff
	s_delay_alu instid0(SALU_CYCLE_1)
	s_mul_u64 s[40:41], s[40:41], s[18:19]
	s_branch .LBB130_6
.LBB130_5:                              ;   in Loop: Header=BB130_6 Depth=2
	v_add_nc_u64_e32 v[8:9], s[40:41], v[8:9]
	s_delay_alu instid0(VALU_DEP_1)
	v_cmp_le_u64_e32 vcc_lo, s[8:9], v[8:9]
	s_or_b32 s13, vcc_lo, s13
	s_wait_xcnt 0x0
	s_and_not1_b32 exec_lo, exec_lo, s13
	s_cbranch_execz .LBB130_2
.LBB130_6:                              ;   Parent Loop BB130_3 Depth=1
                                        ; =>  This Inner Loop Header: Depth=2
	v_or_b32_e32 v5, s15, v9
                                        ; implicit-def: $vgpr10_vgpr11
	s_mov_b32 s0, exec_lo
	s_delay_alu instid0(VALU_DEP_1)
	v_cmpx_ne_u64_e32 0, v[4:5]
	s_xor_b32 s17, exec_lo, s0
	s_cbranch_execz .LBB130_8
; %bb.7:                                ;   in Loop: Header=BB130_6 Depth=2
	s_mul_u64 s[42:43], s[36:37], s[30:31]
	v_dual_mov_b32 v10, v8 :: v_dual_mov_b32 v11, v4
	s_mul_hi_u32 s45, s30, s43
	s_mul_i32 s44, s30, s43
	s_mul_hi_u32 s18, s30, s42
	s_mul_hi_u32 s0, s31, s42
	s_add_nc_u64 s[44:45], s[18:19], s[44:45]
	s_mul_i32 s18, s31, s42
	s_mul_hi_u32 s33, s31, s43
	s_add_co_u32 s18, s44, s18
	s_add_co_ci_u32 s18, s45, s0
	s_add_co_ci_u32 s45, s33, 0
	s_mul_i32 s44, s31, s43
	v_dual_mov_b32 v12, v9 :: v_dual_mov_b32 v13, v4
	s_add_nc_u64 s[42:43], s[18:19], s[44:45]
	v_mov_b32_e32 v19, v4
	s_add_co_u32 s42, s30, s42
	s_cselect_b32 s0, -1, 0
	s_delay_alu instid0(SALU_CYCLE_1) | instskip(SKIP_1) | instid1(SALU_CYCLE_1)
	s_cmp_lg_u32 s0, 0
	s_add_co_ci_u32 s43, s31, s43
	s_mul_u64 s[44:45], s[36:37], s[42:43]
	s_delay_alu instid0(SALU_CYCLE_1)
	s_mul_hi_u32 s47, s42, s45
	s_mul_i32 s46, s42, s45
	s_mul_hi_u32 s18, s42, s44
	s_mul_i32 s33, s43, s44
	s_add_nc_u64 s[46:47], s[18:19], s[46:47]
	s_mul_hi_u32 s0, s43, s44
	s_mul_hi_u32 s48, s43, s45
	s_add_co_u32 s18, s46, s33
	s_add_co_ci_u32 s18, s47, s0
	s_mul_i32 s44, s43, s45
	s_add_co_ci_u32 s45, s48, 0
	s_delay_alu instid0(SALU_CYCLE_1) | instskip(NEXT) | instid1(SALU_CYCLE_1)
	s_add_nc_u64 s[44:45], s[18:19], s[44:45]
	s_add_co_u32 s0, s42, s44
	s_cselect_b32 s18, -1, 0
	v_mul_hi_u32 v18, v8, s0
	s_cmp_lg_u32 s18, 0
	s_add_co_ci_u32 s18, s43, s45
	s_and_b64 s[42:43], s[0:1], s[28:29]
	v_mul_u64_e32 v[10:11], s[18:19], v[10:11]
	v_mul_u64_e32 v[16:17], s[42:43], v[12:13]
	;; [unrolled: 1-line block ×3, first 2 shown]
	s_delay_alu instid0(VALU_DEP_3) | instskip(NEXT) | instid1(VALU_DEP_1)
	v_add_nc_u64_e32 v[10:11], v[18:19], v[10:11]
	v_add_co_u32 v5, vcc_lo, v10, v16
	s_delay_alu instid0(VALU_DEP_2) | instskip(NEXT) | instid1(VALU_DEP_4)
	v_add_co_ci_u32_e32 v18, vcc_lo, v11, v17, vcc_lo
	v_add_co_ci_u32_e32 v13, vcc_lo, 0, v13, vcc_lo
	s_delay_alu instid0(VALU_DEP_1) | instskip(NEXT) | instid1(VALU_DEP_1)
	v_add_nc_u64_e32 v[10:11], v[18:19], v[12:13]
	v_mul_u64_e32 v[12:13], s[14:15], v[10:11]
	v_add_nc_u64_e32 v[16:17], 2, v[10:11]
	s_delay_alu instid0(VALU_DEP_2) | instskip(NEXT) | instid1(VALU_DEP_3)
	v_sub_nc_u32_e32 v5, v9, v13
	v_sub_co_u32 v12, vcc_lo, v8, v12
	s_delay_alu instid0(VALU_DEP_1) | instskip(NEXT) | instid1(VALU_DEP_3)
	v_sub_co_ci_u32_e64 v19, null, v9, v13, vcc_lo
	v_subrev_co_ci_u32_e64 v5, null, s15, v5, vcc_lo
	s_delay_alu instid0(VALU_DEP_3) | instskip(SKIP_1) | instid1(VALU_DEP_3)
	v_sub_co_u32 v15, s0, v12, s14
	v_cmp_le_u32_e32 vcc_lo, s14, v12
	v_subrev_co_ci_u32_e64 v5, null, 0, v5, s0
	s_delay_alu instid0(VALU_DEP_3) | instskip(SKIP_2) | instid1(VALU_DEP_4)
	v_cmp_le_u32_e64 s0, s14, v15
	v_add_nc_u64_e32 v[12:13], 1, v[10:11]
	v_cndmask_b32_e64 v20, 0, -1, vcc_lo
	v_cmp_eq_u32_e32 vcc_lo, s15, v5
	s_delay_alu instid0(VALU_DEP_4) | instskip(SKIP_1) | instid1(VALU_DEP_1)
	v_cndmask_b32_e64 v15, 0, -1, s0
	v_cmp_le_u32_e64 s0, s15, v5
	v_cndmask_b32_e64 v18, 0, -1, s0
	v_cmp_eq_u32_e64 s0, s15, v19
	s_delay_alu instid0(VALU_DEP_2) | instskip(SKIP_2) | instid1(VALU_DEP_3)
	v_cndmask_b32_e32 v5, v18, v15, vcc_lo
	v_cmp_le_u32_e32 vcc_lo, s15, v19
	v_cndmask_b32_e64 v15, 0, -1, vcc_lo
	v_cmp_ne_u32_e32 vcc_lo, 0, v5
	s_delay_alu instid0(VALU_DEP_2) | instskip(SKIP_1) | instid1(VALU_DEP_2)
	v_dual_cndmask_b32 v5, v15, v20, s0 :: v_dual_cndmask_b32 v13, v13, v17, vcc_lo
	v_cndmask_b32_e32 v12, v12, v16, vcc_lo
	v_cmp_ne_u32_e32 vcc_lo, 0, v5
	s_delay_alu instid0(VALU_DEP_2)
	v_dual_cndmask_b32 v11, v11, v13 :: v_dual_cndmask_b32 v10, v10, v12
.LBB130_8:                              ;   in Loop: Header=BB130_6 Depth=2
	s_and_not1_saveexec_b32 s0, s17
	s_cbranch_execz .LBB130_10
; %bb.9:                                ;   in Loop: Header=BB130_6 Depth=2
	v_mul_hi_u32 v5, v8, v14
	s_delay_alu instid0(VALU_DEP_1) | instskip(NEXT) | instid1(VALU_DEP_1)
	v_mul_lo_u32 v10, v5, s14
	v_dual_add_nc_u32 v11, 1, v5 :: v_dual_sub_nc_u32 v10, v8, v10
	s_delay_alu instid0(VALU_DEP_1) | instskip(SKIP_1) | instid1(VALU_DEP_2)
	v_subrev_nc_u32_e32 v12, s14, v10
	v_cmp_le_u32_e32 vcc_lo, s14, v10
	v_dual_cndmask_b32 v10, v10, v12 :: v_dual_cndmask_b32 v5, v5, v11
	s_delay_alu instid0(VALU_DEP_1) | instskip(NEXT) | instid1(VALU_DEP_2)
	v_cmp_le_u32_e32 vcc_lo, s14, v10
	v_add_nc_u32_e32 v11, 1, v5
	s_delay_alu instid0(VALU_DEP_1)
	v_dual_cndmask_b32 v10, v5, v11 :: v_dual_mov_b32 v11, v4
.LBB130_10:                             ;   in Loop: Header=BB130_6 Depth=2
	s_or_b32 exec_lo, exec_lo, s0
	s_delay_alu instid0(VALU_DEP_1) | instskip(SKIP_2) | instid1(VALU_DEP_1)
	v_mul_u64_e32 v[12:13], s[14:15], v[10:11]
	s_cmp_lt_i32 s12, 0x7a
	s_mov_b32 s0, -1
	v_sub_nc_u64_e32 v[12:13], v[8:9], v[12:13]
	s_cbranch_scc1 .LBB130_14
; %bb.11:                               ;   in Loop: Header=BB130_6 Depth=2
	s_cmp_eq_u32 s12, 0x7a
	s_cbranch_scc0 .LBB130_13
; %bb.12:                               ;   in Loop: Header=BB130_6 Depth=2
	s_delay_alu instid0(VALU_DEP_1) | instskip(NEXT) | instid1(VALU_DEP_1)
	v_lshlrev_b64_e32 v[16:17], 3, v[12:13]
	v_sub_nc_u64_e32 v[16:17], s[24:25], v[16:17]
	s_delay_alu instid0(VALU_DEP_1) | instskip(NEXT) | instid1(VALU_DEP_2)
	v_cvt_f64_u32_e32 v[18:19], v17
	v_cvt_f64_u32_e32 v[16:17], v16
	s_delay_alu instid0(VALU_DEP_2) | instskip(NEXT) | instid1(VALU_DEP_1)
	v_ldexp_f64 v[18:19], v[18:19], 32
	v_add_f64_e32 v[16:17], v[18:19], v[16:17]
	s_delay_alu instid0(VALU_DEP_1) | instskip(SKIP_1) | instid1(VALU_DEP_1)
	v_cmp_gt_f64_e32 vcc_lo, 0x10000000, v[16:17]
	v_cndmask_b32_e64 v5, 0, 0x100, vcc_lo
	v_ldexp_f64 v[16:17], v[16:17], v5
	v_cndmask_b32_e64 v5, 0, 0xffffff80, vcc_lo
	s_delay_alu instid0(VALU_DEP_2) | instskip(SKIP_1) | instid1(TRANS32_DEP_1)
	v_rsq_f64_e32 v[18:19], v[16:17]
	v_cmp_class_f64_e64 vcc_lo, v[16:17], 0x260
	v_mul_f64_e32 v[20:21], v[16:17], v[18:19]
	v_mul_f64_e32 v[18:19], 0.5, v[18:19]
	s_delay_alu instid0(VALU_DEP_1) | instskip(NEXT) | instid1(VALU_DEP_1)
	v_fma_f64 v[22:23], -v[18:19], v[20:21], 0.5
	v_fmac_f64_e32 v[20:21], v[20:21], v[22:23]
	v_fmac_f64_e32 v[18:19], v[18:19], v[22:23]
	s_delay_alu instid0(VALU_DEP_2) | instskip(NEXT) | instid1(VALU_DEP_1)
	v_fma_f64 v[22:23], -v[20:21], v[20:21], v[16:17]
	v_fmac_f64_e32 v[20:21], v[22:23], v[18:19]
	s_delay_alu instid0(VALU_DEP_1) | instskip(NEXT) | instid1(VALU_DEP_1)
	v_fma_f64 v[22:23], -v[20:21], v[20:21], v[16:17]
	v_fmac_f64_e32 v[20:21], v[22:23], v[18:19]
	s_delay_alu instid0(VALU_DEP_1) | instskip(SKIP_1) | instid1(VALU_DEP_2)
	v_ldexp_f64 v[18:19], v[20:21], v5
	v_mul_u64_e32 v[20:21], s[4:5], v[10:11]
	v_dual_cndmask_b32 v17, v19, v17 :: v_dual_cndmask_b32 v16, v18, v16
	s_delay_alu instid0(VALU_DEP_2) | instskip(NEXT) | instid1(VALU_DEP_2)
	v_lshl_add_u64 v[20:21], v[20:21], 3, s[38:39]
	v_fma_f64 v[16:17], v[16:17], 0.5, -0.5
	s_delay_alu instid0(VALU_DEP_1) | instskip(NEXT) | instid1(VALU_DEP_1)
	v_floor_f64_e32 v[16:17], v[16:17]
	v_add_f64_e64 v[16:17], v[2:3], -v[16:17]
	s_delay_alu instid0(VALU_DEP_1) | instskip(NEXT) | instid1(VALU_DEP_1)
	v_trunc_f64_e32 v[16:17], v[16:17]
	v_ldexp_f64 v[18:19], v[16:17], 0xffffffe0
	s_delay_alu instid0(VALU_DEP_1) | instskip(NEXT) | instid1(VALU_DEP_1)
	v_floor_f64_e32 v[18:19], v[18:19]
	v_fmac_f64_e32 v[16:17], 0xc1f00000, v[18:19]
	s_delay_alu instid0(VALU_DEP_1) | instskip(SKIP_1) | instid1(VALU_DEP_1)
	v_cvt_u32_f64_e32 v16, v[16:17]
	v_cvt_u32_f64_e32 v17, v[18:19]
	v_sub_nc_u64_e32 v[18:19], s[22:23], v[16:17]
	v_mul_u64_e32 v[24:25], s[20:21], v[16:17]
	s_delay_alu instid0(VALU_DEP_2) | instskip(NEXT) | instid1(VALU_DEP_1)
	v_add_nc_u64_e32 v[22:23], -1, v[18:19]
	v_mul_u64_e32 v[18:19], v[22:23], v[18:19]
	v_sub_nc_u64_e64 v[22:23], v[12:13], s[26:27]
	s_delay_alu instid0(VALU_DEP_4) | instskip(NEXT) | instid1(VALU_DEP_1)
	v_lshl_add_u64 v[20:21], v[24:25], 3, v[20:21]
	v_lshl_add_u64 v[20:21], v[22:23], 3, v[20:21]
	s_delay_alu instid0(VALU_DEP_1) | instskip(SKIP_1) | instid1(VALU_DEP_1)
	v_lshl_add_u64 v[16:17], v[16:17], 3, v[20:21]
	v_lshlrev_b64_e32 v[18:19], 2, v[18:19]
	v_and_b32_e32 v18, -8, v18
	s_delay_alu instid0(VALU_DEP_1)
	v_add_nc_u64_e32 v[16:17], v[16:17], v[18:19]
	global_store_b64 v[16:17], v[6:7], off offset:8
.LBB130_13:                             ;   in Loop: Header=BB130_6 Depth=2
	s_mov_b32 s0, 0
.LBB130_14:                             ;   in Loop: Header=BB130_6 Depth=2
	s_delay_alu instid0(SALU_CYCLE_1)
	s_and_not1_b32 vcc_lo, exec_lo, s0
	s_cbranch_vccnz .LBB130_5
; %bb.15:                               ;   in Loop: Header=BB130_6 Depth=2
	s_cmp_lg_u32 s12, 0x79
	s_cbranch_scc1 .LBB130_5
; %bb.16:                               ;   in Loop: Header=BB130_6 Depth=2
	s_wait_xcnt 0x0
	v_lshlrev_b64_e32 v[16:17], 3, v[12:13]
	v_mul_u64_e32 v[10:11], s[4:5], v[10:11]
	s_delay_alu instid0(VALU_DEP_2) | instskip(NEXT) | instid1(VALU_DEP_3)
	v_cvt_f64_u32_e32 v[18:19], v17
	v_or_b32_e32 v5, 1, v16
	s_delay_alu instid0(VALU_DEP_1) | instskip(NEXT) | instid1(VALU_DEP_4)
	v_cvt_f64_u32_e32 v[16:17], v5
	v_lshl_add_u64 v[10:11], v[10:11], 3, s[38:39]
	s_delay_alu instid0(VALU_DEP_4) | instskip(NEXT) | instid1(VALU_DEP_1)
	v_ldexp_f64 v[18:19], v[18:19], 32
	v_add_f64_e32 v[16:17], v[18:19], v[16:17]
	s_delay_alu instid0(VALU_DEP_1) | instskip(SKIP_1) | instid1(VALU_DEP_1)
	v_cmp_gt_f64_e32 vcc_lo, 0x10000000, v[16:17]
	v_cndmask_b32_e64 v5, 0, 0x100, vcc_lo
	v_ldexp_f64 v[16:17], v[16:17], v5
	v_cndmask_b32_e64 v5, 0, 0xffffff80, vcc_lo
	s_delay_alu instid0(VALU_DEP_2) | instskip(SKIP_1) | instid1(TRANS32_DEP_1)
	v_rsq_f64_e32 v[18:19], v[16:17]
	v_cmp_class_f64_e64 vcc_lo, v[16:17], 0x260
	v_mul_f64_e32 v[20:21], v[16:17], v[18:19]
	v_mul_f64_e32 v[18:19], 0.5, v[18:19]
	s_delay_alu instid0(VALU_DEP_1) | instskip(NEXT) | instid1(VALU_DEP_1)
	v_fma_f64 v[22:23], -v[18:19], v[20:21], 0.5
	v_fmac_f64_e32 v[20:21], v[20:21], v[22:23]
	v_fmac_f64_e32 v[18:19], v[18:19], v[22:23]
	s_delay_alu instid0(VALU_DEP_2) | instskip(NEXT) | instid1(VALU_DEP_1)
	v_fma_f64 v[22:23], -v[20:21], v[20:21], v[16:17]
	v_fmac_f64_e32 v[20:21], v[22:23], v[18:19]
	s_delay_alu instid0(VALU_DEP_1) | instskip(NEXT) | instid1(VALU_DEP_1)
	v_fma_f64 v[22:23], -v[20:21], v[20:21], v[16:17]
	v_fmac_f64_e32 v[20:21], v[22:23], v[18:19]
	s_delay_alu instid0(VALU_DEP_1) | instskip(NEXT) | instid1(VALU_DEP_1)
	v_ldexp_f64 v[18:19], v[20:21], v5
	v_dual_cndmask_b32 v17, v19, v17 :: v_dual_cndmask_b32 v16, v18, v16
	s_delay_alu instid0(VALU_DEP_1) | instskip(NEXT) | instid1(VALU_DEP_1)
	v_add_f64_e32 v[16:17], -1.0, v[16:17]
	v_mul_f64_e32 v[16:17], 0.5, v[16:17]
	s_delay_alu instid0(VALU_DEP_1) | instskip(NEXT) | instid1(VALU_DEP_1)
	v_trunc_f64_e32 v[16:17], v[16:17]
	v_ldexp_f64 v[18:19], v[16:17], 0xffffffe0
	s_delay_alu instid0(VALU_DEP_1) | instskip(NEXT) | instid1(VALU_DEP_1)
	v_floor_f64_e32 v[18:19], v[18:19]
	v_fmac_f64_e32 v[16:17], 0xc1f00000, v[18:19]
	s_delay_alu instid0(VALU_DEP_1) | instskip(SKIP_1) | instid1(VALU_DEP_2)
	v_cvt_u32_f64_e32 v16, v[16:17]
	v_cvt_u32_f64_e32 v17, v[18:19]
	v_mad_nc_u64_u32 v[18:19], s20, v16, s[20:21]
	s_delay_alu instid0(VALU_DEP_2) | instskip(SKIP_1) | instid1(VALU_DEP_3)
	v_mad_nc_u64_u32 v[20:21], v16, v16, v[16:17]
	v_mul_lo_u32 v5, v16, v17
	v_mad_u32 v15, s21, v16, v19
	s_delay_alu instid0(VALU_DEP_2) | instskip(NEXT) | instid1(VALU_DEP_2)
	v_add3_u32 v21, v5, v21, v5
	v_mad_u32 v19, s20, v17, v15
	s_delay_alu instid0(VALU_DEP_2) | instskip(NEXT) | instid1(VALU_DEP_1)
	v_lshrrev_b64 v[16:17], 1, v[20:21]
	v_sub_nc_u64_e32 v[12:13], v[12:13], v[16:17]
	s_delay_alu instid0(VALU_DEP_3) | instskip(NEXT) | instid1(VALU_DEP_1)
	v_lshl_add_u64 v[10:11], v[18:19], 3, v[10:11]
	v_lshl_add_u64 v[10:11], v[12:13], 3, v[10:11]
	global_store_b64 v[10:11], v[6:7], off
	s_branch .LBB130_5
.LBB130_17:
	s_endpgm
	.section	.rodata,"a",@progbits
	.p2align	6, 0x0
	.amdhsa_kernel _ZL18rocblas_trtri_fillILi128EdPdEvP15_rocblas_handle13rocblas_fill_ililT1_llii
		.amdhsa_group_segment_fixed_size 0
		.amdhsa_private_segment_fixed_size 0
		.amdhsa_kernarg_size 328
		.amdhsa_user_sgpr_count 2
		.amdhsa_user_sgpr_dispatch_ptr 0
		.amdhsa_user_sgpr_queue_ptr 0
		.amdhsa_user_sgpr_kernarg_segment_ptr 1
		.amdhsa_user_sgpr_dispatch_id 0
		.amdhsa_user_sgpr_kernarg_preload_length 0
		.amdhsa_user_sgpr_kernarg_preload_offset 0
		.amdhsa_user_sgpr_private_segment_size 0
		.amdhsa_wavefront_size32 1
		.amdhsa_uses_dynamic_stack 0
		.amdhsa_enable_private_segment 0
		.amdhsa_system_sgpr_workgroup_id_x 1
		.amdhsa_system_sgpr_workgroup_id_y 0
		.amdhsa_system_sgpr_workgroup_id_z 1
		.amdhsa_system_sgpr_workgroup_info 0
		.amdhsa_system_vgpr_workitem_id 0
		.amdhsa_next_free_vgpr 26
		.amdhsa_next_free_sgpr 49
		.amdhsa_named_barrier_count 0
		.amdhsa_reserve_vcc 1
		.amdhsa_float_round_mode_32 0
		.amdhsa_float_round_mode_16_64 0
		.amdhsa_float_denorm_mode_32 3
		.amdhsa_float_denorm_mode_16_64 3
		.amdhsa_fp16_overflow 0
		.amdhsa_memory_ordered 1
		.amdhsa_forward_progress 1
		.amdhsa_inst_pref_size 15
		.amdhsa_round_robin_scheduling 0
		.amdhsa_exception_fp_ieee_invalid_op 0
		.amdhsa_exception_fp_denorm_src 0
		.amdhsa_exception_fp_ieee_div_zero 0
		.amdhsa_exception_fp_ieee_overflow 0
		.amdhsa_exception_fp_ieee_underflow 0
		.amdhsa_exception_fp_ieee_inexact 0
		.amdhsa_exception_int_div_zero 0
	.end_amdhsa_kernel
	.section	.text._ZL18rocblas_trtri_fillILi128EdPdEvP15_rocblas_handle13rocblas_fill_ililT1_llii,"axG",@progbits,_ZL18rocblas_trtri_fillILi128EdPdEvP15_rocblas_handle13rocblas_fill_ililT1_llii,comdat
.Lfunc_end130:
	.size	_ZL18rocblas_trtri_fillILi128EdPdEvP15_rocblas_handle13rocblas_fill_ililT1_llii, .Lfunc_end130-_ZL18rocblas_trtri_fillILi128EdPdEvP15_rocblas_handle13rocblas_fill_ililT1_llii
                                        ; -- End function
	.set _ZL18rocblas_trtri_fillILi128EdPdEvP15_rocblas_handle13rocblas_fill_ililT1_llii.num_vgpr, 26
	.set _ZL18rocblas_trtri_fillILi128EdPdEvP15_rocblas_handle13rocblas_fill_ililT1_llii.num_agpr, 0
	.set _ZL18rocblas_trtri_fillILi128EdPdEvP15_rocblas_handle13rocblas_fill_ililT1_llii.numbered_sgpr, 49
	.set _ZL18rocblas_trtri_fillILi128EdPdEvP15_rocblas_handle13rocblas_fill_ililT1_llii.num_named_barrier, 0
	.set _ZL18rocblas_trtri_fillILi128EdPdEvP15_rocblas_handle13rocblas_fill_ililT1_llii.private_seg_size, 0
	.set _ZL18rocblas_trtri_fillILi128EdPdEvP15_rocblas_handle13rocblas_fill_ililT1_llii.uses_vcc, 1
	.set _ZL18rocblas_trtri_fillILi128EdPdEvP15_rocblas_handle13rocblas_fill_ililT1_llii.uses_flat_scratch, 0
	.set _ZL18rocblas_trtri_fillILi128EdPdEvP15_rocblas_handle13rocblas_fill_ililT1_llii.has_dyn_sized_stack, 0
	.set _ZL18rocblas_trtri_fillILi128EdPdEvP15_rocblas_handle13rocblas_fill_ililT1_llii.has_recursion, 0
	.set _ZL18rocblas_trtri_fillILi128EdPdEvP15_rocblas_handle13rocblas_fill_ililT1_llii.has_indirect_call, 0
	.section	.AMDGPU.csdata,"",@progbits
; Kernel info:
; codeLenInByte = 1824
; TotalNumSgprs: 51
; NumVgprs: 26
; ScratchSize: 0
; MemoryBound: 0
; FloatMode: 240
; IeeeMode: 1
; LDSByteSize: 0 bytes/workgroup (compile time only)
; SGPRBlocks: 0
; VGPRBlocks: 1
; NumSGPRsForWavesPerEU: 51
; NumVGPRsForWavesPerEU: 26
; NamedBarCnt: 0
; Occupancy: 16
; WaveLimiterHint : 0
; COMPUTE_PGM_RSRC2:SCRATCH_EN: 0
; COMPUTE_PGM_RSRC2:USER_SGPR: 2
; COMPUTE_PGM_RSRC2:TRAP_HANDLER: 0
; COMPUTE_PGM_RSRC2:TGID_X_EN: 1
; COMPUTE_PGM_RSRC2:TGID_Y_EN: 0
; COMPUTE_PGM_RSRC2:TGID_Z_EN: 1
; COMPUTE_PGM_RSRC2:TIDIG_COMP_CNT: 0
	.section	.text._ZL24rocblas_copy_matrix_trsmILi128ELi8EdPKdPdEviiiT2_ilT3_illli,"axG",@progbits,_ZL24rocblas_copy_matrix_trsmILi128ELi8EdPKdPdEviiiT2_ilT3_illli,comdat
	.globl	_ZL24rocblas_copy_matrix_trsmILi128ELi8EdPKdPdEviiiT2_ilT3_illli ; -- Begin function _ZL24rocblas_copy_matrix_trsmILi128ELi8EdPKdPdEviiiT2_ilT3_illli
	.p2align	8
	.type	_ZL24rocblas_copy_matrix_trsmILi128ELi8EdPKdPdEviiiT2_ilT3_illli,@function
_ZL24rocblas_copy_matrix_trsmILi128ELi8EdPKdPdEviiiT2_ilT3_illli: ; @_ZL24rocblas_copy_matrix_trsmILi128ELi8EdPKdPdEviiiT2_ilT3_illli
; %bb.0:
	s_load_b32 s18, s[0:1], 0x50
	s_bfe_u32 s2, ttmp6, 0x40014
	s_lshr_b32 s3, ttmp7, 16
	s_add_co_i32 s2, s2, 1
	s_bfe_u32 s5, ttmp6, 0x40008
	s_mul_i32 s4, s3, s2
	s_getreg_b32 s2, hwreg(HW_REG_IB_STS2, 6, 4)
	s_add_co_i32 s5, s5, s4
	s_cmp_eq_u32 s2, 0
	s_cselect_b32 s19, s3, s5
	s_mov_b32 s3, 0
	s_wait_kmcnt 0x0
	s_cmp_ge_u32 s19, s18
	s_cbranch_scc1 .LBB131_6
; %bb.1:
	s_clause 0x1
	s_load_b96 s[4:6], s[0:1], 0x10
	s_load_b32 s16, s[0:1], 0x30
	s_bfe_u32 s8, ttmp6, 0x40010
	s_bfe_u32 s11, ttmp6, 0x4000c
	s_and_b32 s7, ttmp7, 0xffff
	s_add_co_i32 s8, s8, 1
	s_add_co_i32 s11, s11, 1
	s_bfe_u32 s9, ttmp6, 0x40004
	s_and_b32 s10, ttmp6, 15
	s_mul_i32 s8, s7, s8
	s_mul_i32 s11, ttmp9, s11
	v_mov_b32_e32 v1, 0
	v_bfe_u32 v2, v0, 10, 10
	s_add_co_i32 s9, s9, s8
	s_add_co_i32 s12, s10, s11
	v_and_b32_e32 v0, 0x3ff, v0
	v_mov_b32_e32 v3, v1
	s_wait_kmcnt 0x0
	s_ashr_i32 s23, s6, 31
	s_ashr_i32 s17, s16, 31
	s_cmp_eq_u32 s2, 0
	s_mov_b32 s22, s6
	s_cselect_b32 s2, s7, s9
	s_clause 0x2
	s_load_b64 s[20:21], s[0:1], 0x0
	s_load_b64 s[24:25], s[0:1], 0x48
	s_load_b128 s[8:11], s[0:1], 0x38
	v_lshl_add_u32 v2, s2, 3, v2
	s_cselect_b32 s2, ttmp9, s12
	s_load_b128 s[12:15], s[0:1], 0x20
	v_lshl_add_u32 v0, s2, 7, v0
	s_wait_xcnt 0x0
	s_add_nc_u64 s[0:1], s[0:1], 0x58
	v_mul_u64_e32 v[4:5], s[16:17], v[2:3]
	v_mul_u64_e32 v[6:7], s[22:23], v[2:3]
	v_lshlrev_b64_e32 v[8:9], 3, v[0:1]
	s_wait_kmcnt 0x0
	s_mov_b32 s6, s21
	s_lshl_b64 s[24:25], s[24:25], 3
	s_lshl_b64 s[10:11], s[10:11], 3
	s_ashr_i32 s7, s21, 31
	s_ashr_i32 s21, s20, 31
	v_cmp_gt_u64_e64 s2, s[6:7], v[2:3]
	v_cmp_gt_u64_e32 vcc_lo, s[20:21], v[0:1]
	s_and_b32 s20, vcc_lo, s2
	v_lshl_add_u64 v[4:5], v[4:5], 3, s[24:25]
	v_lshl_add_u64 v[6:7], v[6:7], 3, s[10:11]
	s_lshl_b64 s[10:11], s[12:13], 3
	s_lshl_b64 s[12:13], s[22:23], 3
	s_delay_alu instid0(VALU_DEP_2) | instskip(NEXT) | instid1(VALU_DEP_2)
	v_add_nc_u64_e32 v[0:1], v[4:5], v[8:9]
	v_add_nc_u64_e32 v[4:5], v[6:7], v[8:9]
	s_delay_alu instid0(VALU_DEP_2) | instskip(NEXT) | instid1(VALU_DEP_2)
	v_add_nc_u64_e32 v[0:1], s[14:15], v[0:1]
	v_add_nc_u64_e32 v[4:5], s[4:5], v[4:5]
	s_lshl_b64 s[4:5], s[8:9], 3
	s_lshl_b64 s[8:9], s[16:17], 3
	s_branch .LBB131_3
.LBB131_2:                              ;   in Loop: Header=BB131_3 Depth=1
	s_or_b32 exec_lo, exec_lo, s21
	s_add_co_i32 s19, s19, 0x10000
	s_delay_alu instid0(SALU_CYCLE_1)
	s_cmp_ge_u32 s19, s18
	s_cbranch_scc1 .LBB131_6
.LBB131_3:                              ; =>This Loop Header: Depth=1
                                        ;     Child Loop BB131_5 Depth 2
	s_and_saveexec_b32 s21, s20
	s_cbranch_execz .LBB131_2
; %bb.4:                                ;   in Loop: Header=BB131_3 Depth=1
	s_load_b32 s2, s[0:1], 0x4
	v_mad_nc_u64_u32 v[6:7], s4, s19, v[0:1]
	v_mad_nc_u64_u32 v[8:9], s10, s19, v[4:5]
	v_mov_b64_e32 v[10:11], v[2:3]
	s_mov_b32 s22, 0
	s_delay_alu instid0(VALU_DEP_3) | instskip(NEXT) | instid1(VALU_DEP_3)
	v_mad_u32 v7, s5, s19, v7
	v_mad_u32 v9, s11, s19, v9
	s_wait_kmcnt 0x0
	s_lshl_b32 s2, s2, 3
	s_delay_alu instid0(SALU_CYCLE_1)
	s_mul_u64 s[14:15], s[8:9], s[2:3]
	s_mul_u64 s[16:17], s[12:13], s[2:3]
.LBB131_5:                              ;   Parent Loop BB131_3 Depth=1
                                        ; =>  This Inner Loop Header: Depth=2
	global_load_b64 v[12:13], v[8:9], off
	v_add_nc_u64_e32 v[10:11], s[2:3], v[10:11]
	s_wait_xcnt 0x0
	v_add_nc_u64_e32 v[8:9], s[16:17], v[8:9]
	s_delay_alu instid0(VALU_DEP_2)
	v_cmp_le_u64_e32 vcc_lo, s[6:7], v[10:11]
	s_or_b32 s22, vcc_lo, s22
	s_wait_loadcnt 0x0
	global_store_b64 v[6:7], v[12:13], off
	s_wait_xcnt 0x0
	v_add_nc_u64_e32 v[6:7], s[14:15], v[6:7]
	s_and_not1_b32 exec_lo, exec_lo, s22
	s_cbranch_execnz .LBB131_5
	s_branch .LBB131_2
.LBB131_6:
	s_endpgm
	.section	.rodata,"a",@progbits
	.p2align	6, 0x0
	.amdhsa_kernel _ZL24rocblas_copy_matrix_trsmILi128ELi8EdPKdPdEviiiT2_ilT3_illli
		.amdhsa_group_segment_fixed_size 0
		.amdhsa_private_segment_fixed_size 0
		.amdhsa_kernarg_size 344
		.amdhsa_user_sgpr_count 2
		.amdhsa_user_sgpr_dispatch_ptr 0
		.amdhsa_user_sgpr_queue_ptr 0
		.amdhsa_user_sgpr_kernarg_segment_ptr 1
		.amdhsa_user_sgpr_dispatch_id 0
		.amdhsa_user_sgpr_kernarg_preload_length 0
		.amdhsa_user_sgpr_kernarg_preload_offset 0
		.amdhsa_user_sgpr_private_segment_size 0
		.amdhsa_wavefront_size32 1
		.amdhsa_uses_dynamic_stack 0
		.amdhsa_enable_private_segment 0
		.amdhsa_system_sgpr_workgroup_id_x 1
		.amdhsa_system_sgpr_workgroup_id_y 1
		.amdhsa_system_sgpr_workgroup_id_z 1
		.amdhsa_system_sgpr_workgroup_info 0
		.amdhsa_system_vgpr_workitem_id 1
		.amdhsa_next_free_vgpr 14
		.amdhsa_next_free_sgpr 26
		.amdhsa_named_barrier_count 0
		.amdhsa_reserve_vcc 1
		.amdhsa_float_round_mode_32 0
		.amdhsa_float_round_mode_16_64 0
		.amdhsa_float_denorm_mode_32 3
		.amdhsa_float_denorm_mode_16_64 3
		.amdhsa_fp16_overflow 0
		.amdhsa_memory_ordered 1
		.amdhsa_forward_progress 1
		.amdhsa_inst_pref_size 5
		.amdhsa_round_robin_scheduling 0
		.amdhsa_exception_fp_ieee_invalid_op 0
		.amdhsa_exception_fp_denorm_src 0
		.amdhsa_exception_fp_ieee_div_zero 0
		.amdhsa_exception_fp_ieee_overflow 0
		.amdhsa_exception_fp_ieee_underflow 0
		.amdhsa_exception_fp_ieee_inexact 0
		.amdhsa_exception_int_div_zero 0
	.end_amdhsa_kernel
	.section	.text._ZL24rocblas_copy_matrix_trsmILi128ELi8EdPKdPdEviiiT2_ilT3_illli,"axG",@progbits,_ZL24rocblas_copy_matrix_trsmILi128ELi8EdPKdPdEviiiT2_ilT3_illli,comdat
.Lfunc_end131:
	.size	_ZL24rocblas_copy_matrix_trsmILi128ELi8EdPKdPdEviiiT2_ilT3_illli, .Lfunc_end131-_ZL24rocblas_copy_matrix_trsmILi128ELi8EdPKdPdEviiiT2_ilT3_illli
                                        ; -- End function
	.set _ZL24rocblas_copy_matrix_trsmILi128ELi8EdPKdPdEviiiT2_ilT3_illli.num_vgpr, 14
	.set _ZL24rocblas_copy_matrix_trsmILi128ELi8EdPKdPdEviiiT2_ilT3_illli.num_agpr, 0
	.set _ZL24rocblas_copy_matrix_trsmILi128ELi8EdPKdPdEviiiT2_ilT3_illli.numbered_sgpr, 26
	.set _ZL24rocblas_copy_matrix_trsmILi128ELi8EdPKdPdEviiiT2_ilT3_illli.num_named_barrier, 0
	.set _ZL24rocblas_copy_matrix_trsmILi128ELi8EdPKdPdEviiiT2_ilT3_illli.private_seg_size, 0
	.set _ZL24rocblas_copy_matrix_trsmILi128ELi8EdPKdPdEviiiT2_ilT3_illli.uses_vcc, 1
	.set _ZL24rocblas_copy_matrix_trsmILi128ELi8EdPKdPdEviiiT2_ilT3_illli.uses_flat_scratch, 0
	.set _ZL24rocblas_copy_matrix_trsmILi128ELi8EdPKdPdEviiiT2_ilT3_illli.has_dyn_sized_stack, 0
	.set _ZL24rocblas_copy_matrix_trsmILi128ELi8EdPKdPdEviiiT2_ilT3_illli.has_recursion, 0
	.set _ZL24rocblas_copy_matrix_trsmILi128ELi8EdPKdPdEviiiT2_ilT3_illli.has_indirect_call, 0
	.section	.AMDGPU.csdata,"",@progbits
; Kernel info:
; codeLenInByte = 556
; TotalNumSgprs: 28
; NumVgprs: 14
; ScratchSize: 0
; MemoryBound: 0
; FloatMode: 240
; IeeeMode: 1
; LDSByteSize: 0 bytes/workgroup (compile time only)
; SGPRBlocks: 0
; VGPRBlocks: 0
; NumSGPRsForWavesPerEU: 28
; NumVGPRsForWavesPerEU: 14
; NamedBarCnt: 0
; Occupancy: 16
; WaveLimiterHint : 0
; COMPUTE_PGM_RSRC2:SCRATCH_EN: 0
; COMPUTE_PGM_RSRC2:USER_SGPR: 2
; COMPUTE_PGM_RSRC2:TRAP_HANDLER: 0
; COMPUTE_PGM_RSRC2:TGID_X_EN: 1
; COMPUTE_PGM_RSRC2:TGID_Y_EN: 1
; COMPUTE_PGM_RSRC2:TGID_Z_EN: 1
; COMPUTE_PGM_RSRC2:TIDIG_COMP_CNT: 1
	.section	.text._ZL23rocblas_set_matrix_trsmILi128ELi8E19rocblas_complex_numIfEPS1_EvlliT2_llT1_li,"axG",@progbits,_ZL23rocblas_set_matrix_trsmILi128ELi8E19rocblas_complex_numIfEPS1_EvlliT2_llT1_li,comdat
	.globl	_ZL23rocblas_set_matrix_trsmILi128ELi8E19rocblas_complex_numIfEPS1_EvlliT2_llT1_li ; -- Begin function _ZL23rocblas_set_matrix_trsmILi128ELi8E19rocblas_complex_numIfEPS1_EvlliT2_llT1_li
	.p2align	8
	.type	_ZL23rocblas_set_matrix_trsmILi128ELi8E19rocblas_complex_numIfEPS1_EvlliT2_llT1_li,@function
_ZL23rocblas_set_matrix_trsmILi128ELi8E19rocblas_complex_numIfEPS1_EvlliT2_llT1_li: ; @_ZL23rocblas_set_matrix_trsmILi128ELi8E19rocblas_complex_numIfEPS1_EvlliT2_llT1_li
; %bb.0:
	s_load_b32 s8, s[0:1], 0x40
	s_bfe_u32 s2, ttmp6, 0x40014
	s_lshr_b32 s3, ttmp7, 16
	s_add_co_i32 s2, s2, 1
	s_bfe_u32 s4, ttmp6, 0x40008
	s_mul_i32 s2, s3, s2
	s_getreg_b32 s9, hwreg(HW_REG_IB_STS2, 6, 4)
	s_add_co_i32 s4, s4, s2
	s_cmp_eq_u32 s9, 0
	s_cselect_b32 s2, s3, s4
	s_mov_b32 s3, 0
	s_wait_kmcnt 0x0
	s_cmp_ge_u32 s2, s8
	s_cbranch_scc1 .LBB132_5
; %bb.1:
	s_clause 0x1
	s_load_b64 s[10:11], s[0:1], 0x38
	s_load_b128 s[4:7], s[0:1], 0x18
	s_bfe_u32 s13, ttmp6, 0x4000c
	s_bfe_u32 s15, ttmp6, 0x40010
	s_and_b32 s14, ttmp7, 0xffff
	s_add_co_i32 s13, s13, 1
	s_add_co_i32 s15, s15, 1
	s_and_b32 s12, ttmp6, 15
	s_bfe_u32 s16, ttmp6, 0x40004
	s_mul_i32 s13, ttmp9, s13
	s_mul_i32 s15, s14, s15
	v_bfe_u32 v1, v0, 10, 10
	s_add_co_i32 s17, s12, s13
	s_add_co_i32 s16, s16, s15
	v_mov_b32_e32 v3, 0
	v_and_b32_e32 v0, 0x3ff, v0
	s_delay_alu instid0(VALU_DEP_2)
	v_mov_b32_e32 v7, v3
	s_wait_kmcnt 0x0
	s_lshl_b64 s[10:11], s[10:11], 3
	s_cmp_eq_u32 s9, 0
	s_cselect_b32 s9, s14, s16
	s_load_b128 s[12:15], s[0:1], 0x0
	v_lshl_add_u32 v2, s9, 3, v1
	s_delay_alu instid0(VALU_DEP_1) | instskip(SKIP_3) | instid1(SALU_CYCLE_1)
	v_mul_u64_e32 v[4:5], s[6:7], v[2:3]
	s_load_b64 s[6:7], s[0:1], 0x28
	s_wait_xcnt 0x0
	s_cselect_b32 s0, ttmp9, s17
	v_lshl_add_u32 v6, s0, 7, v0
	s_add_nc_u64 s[0:1], s[4:5], s[10:11]
	v_mov_b64_e32 v[0:1], 0
	s_wait_kmcnt 0x0
	s_delay_alu instid0(VALU_DEP_2) | instskip(NEXT) | instid1(VALU_DEP_4)
	v_cmp_gt_u64_e32 vcc_lo, s[12:13], v[6:7]
	v_lshl_add_u64 v[4:5], v[4:5], 3, s[0:1]
	v_cmp_gt_u64_e64 s0, s[14:15], v[2:3]
	s_delay_alu instid0(VALU_DEP_2)
	v_lshl_add_u64 v[2:3], v[6:7], 3, v[4:5]
	s_and_b32 s0, vcc_lo, s0
	s_branch .LBB132_3
.LBB132_2:                              ;   in Loop: Header=BB132_3 Depth=1
	s_wait_xcnt 0x0
	s_or_b32 exec_lo, exec_lo, s1
	s_add_co_i32 s2, s2, 0x10000
	s_delay_alu instid0(SALU_CYCLE_1)
	s_cmp_lt_u32 s2, s8
	s_cbranch_scc0 .LBB132_5
.LBB132_3:                              ; =>This Inner Loop Header: Depth=1
	s_and_saveexec_b32 s1, s0
	s_cbranch_execz .LBB132_2
; %bb.4:                                ;   in Loop: Header=BB132_3 Depth=1
	s_mul_u64 s[4:5], s[6:7], s[2:3]
	s_delay_alu instid0(SALU_CYCLE_1)
	v_lshl_add_u64 v[4:5], s[4:5], 3, v[2:3]
	global_store_b64 v[4:5], v[0:1], off
	s_branch .LBB132_2
.LBB132_5:
	s_endpgm
	.section	.rodata,"a",@progbits
	.p2align	6, 0x0
	.amdhsa_kernel _ZL23rocblas_set_matrix_trsmILi128ELi8E19rocblas_complex_numIfEPS1_EvlliT2_llT1_li
		.amdhsa_group_segment_fixed_size 0
		.amdhsa_private_segment_fixed_size 0
		.amdhsa_kernarg_size 68
		.amdhsa_user_sgpr_count 2
		.amdhsa_user_sgpr_dispatch_ptr 0
		.amdhsa_user_sgpr_queue_ptr 0
		.amdhsa_user_sgpr_kernarg_segment_ptr 1
		.amdhsa_user_sgpr_dispatch_id 0
		.amdhsa_user_sgpr_kernarg_preload_length 0
		.amdhsa_user_sgpr_kernarg_preload_offset 0
		.amdhsa_user_sgpr_private_segment_size 0
		.amdhsa_wavefront_size32 1
		.amdhsa_uses_dynamic_stack 0
		.amdhsa_enable_private_segment 0
		.amdhsa_system_sgpr_workgroup_id_x 1
		.amdhsa_system_sgpr_workgroup_id_y 1
		.amdhsa_system_sgpr_workgroup_id_z 1
		.amdhsa_system_sgpr_workgroup_info 0
		.amdhsa_system_vgpr_workitem_id 1
		.amdhsa_next_free_vgpr 8
		.amdhsa_next_free_sgpr 18
		.amdhsa_named_barrier_count 0
		.amdhsa_reserve_vcc 1
		.amdhsa_float_round_mode_32 0
		.amdhsa_float_round_mode_16_64 0
		.amdhsa_float_denorm_mode_32 3
		.amdhsa_float_denorm_mode_16_64 3
		.amdhsa_fp16_overflow 0
		.amdhsa_memory_ordered 1
		.amdhsa_forward_progress 1
		.amdhsa_inst_pref_size 3
		.amdhsa_round_robin_scheduling 0
		.amdhsa_exception_fp_ieee_invalid_op 0
		.amdhsa_exception_fp_denorm_src 0
		.amdhsa_exception_fp_ieee_div_zero 0
		.amdhsa_exception_fp_ieee_overflow 0
		.amdhsa_exception_fp_ieee_underflow 0
		.amdhsa_exception_fp_ieee_inexact 0
		.amdhsa_exception_int_div_zero 0
	.end_amdhsa_kernel
	.section	.text._ZL23rocblas_set_matrix_trsmILi128ELi8E19rocblas_complex_numIfEPS1_EvlliT2_llT1_li,"axG",@progbits,_ZL23rocblas_set_matrix_trsmILi128ELi8E19rocblas_complex_numIfEPS1_EvlliT2_llT1_li,comdat
.Lfunc_end132:
	.size	_ZL23rocblas_set_matrix_trsmILi128ELi8E19rocblas_complex_numIfEPS1_EvlliT2_llT1_li, .Lfunc_end132-_ZL23rocblas_set_matrix_trsmILi128ELi8E19rocblas_complex_numIfEPS1_EvlliT2_llT1_li
                                        ; -- End function
	.set _ZL23rocblas_set_matrix_trsmILi128ELi8E19rocblas_complex_numIfEPS1_EvlliT2_llT1_li.num_vgpr, 8
	.set _ZL23rocblas_set_matrix_trsmILi128ELi8E19rocblas_complex_numIfEPS1_EvlliT2_llT1_li.num_agpr, 0
	.set _ZL23rocblas_set_matrix_trsmILi128ELi8E19rocblas_complex_numIfEPS1_EvlliT2_llT1_li.numbered_sgpr, 18
	.set _ZL23rocblas_set_matrix_trsmILi128ELi8E19rocblas_complex_numIfEPS1_EvlliT2_llT1_li.num_named_barrier, 0
	.set _ZL23rocblas_set_matrix_trsmILi128ELi8E19rocblas_complex_numIfEPS1_EvlliT2_llT1_li.private_seg_size, 0
	.set _ZL23rocblas_set_matrix_trsmILi128ELi8E19rocblas_complex_numIfEPS1_EvlliT2_llT1_li.uses_vcc, 1
	.set _ZL23rocblas_set_matrix_trsmILi128ELi8E19rocblas_complex_numIfEPS1_EvlliT2_llT1_li.uses_flat_scratch, 0
	.set _ZL23rocblas_set_matrix_trsmILi128ELi8E19rocblas_complex_numIfEPS1_EvlliT2_llT1_li.has_dyn_sized_stack, 0
	.set _ZL23rocblas_set_matrix_trsmILi128ELi8E19rocblas_complex_numIfEPS1_EvlliT2_llT1_li.has_recursion, 0
	.set _ZL23rocblas_set_matrix_trsmILi128ELi8E19rocblas_complex_numIfEPS1_EvlliT2_llT1_li.has_indirect_call, 0
	.section	.AMDGPU.csdata,"",@progbits
; Kernel info:
; codeLenInByte = 368
; TotalNumSgprs: 20
; NumVgprs: 8
; ScratchSize: 0
; MemoryBound: 0
; FloatMode: 240
; IeeeMode: 1
; LDSByteSize: 0 bytes/workgroup (compile time only)
; SGPRBlocks: 0
; VGPRBlocks: 0
; NumSGPRsForWavesPerEU: 20
; NumVGPRsForWavesPerEU: 8
; NamedBarCnt: 0
; Occupancy: 16
; WaveLimiterHint : 0
; COMPUTE_PGM_RSRC2:SCRATCH_EN: 0
; COMPUTE_PGM_RSRC2:USER_SGPR: 2
; COMPUTE_PGM_RSRC2:TRAP_HANDLER: 0
; COMPUTE_PGM_RSRC2:TGID_X_EN: 1
; COMPUTE_PGM_RSRC2:TGID_Y_EN: 1
; COMPUTE_PGM_RSRC2:TGID_Z_EN: 1
; COMPUTE_PGM_RSRC2:TIDIG_COMP_CNT: 1
	.section	.text._ZL38rocblas_trsm_small_left_device_sharedBILi4ELi4ELb0E19rocblas_complex_numIfES1_PKS1_PS1_Ev13rocblas_fill_18rocblas_operation_17rocblas_diagonal_iiT3_T4_lilT5_lili,"axG",@progbits,_ZL38rocblas_trsm_small_left_device_sharedBILi4ELi4ELb0E19rocblas_complex_numIfES1_PKS1_PS1_Ev13rocblas_fill_18rocblas_operation_17rocblas_diagonal_iiT3_T4_lilT5_lili,comdat
	.globl	_ZL38rocblas_trsm_small_left_device_sharedBILi4ELi4ELb0E19rocblas_complex_numIfES1_PKS1_PS1_Ev13rocblas_fill_18rocblas_operation_17rocblas_diagonal_iiT3_T4_lilT5_lili ; -- Begin function _ZL38rocblas_trsm_small_left_device_sharedBILi4ELi4ELb0E19rocblas_complex_numIfES1_PKS1_PS1_Ev13rocblas_fill_18rocblas_operation_17rocblas_diagonal_iiT3_T4_lilT5_lili
	.p2align	8
	.type	_ZL38rocblas_trsm_small_left_device_sharedBILi4ELi4ELb0E19rocblas_complex_numIfES1_PKS1_PS1_Ev13rocblas_fill_18rocblas_operation_17rocblas_diagonal_iiT3_T4_lilT5_lili,@function
_ZL38rocblas_trsm_small_left_device_sharedBILi4ELi4ELb0E19rocblas_complex_numIfES1_PKS1_PS1_Ev13rocblas_fill_18rocblas_operation_17rocblas_diagonal_iiT3_T4_lilT5_lili: ; @_ZL38rocblas_trsm_small_left_device_sharedBILi4ELi4ELb0E19rocblas_complex_numIfES1_PKS1_PS1_Ev13rocblas_fill_18rocblas_operation_17rocblas_diagonal_iiT3_T4_lilT5_lili
; %bb.0:
	s_load_b32 s15, s[2:3], 0x60
	s_bfe_u32 s4, ttmp6, 0x40014
	s_lshr_b32 s5, ttmp7, 16
	s_add_co_i32 s4, s4, 1
	s_bfe_u32 s7, ttmp6, 0x40008
	s_mul_i32 s6, s5, s4
	s_getreg_b32 s4, hwreg(HW_REG_IB_STS2, 6, 4)
	s_add_co_i32 s7, s7, s6
	s_cmp_eq_u32 s4, 0
	s_mov_b32 s17, 0
	s_cselect_b32 s16, s5, s7
	s_wait_kmcnt 0x0
	s_cmp_ge_u32 s16, s15
	s_cbranch_scc1 .LBB133_81
; %bb.1:
	s_clause 0x1
	s_load_b32 s20, s[2:3], 0x30
	s_load_b96 s[12:14], s[2:3], 0x48
	s_load_b64 s[26:27], s[0:1], 0x4
	s_clause 0x2
	s_load_b128 s[8:11], s[2:3], 0x4
	s_load_b32 s5, s[2:3], 0x68
	s_load_b64 s[18:19], s[2:3], 0x14
	v_and_b32_e32 v8, 0x3ff, v0
	v_bfe_u32 v1, v0, 10, 10
	v_bfe_u32 v7, v0, 20, 10
	s_delay_alu instid0(VALU_DEP_3) | instskip(SKIP_1) | instid1(VALU_DEP_2)
	v_dual_mov_b32 v3, 0 :: v_dual_lshlrev_b32 v2, 3, v8
	v_lshlrev_b32_e32 v12, 5, v8
	v_add_nc_u32_e32 v20, 0x80, v2
	s_delay_alu instid0(VALU_DEP_2)
	v_add_nc_u32_e32 v21, v2, v12
	s_wait_kmcnt 0x0
	s_ashr_i32 s21, s20, 31
	s_ashr_i32 s0, s14, 31
	s_lshr_b32 s26, s26, 16
	s_cmp_lg_u32 s8, 0x71
	s_mul_i32 s26, s26, s27
	s_cselect_b32 s1, -1, 0
	s_bfe_u32 s6, ttmp6, 0x4000c
	s_min_i32 s22, s10, 4
	s_add_co_i32 s6, s6, 1
	s_add_co_i32 s24, s5, -1
	s_and_b32 s5, ttmp6, 15
	s_mul_i32 s6, ttmp9, s6
	s_add_co_i32 s23, s22, -1
	s_add_co_i32 s5, s5, s6
	s_cmp_eq_u32 s4, 0
	v_mul_u32_u24_e32 v9, s27, v1
	s_cselect_b32 s25, ttmp9, s5
	s_load_b128 s[4:7], s[2:3], 0x38
	s_lshl_b32 s28, s25, 2
	v_mul_u32_u24_e32 v10, s26, v8
	s_sub_co_i32 s11, s11, s28
	s_cmp_ge_u32 s25, s24
	v_mov_b64_e32 v[0:1], 0xbf80000000000000
	s_cselect_b32 s30, s11, 4
	s_ashr_i32 s29, s28, 31
	s_cmp_lg_u32 s9, 0x84
	v_add3_u32 v9, v10, v9, v7
	s_cselect_b32 s24, -1, 0
	s_cmp_gt_i32 s10, 0
	v_cmp_gt_i32_e32 vcc_lo, s30, v8
	s_cselect_b32 s31, -1, 0
	s_cmp_lg_u32 s8, 0x6f
	v_mov_b64_e32 v[10:11], 0x3f800000
	s_cselect_b32 s25, -1, 0
	s_lshl_b64 s[28:29], s[28:29], 3
	s_lshl_b64 s[8:9], s[12:13], 3
	v_or_b32_e32 v6, s28, v2
	s_wait_kmcnt 0x0
	s_add_nc_u64 s[6:7], s[6:7], s[8:9]
	s_clause 0x1
	s_load_b128 s[8:11], s[2:3], 0x20
	s_load_b64 s[12:13], s[2:3], 0x58
	s_wait_xcnt 0x0
	s_mov_b32 s2, s19
	s_mov_b32 s3, s18
	v_mad_nc_u64_u32 v[4:5], v6, s14, s[6:7]
	s_lshl_b64 s[4:5], s[4:5], 3
	s_delay_alu instid0(VALU_DEP_1)
	v_mad_u32 v5, s29, s14, v5
	s_and_b32 s14, vcc_lo, s31
	s_wait_kmcnt 0x0
	s_lshl_b64 s[6:7], s[10:11], 3
	s_lshl_b64 s[10:11], s[12:13], 3
	s_add_nc_u64 s[6:7], s[8:9], s[6:7]
	s_get_pc_i64 s[8:9]
	s_add_nc_u64 s[8:9], s[8:9], __const._ZL38rocblas_trsm_small_left_device_sharedBILi4ELi4ELb0E19rocblas_complex_numIfES1_PKS1_PS1_Ev13rocblas_fill_18rocblas_operation_17rocblas_diagonal_iiT3_T4_lilT5_lili.step_sizes@rel64+4
	s_delay_alu instid0(VALU_DEP_1)
	v_mad_u32 v5, v6, s0, v5
	v_add_nc_u64_e32 v[6:7], s[6:7], v[2:3]
	v_cmp_gt_i32_e64 s0, s22, v8
	v_lshl_add_u32 v3, v9, 5, 0x100
	s_lshl_b64 s[6:7], s[20:21], 3
	s_lshl_b32 s20, s22, 5
	s_delay_alu instid0(SALU_CYCLE_1)
	s_sub_co_i32 s20, s20, 32
	v_add_nc_u64_e32 v[6:7], 4, v[6:7]
	v_add_nc_u64_e32 v[8:9], 4, v[4:5]
	s_branch .LBB133_3
.LBB133_2:                              ;   in Loop: Header=BB133_3 Depth=1
	s_or_b32 exec_lo, exec_lo, s21
	s_add_co_i32 s16, s16, 0x10000
	s_delay_alu instid0(SALU_CYCLE_1)
	s_cmp_lt_u32 s16, s15
	s_cbranch_scc0 .LBB133_81
.LBB133_3:                              ; =>This Loop Header: Depth=1
                                        ;     Child Loop BB133_6 Depth 2
                                        ;     Child Loop BB133_20 Depth 2
	;; [unrolled: 1-line block ×3, first 2 shown]
                                        ;       Child Loop BB133_27 Depth 3
                                        ;         Child Loop BB133_28 Depth 4
                                        ;         Child Loop BB133_32 Depth 4
                                        ;           Child Loop BB133_34 Depth 5
                                        ;           Child Loop BB133_40 Depth 5
                                        ;         Child Loop BB133_43 Depth 4
                                        ;           Child Loop BB133_45 Depth 5
                                        ;     Child Loop BB133_53 Depth 2
                                        ;       Child Loop BB133_56 Depth 3
                                        ;         Child Loop BB133_57 Depth 4
                                        ;         Child Loop BB133_61 Depth 4
                                        ;           Child Loop BB133_63 Depth 5
                                        ;           Child Loop BB133_69 Depth 5
                                        ;         Child Loop BB133_72 Depth 4
                                        ;           Child Loop BB133_74 Depth 5
                                        ;     Child Loop BB133_80 Depth 2
	s_and_saveexec_b32 s12, s0
	s_cbranch_execz .LBB133_18
; %bb.4:                                ;   in Loop: Header=BB133_3 Depth=1
	s_delay_alu instid0(VALU_DEP_2) | instskip(SKIP_2) | instid1(VALU_DEP_2)
	v_mad_nc_u64_u32 v[12:13], s4, s16, v[6:7]
	v_mov_b32_e32 v16, v2
	s_mov_b32 s13, s22
	v_mad_u32 v13, s5, s16, v13
	s_branch .LBB133_6
.LBB133_5:                              ;   in Loop: Header=BB133_6 Depth=2
	global_load_b32 v14, v[12:13], off offset:-4
	s_wait_xcnt 0x0
	v_add_nc_u64_e32 v[12:13], s[6:7], v[12:13]
	s_add_co_i32 s13, s13, -1
	s_delay_alu instid0(SALU_CYCLE_1)
	s_cmp_eq_u32 s13, 0
	s_wait_loadcnt 0x0
	ds_store_b64 v16, v[14:15]
	v_add_nc_u32_e32 v16, 32, v16
	s_cbranch_scc1 .LBB133_10
.LBB133_6:                              ;   Parent Loop BB133_3 Depth=1
                                        ; =>  This Inner Loop Header: Depth=2
	s_and_b32 vcc_lo, exec_lo, s1
	s_mov_b32 s21, -1
                                        ; implicit-def: $vgpr15
	s_cbranch_vccz .LBB133_8
; %bb.7:                                ;   in Loop: Header=BB133_6 Depth=2
	global_load_b32 v15, v[12:13], off
	s_mov_b32 s21, 0
.LBB133_8:                              ;   in Loop: Header=BB133_6 Depth=2
	s_delay_alu instid0(SALU_CYCLE_1)
	s_and_not1_b32 vcc_lo, exec_lo, s21
	s_cbranch_vccnz .LBB133_5
; %bb.9:                                ;   in Loop: Header=BB133_6 Depth=2
	global_load_b32 v14, v[12:13], off
	s_wait_loadcnt 0x0
	v_xor_b32_e32 v15, 0x80000000, v14
	s_branch .LBB133_5
.LBB133_10:                             ;   in Loop: Header=BB133_3 Depth=1
	s_and_b32 vcc_lo, exec_lo, s24
	s_mov_b32 s13, -1
	s_cbranch_vccz .LBB133_16
; %bb.11:                               ;   in Loop: Header=BB133_3 Depth=1
	ds_load_b64 v[12:13], v21
                                        ; implicit-def: $vgpr14_vgpr15
	s_wait_dscnt 0x0
	v_cmp_ngt_f32_e64 s13, |v12|, |v13|
	s_and_saveexec_b32 s21, s13
	s_delay_alu instid0(SALU_CYCLE_1)
	s_xor_b32 s13, exec_lo, s21
	s_cbranch_execz .LBB133_13
; %bb.12:                               ;   in Loop: Header=BB133_3 Depth=1
	v_div_scale_f32 v14, null, v13, v13, v12
	v_div_scale_f32 v17, vcc_lo, v12, v13, v12
	s_delay_alu instid0(VALU_DEP_2) | instskip(SKIP_1) | instid1(TRANS32_DEP_1)
	v_rcp_f32_e32 v15, v14
	v_nop
	v_fma_f32 v16, -v14, v15, 1.0
	s_delay_alu instid0(VALU_DEP_1) | instskip(NEXT) | instid1(VALU_DEP_1)
	v_fmac_f32_e32 v15, v16, v15
	v_mul_f32_e32 v16, v17, v15
	s_delay_alu instid0(VALU_DEP_1) | instskip(NEXT) | instid1(VALU_DEP_1)
	v_fma_f32 v18, -v14, v16, v17
	v_fmac_f32_e32 v16, v18, v15
	s_delay_alu instid0(VALU_DEP_1) | instskip(NEXT) | instid1(VALU_DEP_1)
	v_fma_f32 v14, -v14, v16, v17
	v_div_fmas_f32 v14, v14, v15, v16
	s_delay_alu instid0(VALU_DEP_1) | instskip(NEXT) | instid1(VALU_DEP_1)
	v_div_fixup_f32 v14, v14, v13, v12
	v_fmac_f32_e32 v13, v12, v14
	s_delay_alu instid0(VALU_DEP_1) | instskip(SKIP_1) | instid1(VALU_DEP_2)
	v_div_scale_f32 v12, null, v13, v13, 1.0
	v_div_scale_f32 v17, vcc_lo, 1.0, v13, 1.0
	v_rcp_f32_e32 v15, v12
	v_nop
	s_delay_alu instid0(TRANS32_DEP_1) | instskip(NEXT) | instid1(VALU_DEP_1)
	v_fma_f32 v16, -v12, v15, 1.0
	v_fmac_f32_e32 v15, v16, v15
	s_delay_alu instid0(VALU_DEP_1) | instskip(NEXT) | instid1(VALU_DEP_1)
	v_mul_f32_e32 v16, v17, v15
	v_fma_f32 v18, -v12, v16, v17
	s_delay_alu instid0(VALU_DEP_1) | instskip(NEXT) | instid1(VALU_DEP_1)
	v_fmac_f32_e32 v16, v18, v15
	v_fma_f32 v12, -v12, v16, v17
	s_delay_alu instid0(VALU_DEP_1) | instskip(SKIP_1) | instid1(VALU_DEP_2)
	v_div_fmas_f32 v12, v12, v15, v16
	v_mul_f32_e32 v15, 0, v14
	v_div_fixup_f32 v12, v12, v13, 1.0
	s_delay_alu instid0(VALU_DEP_2) | instskip(NEXT) | instid1(VALU_DEP_1)
	v_pk_add_f32 v[14:15], v[14:15], v[0:1]
	v_pk_mul_f32 v[14:15], v[14:15], v[12:13] op_sel_hi:[1,0]
                                        ; implicit-def: $vgpr12_vgpr13
.LBB133_13:                             ;   in Loop: Header=BB133_3 Depth=1
	s_and_not1_saveexec_b32 s13, s13
	s_cbranch_execz .LBB133_15
; %bb.14:                               ;   in Loop: Header=BB133_3 Depth=1
	v_div_scale_f32 v14, null, v12, v12, v13
	v_div_scale_f32 v17, vcc_lo, v13, v12, v13
	s_delay_alu instid0(VALU_DEP_2) | instskip(SKIP_1) | instid1(TRANS32_DEP_1)
	v_rcp_f32_e32 v15, v14
	v_nop
	v_fma_f32 v16, -v14, v15, 1.0
	s_delay_alu instid0(VALU_DEP_1) | instskip(NEXT) | instid1(VALU_DEP_1)
	v_fmac_f32_e32 v15, v16, v15
	v_mul_f32_e32 v16, v17, v15
	s_delay_alu instid0(VALU_DEP_1) | instskip(NEXT) | instid1(VALU_DEP_1)
	v_fma_f32 v18, -v14, v16, v17
	v_fmac_f32_e32 v16, v18, v15
	s_delay_alu instid0(VALU_DEP_1) | instskip(NEXT) | instid1(VALU_DEP_1)
	v_fma_f32 v14, -v14, v16, v17
	v_div_fmas_f32 v14, v14, v15, v16
	s_delay_alu instid0(VALU_DEP_1) | instskip(NEXT) | instid1(VALU_DEP_1)
	v_div_fixup_f32 v15, v14, v12, v13
	v_fmac_f32_e32 v12, v13, v15
	s_delay_alu instid0(VALU_DEP_1) | instskip(SKIP_1) | instid1(VALU_DEP_2)
	v_div_scale_f32 v13, null, v12, v12, 1.0
	v_div_scale_f32 v17, vcc_lo, 1.0, v12, 1.0
	v_rcp_f32_e32 v14, v13
	v_nop
	s_delay_alu instid0(TRANS32_DEP_1) | instskip(NEXT) | instid1(VALU_DEP_1)
	v_fma_f32 v16, -v13, v14, 1.0
	v_fmac_f32_e32 v14, v16, v14
	s_delay_alu instid0(VALU_DEP_1) | instskip(NEXT) | instid1(VALU_DEP_1)
	v_mul_f32_e32 v16, v17, v14
	v_fma_f32 v18, -v13, v16, v17
	s_delay_alu instid0(VALU_DEP_1) | instskip(NEXT) | instid1(VALU_DEP_1)
	v_fmac_f32_e32 v16, v18, v14
	v_dual_fma_f32 v13, -v13, v16, v17 :: v_dual_mul_f32 v17, 0, v15
	v_sub_f32_e32 v15, 0, v15
	s_delay_alu instid0(VALU_DEP_2) | instskip(NEXT) | instid1(VALU_DEP_3)
	v_div_fmas_f32 v13, v13, v14, v16
	v_add_f32_e32 v14, 1.0, v17
	s_delay_alu instid0(VALU_DEP_2) | instskip(NEXT) | instid1(VALU_DEP_1)
	v_div_fixup_f32 v12, v13, v12, 1.0
	v_pk_mul_f32 v[14:15], v[14:15], v[12:13] op_sel_hi:[1,0]
.LBB133_15:                             ;   in Loop: Header=BB133_3 Depth=1
	s_or_b32 exec_lo, exec_lo, s13
	s_mov_b32 s13, 0
	ds_store_b64 v21, v[14:15]
.LBB133_16:                             ;   in Loop: Header=BB133_3 Depth=1
	s_and_b32 vcc_lo, exec_lo, s13
	s_cbranch_vccz .LBB133_18
; %bb.17:                               ;   in Loop: Header=BB133_3 Depth=1
	ds_store_b64 v21, v[10:11]
.LBB133_18:                             ;   in Loop: Header=BB133_3 Depth=1
	s_or_b32 exec_lo, exec_lo, s12
	s_mul_u64 s[12:13], s[10:11], s[16:17]
	s_and_saveexec_b32 s21, s14
	s_cbranch_execz .LBB133_21
; %bb.19:                               ;   in Loop: Header=BB133_3 Depth=1
	v_add_nc_u64_e32 v[12:13], s[12:13], v[8:9]
	v_mov_b32_e32 v14, v20
	s_mov_b32 s26, s22
.LBB133_20:                             ;   Parent Loop BB133_3 Depth=1
                                        ; =>  This Inner Loop Header: Depth=2
	global_load_b64 v[16:17], v[12:13], off offset:-4
	v_mov_b64_e32 v[18:19], s[2:3]
	v_mov_b64_e32 v[22:23], s[18:19]
	s_wait_xcnt 0x0
	v_add_nc_u64_e32 v[12:13], 8, v[12:13]
	s_add_co_i32 s26, s26, -1
	s_delay_alu instid0(SALU_CYCLE_1) | instskip(SKIP_2) | instid1(VALU_DEP_1)
	s_cmp_lg_u32 s26, 0
	s_wait_loadcnt 0x0
	v_pk_mul_f32 v[18:19], v[18:19], v[16:17] op_sel:[0,1]
	v_pk_fma_f32 v[24:25], v[22:23], v[16:17], v[18:19] op_sel_hi:[1,0,1]
	v_pk_fma_f32 v[16:17], v[22:23], v[16:17], v[18:19] neg_lo:[0,0,1] neg_hi:[0,0,1]
	s_delay_alu instid0(VALU_DEP_2)
	v_mov_b32_e32 v17, v25
	ds_store_b64 v14, v[16:17]
	v_add_nc_u32_e32 v14, 32, v14
	s_cbranch_scc1 .LBB133_20
.LBB133_21:                             ;   in Loop: Header=BB133_3 Depth=1
	s_or_b32 exec_lo, exec_lo, s21
	s_delay_alu instid0(SALU_CYCLE_1)
	s_and_not1_b32 vcc_lo, exec_lo, s25
	s_mov_b32 s21, -1
	s_wait_dscnt 0x0
	; wave barrier
	s_cbranch_vccnz .LBB133_50
; %bb.22:                               ;   in Loop: Header=BB133_3 Depth=1
	s_mov_b32 s26, 0
	s_mov_b32 s21, 0
	s_branch .LBB133_24
.LBB133_23:                             ;   in Loop: Header=BB133_24 Depth=2
	s_cmp_lt_i32 s21, s22
	s_cselect_b32 s27, -1, 0
	s_add_co_i32 s28, s26, 1
	s_cmp_lt_u32 s26, 2
	s_wait_xcnt 0x0
	s_cselect_b32 s26, -1, 0
	s_delay_alu instid0(SALU_CYCLE_1) | instskip(NEXT) | instid1(SALU_CYCLE_1)
	s_and_b32 s26, s27, s26
	s_and_b32 vcc_lo, exec_lo, s26
	s_mov_b32 s26, s28
	s_cbranch_vccz .LBB133_49
.LBB133_24:                             ;   Parent Loop BB133_3 Depth=1
                                        ; =>  This Loop Header: Depth=2
                                        ;       Child Loop BB133_27 Depth 3
                                        ;         Child Loop BB133_28 Depth 4
                                        ;         Child Loop BB133_32 Depth 4
                                        ;           Child Loop BB133_34 Depth 5
                                        ;           Child Loop BB133_40 Depth 5
                                        ;         Child Loop BB133_43 Depth 4
                                        ;           Child Loop BB133_45 Depth 5
	s_load_b32 s27, s[8:9], s26 offset:0x0 scale_offset
	s_wait_kmcnt 0x0
	s_add_co_i32 s28, s27, -1
	s_delay_alu instid0(SALU_CYCLE_1) | instskip(NEXT) | instid1(SALU_CYCLE_1)
	s_add_co_i32 s29, s28, s21
	s_cmp_ge_i32 s29, s22
	s_cbranch_scc1 .LBB133_23
; %bb.25:                               ;   in Loop: Header=BB133_24 Depth=2
	s_add_co_i32 s30, s26, -1
	s_max_i32 s29, s27, 1
	s_cmp_gt_u32 s30, 1
	v_lshl_add_u32 v22, s21, 5, v20
	s_cselect_b32 s30, -1, 0
	s_and_b32 s31, s29, 0x7ffffffe
	s_mul_i32 s35, s21, 40
	s_cmp_lg_u32 s29, s31
	s_mul_i32 s36, s27, 40
	s_cselect_b32 s33, -1, 0
	s_lshl_b32 s34, s27, 5
	s_branch .LBB133_27
.LBB133_26:                             ;   in Loop: Header=BB133_27 Depth=3
	s_add_co_i32 s21, s21, s27
	v_add_nc_u32_e32 v22, s34, v22
	s_add_co_i32 s37, s28, s21
	s_add_co_i32 s35, s35, s36
	s_cmp_ge_i32 s37, s22
	s_cbranch_scc1 .LBB133_23
.LBB133_27:                             ;   Parent Loop BB133_3 Depth=1
                                        ;     Parent Loop BB133_24 Depth=2
                                        ; =>    This Loop Header: Depth=3
                                        ;         Child Loop BB133_28 Depth 4
                                        ;         Child Loop BB133_32 Depth 4
                                        ;           Child Loop BB133_34 Depth 5
                                        ;           Child Loop BB133_40 Depth 5
                                        ;         Child Loop BB133_43 Depth 4
                                        ;           Child Loop BB133_45 Depth 5
	v_dual_mov_b32 v12, v3 :: v_dual_mov_b32 v13, v22
	s_mov_b32 s37, s29
.LBB133_28:                             ;   Parent Loop BB133_3 Depth=1
                                        ;     Parent Loop BB133_24 Depth=2
                                        ;       Parent Loop BB133_27 Depth=3
                                        ; =>      This Inner Loop Header: Depth=4
	ds_load_b64 v[14:15], v13
	v_add_nc_u32_e32 v13, 32, v13
	s_add_co_i32 s37, s37, -1
	s_delay_alu instid0(SALU_CYCLE_1)
	s_cmp_eq_u32 s37, 0
	s_wait_dscnt 0x0
	ds_store_b64 v12, v[14:15]
	v_add_nc_u32_e32 v12, 8, v12
	s_cbranch_scc0 .LBB133_28
; %bb.29:                               ;   in Loop: Header=BB133_27 Depth=3
	s_cmp_lt_i32 s21, 1
	s_cbranch_scc1 .LBB133_41
; %bb.30:                               ;   in Loop: Header=BB133_27 Depth=3
	s_mov_b32 s37, s21
	s_mov_b32 s38, 0
	;; [unrolled: 1-line block ×3, first 2 shown]
	s_branch .LBB133_32
.LBB133_31:                             ;   in Loop: Header=BB133_32 Depth=4
	s_add_co_i32 s39, s39, 1
	s_add_co_i32 s38, s38, 8
	s_cmp_eq_u32 s39, s21
	s_cbranch_scc1 .LBB133_41
.LBB133_32:                             ;   Parent Loop BB133_3 Depth=1
                                        ;     Parent Loop BB133_24 Depth=2
                                        ;       Parent Loop BB133_27 Depth=3
                                        ; =>      This Loop Header: Depth=4
                                        ;           Child Loop BB133_34 Depth 5
                                        ;           Child Loop BB133_40 Depth 5
	v_lshl_add_u32 v12, s39, 5, v20
	s_and_b32 vcc_lo, exec_lo, s30
	ds_load_b64 v[12:13], v12
	s_cbranch_vccz .LBB133_36
; %bb.33:                               ;   in Loop: Header=BB133_32 Depth=4
	s_wait_dscnt 0x0
	v_dual_mov_b32 v16, v12 :: v_dual_mov_b32 v17, v12
	v_dual_mov_b32 v14, v13 :: v_dual_mov_b32 v18, v13
	;; [unrolled: 1-line block ×3, first 2 shown]
	s_lshl_b32 s40, s39, 3
	s_mov_b32 s41, 1
	s_mov_b32 s42, 0
	;; [unrolled: 1-line block ×3, first 2 shown]
.LBB133_34:                             ;   Parent Loop BB133_3 Depth=1
                                        ;     Parent Loop BB133_24 Depth=2
                                        ;       Parent Loop BB133_27 Depth=3
                                        ;         Parent Loop BB133_32 Depth=4
                                        ; =>        This Inner Loop Header: Depth=5
	s_add_co_i32 s44, s42, s21
	s_add_co_i32 s45, s41, s37
	s_lshl_b32 s44, s44, 5
	s_lshl_b32 s45, s45, 5
	s_add_co_i32 s44, s40, s44
	s_add_co_i32 s45, s40, s45
	s_delay_alu instid0(SALU_CYCLE_1)
	v_dual_mov_b32 v23, s44 :: v_dual_mov_b32 v24, s45
	s_add_co_i32 s43, s43, -2
	s_add_co_i32 s42, s42, 2
	s_add_co_i32 s41, s41, 2
	ds_load_b64 v[28:29], v23
	ds_load_b64 v[30:31], v24
	ds_load_b128 v[24:27], v15
	s_cmp_lg_u32 s43, 0
	s_wait_dscnt 0x1
	v_dual_mov_b32 v34, v28 :: v_dual_mov_b32 v35, v30
	s_wait_dscnt 0x0
	v_dual_mov_b32 v30, v29 :: v_dual_mov_b32 v32, v24
	v_dual_mov_b32 v33, v26 :: v_dual_mov_b32 v26, v25
	s_delay_alu instid0(VALU_DEP_2) | instskip(SKIP_1) | instid1(VALU_DEP_2)
	v_pk_mul_f32 v[28:29], v[30:31], v[18:19]
	v_pk_mul_f32 v[30:31], v[30:31], v[16:17]
	v_pk_fma_f32 v[24:25], v[34:35], v[16:17], v[28:29] neg_lo:[0,0,1] neg_hi:[0,0,1]
	s_delay_alu instid0(VALU_DEP_2) | instskip(NEXT) | instid1(VALU_DEP_2)
	v_pk_fma_f32 v[28:29], v[34:35], v[18:19], v[30:31]
	v_pk_add_f32 v[30:31], v[32:33], v[24:25] neg_lo:[0,1] neg_hi:[0,1]
	s_delay_alu instid0(VALU_DEP_2) | instskip(NEXT) | instid1(VALU_DEP_1)
	v_pk_add_f32 v[26:27], v[26:27], v[28:29] neg_lo:[0,1] neg_hi:[0,1]
	v_dual_mov_b32 v24, v30 :: v_dual_mov_b32 v25, v26
	s_delay_alu instid0(VALU_DEP_3)
	v_mov_b32_e32 v26, v31
	ds_store_b128 v15, v[24:27]
	v_add_nc_u32_e32 v15, 16, v15
	s_cbranch_scc1 .LBB133_34
; %bb.35:                               ;   in Loop: Header=BB133_32 Depth=4
	s_mov_b32 s40, s33
	s_mov_b32 s41, s31
	s_branch .LBB133_38
.LBB133_36:                             ;   in Loop: Header=BB133_32 Depth=4
	s_wait_dscnt 0x0
	v_mov_b32_e32 v14, v13
	s_mov_b32 s40, 0
	s_mov_b32 s41, s31
	s_cbranch_execz .LBB133_38
; %bb.37:                               ;   in Loop: Header=BB133_32 Depth=4
	s_mov_b32 s40, -1
	s_mov_b32 s41, 0
.LBB133_38:                             ;   in Loop: Header=BB133_32 Depth=4
	s_and_not1_b32 vcc_lo, exec_lo, s40
	s_cbranch_vccnz .LBB133_31
; %bb.39:                               ;   in Loop: Header=BB133_32 Depth=4
	s_add_co_i32 s40, s21, s41
	v_dual_mov_b32 v15, v13 :: v_dual_mov_b32 v13, v12
	v_lshl_add_u32 v16, s41, 3, v3
	s_lshl_b32 s42, s40, 5
	s_sub_co_i32 s40, s29, s41
	s_add_co_i32 s41, s38, s42
.LBB133_40:                             ;   Parent Loop BB133_3 Depth=1
                                        ;     Parent Loop BB133_24 Depth=2
                                        ;       Parent Loop BB133_27 Depth=3
                                        ;         Parent Loop BB133_32 Depth=4
                                        ; =>        This Inner Loop Header: Depth=5
	s_delay_alu instid0(SALU_CYCLE_1)
	v_mov_b32_e32 v17, s41
	s_add_co_i32 s40, s40, -1
	s_add_co_i32 s41, s41, 32
	s_cmp_eq_u32 s40, 0
	ds_load_b64 v[18:19], v17
	ds_load_b64 v[24:25], v16
	s_wait_dscnt 0x1
	v_pk_mul_f32 v[26:27], v[18:19], v[14:15] op_sel:[1,0] op_sel_hi:[0,1]
	s_delay_alu instid0(VALU_DEP_1) | instskip(SKIP_1) | instid1(VALU_DEP_2)
	v_pk_fma_f32 v[28:29], v[18:19], v[12:13], v[26:27]
	v_pk_fma_f32 v[18:19], v[18:19], v[12:13], v[26:27] neg_lo:[0,0,1] neg_hi:[0,0,1]
	v_mov_b32_e32 v19, v29
	s_wait_dscnt 0x0
	s_delay_alu instid0(VALU_DEP_1)
	v_pk_add_f32 v[18:19], v[24:25], v[18:19] neg_lo:[0,1] neg_hi:[0,1]
	ds_store_b64 v16, v[18:19]
	v_add_nc_u32_e32 v16, 8, v16
	s_cbranch_scc0 .LBB133_40
	s_branch .LBB133_31
.LBB133_41:                             ;   in Loop: Header=BB133_27 Depth=3
	s_lshl_b32 s37, s21, 5
	s_mov_b32 s38, 0
	s_mov_b32 s39, s35
	s_branch .LBB133_43
.LBB133_42:                             ;   in Loop: Header=BB133_43 Depth=4
	s_mul_i32 s41, s41, 40
	s_add_co_i32 s38, s38, 1
	v_mov_b32_e32 v13, s41
	s_add_co_i32 s39, s39, 32
	s_cmp_eq_u32 s38, s29
	ds_load_b64 v[16:17], v13
	s_wait_dscnt 0x0
	v_pk_mul_f32 v[18:19], v[16:17], v[14:15] op_sel:[1,0] op_sel_hi:[0,0]
	v_add_nc_u32_e32 v14, s40, v20
	s_delay_alu instid0(VALU_DEP_2) | instskip(SKIP_1) | instid1(VALU_DEP_2)
	v_pk_fma_f32 v[24:25], v[16:17], v[12:13], v[18:19] op_sel_hi:[1,0,1]
	v_pk_fma_f32 v[12:13], v[16:17], v[12:13], v[18:19] neg_lo:[0,0,1] neg_hi:[0,0,1]
	v_mov_b32_e32 v13, v25
	ds_store_b64 v15, v[12:13]
	ds_store_b64 v14, v[12:13]
	s_cbranch_scc1 .LBB133_26
.LBB133_43:                             ;   Parent Loop BB133_3 Depth=1
                                        ;     Parent Loop BB133_24 Depth=2
                                        ;       Parent Loop BB133_27 Depth=3
                                        ; =>      This Loop Header: Depth=4
                                        ;           Child Loop BB133_45 Depth 5
	v_lshl_add_u32 v15, s38, 3, v3
	s_cmp_lg_u32 s38, 0
	s_cbranch_scc0 .LBB133_47
; %bb.44:                               ;   in Loop: Header=BB133_43 Depth=4
	ds_load_b64 v[12:13], v15
	v_mov_b32_e32 v14, v3
	s_mov_b32 s40, s39
	s_mov_b32 s41, s38
.LBB133_45:                             ;   Parent Loop BB133_3 Depth=1
                                        ;     Parent Loop BB133_24 Depth=2
                                        ;       Parent Loop BB133_27 Depth=3
                                        ;         Parent Loop BB133_43 Depth=4
                                        ; =>        This Inner Loop Header: Depth=5
	v_mov_b32_e32 v18, s40
	s_add_co_i32 s41, s41, -1
	s_add_co_i32 s40, s40, 8
	s_cmp_eq_u32 s41, 0
	ds_load_b64 v[16:17], v14
	ds_load_b64 v[18:19], v18
	v_add_nc_u32_e32 v14, 8, v14
	s_wait_dscnt 0x0
	v_pk_mul_f32 v[24:25], v[18:19], v[16:17] op_sel:[1,1] op_sel_hi:[0,1]
	s_delay_alu instid0(VALU_DEP_1) | instskip(SKIP_1) | instid1(VALU_DEP_2)
	v_pk_fma_f32 v[26:27], v[18:19], v[16:17], v[24:25] op_sel_hi:[1,0,1]
	v_pk_fma_f32 v[16:17], v[18:19], v[16:17], v[24:25] neg_lo:[0,0,1] neg_hi:[0,0,1]
	v_mov_b32_e32 v17, v27
	s_delay_alu instid0(VALU_DEP_1)
	v_pk_add_f32 v[12:13], v[12:13], v[16:17] neg_lo:[0,1] neg_hi:[0,1]
	ds_store_b64 v15, v[12:13]
	s_cbranch_scc0 .LBB133_45
; %bb.46:                               ;   in Loop: Header=BB133_43 Depth=4
	v_mov_b32_e32 v14, v13
	s_add_co_i32 s41, s38, s21
	s_delay_alu instid0(SALU_CYCLE_1)
	s_lshl_b32 s40, s41, 5
	s_branch .LBB133_42
.LBB133_47:                             ;   in Loop: Header=BB133_43 Depth=4
                                        ; implicit-def: $vgpr12
                                        ; implicit-def: $vgpr14
                                        ; implicit-def: $sgpr41
                                        ; implicit-def: $sgpr40
	s_cbranch_execz .LBB133_42
; %bb.48:                               ;   in Loop: Header=BB133_43 Depth=4
	ds_load_b64 v[12:13], v3
	s_mov_b32 s40, s37
	s_mov_b32 s41, s21
	s_wait_dscnt 0x0
	v_mov_b32_e32 v14, v13
	s_branch .LBB133_42
.LBB133_49:                             ;   in Loop: Header=BB133_3 Depth=1
	s_mov_b32 s21, 0
.LBB133_50:                             ;   in Loop: Header=BB133_3 Depth=1
	s_delay_alu instid0(SALU_CYCLE_1)
	s_and_b32 vcc_lo, exec_lo, s21
	s_cbranch_vccz .LBB133_78
; %bb.51:                               ;   in Loop: Header=BB133_3 Depth=1
	s_mov_b32 s26, 0
	s_mov_b32 s21, s23
	s_branch .LBB133_53
.LBB133_52:                             ;   in Loop: Header=BB133_53 Depth=2
	s_cmp_gt_i32 s21, -1
	s_cselect_b32 s27, -1, 0
	s_add_co_i32 s28, s26, 1
	s_cmp_lt_u32 s26, 2
	s_wait_xcnt 0x0
	s_cselect_b32 s26, -1, 0
	s_delay_alu instid0(SALU_CYCLE_1) | instskip(NEXT) | instid1(SALU_CYCLE_1)
	s_and_b32 s26, s27, s26
	s_and_not1_b32 vcc_lo, exec_lo, s26
	s_mov_b32 s26, s28
	s_cbranch_vccnz .LBB133_78
.LBB133_53:                             ;   Parent Loop BB133_3 Depth=1
                                        ; =>  This Loop Header: Depth=2
                                        ;       Child Loop BB133_56 Depth 3
                                        ;         Child Loop BB133_57 Depth 4
                                        ;         Child Loop BB133_61 Depth 4
                                        ;           Child Loop BB133_63 Depth 5
                                        ;           Child Loop BB133_69 Depth 5
                                        ;         Child Loop BB133_72 Depth 4
                                        ;           Child Loop BB133_74 Depth 5
	s_load_b32 s27, s[8:9], s26 offset:0x0 scale_offset
	s_wait_kmcnt 0x0
	s_add_co_i32 s28, s27, -1
	s_delay_alu instid0(SALU_CYCLE_1)
	s_cmp_lt_i32 s21, s28
	s_cbranch_scc1 .LBB133_52
; %bb.54:                               ;   in Loop: Header=BB133_53 Depth=2
	s_add_co_i32 s30, s26, -1
	s_max_i32 s29, s27, 1
	s_cmp_gt_u32 s30, 1
	v_lshl_add_u32 v22, s21, 5, v20
	s_cselect_b32 s30, -1, 0
	s_and_b32 s31, s29, 0x7ffffffe
	s_mul_i32 s37, s21, 40
	s_cmp_lg_u32 s29, s31
	s_mul_i32 s38, s27, 0xffffffd8
	s_cselect_b32 s33, -1, 0
	s_lshl_b32 s34, s27, 5
	s_lshl_b32 s35, s21, 3
	;; [unrolled: 1-line block ×3, first 2 shown]
	s_sub_co_i32 s34, 0, s34
	s_add_co_i32 s35, s20, s35
	s_sub_co_i32 s36, 0, s36
	s_branch .LBB133_56
.LBB133_55:                             ;   in Loop: Header=BB133_56 Depth=3
	v_add_nc_u32_e32 v22, s34, v22
	s_sub_co_i32 s21, s21, s27
	s_add_co_i32 s35, s35, s36
	s_add_co_i32 s37, s37, s38
	s_cmp_lt_i32 s21, s28
	s_cbranch_scc1 .LBB133_52
.LBB133_56:                             ;   Parent Loop BB133_3 Depth=1
                                        ;     Parent Loop BB133_53 Depth=2
                                        ; =>    This Loop Header: Depth=3
                                        ;         Child Loop BB133_57 Depth 4
                                        ;         Child Loop BB133_61 Depth 4
                                        ;           Child Loop BB133_63 Depth 5
                                        ;           Child Loop BB133_69 Depth 5
                                        ;         Child Loop BB133_72 Depth 4
                                        ;           Child Loop BB133_74 Depth 5
	v_dual_mov_b32 v12, v3 :: v_dual_mov_b32 v13, v22
	s_mov_b32 s39, s29
.LBB133_57:                             ;   Parent Loop BB133_3 Depth=1
                                        ;     Parent Loop BB133_53 Depth=2
                                        ;       Parent Loop BB133_56 Depth=3
                                        ; =>      This Inner Loop Header: Depth=4
	ds_load_b64 v[14:15], v13
	v_subrev_nc_u32_e32 v13, 32, v13
	s_add_co_i32 s39, s39, -1
	s_delay_alu instid0(SALU_CYCLE_1)
	s_cmp_eq_u32 s39, 0
	s_wait_dscnt 0x0
	ds_store_b64 v12, v[14:15]
	v_add_nc_u32_e32 v12, 8, v12
	s_cbranch_scc0 .LBB133_57
; %bb.58:                               ;   in Loop: Header=BB133_56 Depth=3
	s_cmp_le_i32 s23, s21
	s_cbranch_scc1 .LBB133_70
; %bb.59:                               ;   in Loop: Header=BB133_56 Depth=3
	s_mov_b32 s39, s21
	s_mov_b32 s40, s35
	;; [unrolled: 1-line block ×3, first 2 shown]
	s_branch .LBB133_61
.LBB133_60:                             ;   in Loop: Header=BB133_61 Depth=4
	s_add_co_i32 s41, s41, -1
	s_sub_co_i32 s40, s40, 32
	s_cmp_le_i32 s41, s21
	s_cbranch_scc1 .LBB133_70
.LBB133_61:                             ;   Parent Loop BB133_3 Depth=1
                                        ;     Parent Loop BB133_53 Depth=2
                                        ;       Parent Loop BB133_56 Depth=3
                                        ; =>      This Loop Header: Depth=4
                                        ;           Child Loop BB133_63 Depth 5
                                        ;           Child Loop BB133_69 Depth 5
	v_lshl_add_u32 v12, s41, 5, v20
	s_and_b32 vcc_lo, exec_lo, s30
	ds_load_b64 v[12:13], v12
	s_cbranch_vccz .LBB133_65
; %bb.62:                               ;   in Loop: Header=BB133_61 Depth=4
	s_wait_dscnt 0x0
	v_dual_mov_b32 v16, v12 :: v_dual_mov_b32 v17, v12
	v_dual_mov_b32 v14, v13 :: v_dual_mov_b32 v18, v13
	;; [unrolled: 1-line block ×3, first 2 shown]
	s_lshl_b32 s42, s41, 2
	s_mov_b32 s43, 1
	s_lshl_b32 s42, s42, 3
	s_mov_b32 s44, 0
	s_mov_b32 s45, s31
.LBB133_63:                             ;   Parent Loop BB133_3 Depth=1
                                        ;     Parent Loop BB133_53 Depth=2
                                        ;       Parent Loop BB133_56 Depth=3
                                        ;         Parent Loop BB133_61 Depth=4
                                        ; =>        This Inner Loop Header: Depth=5
	s_sub_co_i32 s46, s21, s44
	s_sub_co_i32 s47, s39, s43
	s_lshl_b32 s46, s46, 3
	s_lshl_b32 s47, s47, 3
	s_add_co_i32 s46, s42, s46
	s_add_co_i32 s47, s42, s47
	s_delay_alu instid0(SALU_CYCLE_1)
	v_dual_mov_b32 v23, s46 :: v_dual_mov_b32 v24, s47
	s_add_co_i32 s45, s45, -2
	s_add_co_i32 s44, s44, 2
	s_add_co_i32 s43, s43, 2
	ds_load_b64 v[28:29], v23
	ds_load_b64 v[30:31], v24
	ds_load_b128 v[24:27], v15
	s_cmp_lg_u32 s45, 0
	s_wait_dscnt 0x1
	v_dual_mov_b32 v34, v28 :: v_dual_mov_b32 v35, v30
	s_wait_dscnt 0x0
	v_dual_mov_b32 v30, v29 :: v_dual_mov_b32 v32, v24
	v_dual_mov_b32 v33, v26 :: v_dual_mov_b32 v26, v25
	s_delay_alu instid0(VALU_DEP_2) | instskip(SKIP_1) | instid1(VALU_DEP_2)
	v_pk_mul_f32 v[28:29], v[30:31], v[18:19]
	v_pk_mul_f32 v[30:31], v[30:31], v[16:17]
	v_pk_fma_f32 v[24:25], v[34:35], v[16:17], v[28:29] neg_lo:[0,0,1] neg_hi:[0,0,1]
	s_delay_alu instid0(VALU_DEP_2) | instskip(NEXT) | instid1(VALU_DEP_2)
	v_pk_fma_f32 v[28:29], v[34:35], v[18:19], v[30:31]
	v_pk_add_f32 v[30:31], v[32:33], v[24:25] neg_lo:[0,1] neg_hi:[0,1]
	s_delay_alu instid0(VALU_DEP_2) | instskip(NEXT) | instid1(VALU_DEP_1)
	v_pk_add_f32 v[26:27], v[26:27], v[28:29] neg_lo:[0,1] neg_hi:[0,1]
	v_dual_mov_b32 v24, v30 :: v_dual_mov_b32 v25, v26
	s_delay_alu instid0(VALU_DEP_3)
	v_mov_b32_e32 v26, v31
	ds_store_b128 v15, v[24:27]
	v_add_nc_u32_e32 v15, 16, v15
	s_cbranch_scc1 .LBB133_63
; %bb.64:                               ;   in Loop: Header=BB133_61 Depth=4
	s_mov_b32 s42, s33
	s_mov_b32 s43, s31
	s_branch .LBB133_67
.LBB133_65:                             ;   in Loop: Header=BB133_61 Depth=4
	s_wait_dscnt 0x0
	v_mov_b32_e32 v14, v13
	s_mov_b32 s42, 0
	s_mov_b32 s43, s31
	s_cbranch_execz .LBB133_67
; %bb.66:                               ;   in Loop: Header=BB133_61 Depth=4
	s_mov_b32 s42, -1
	s_mov_b32 s43, 0
.LBB133_67:                             ;   in Loop: Header=BB133_61 Depth=4
	s_and_not1_b32 vcc_lo, exec_lo, s42
	s_cbranch_vccnz .LBB133_60
; %bb.68:                               ;   in Loop: Header=BB133_61 Depth=4
	s_lshl_b32 s44, s43, 3
	v_dual_mov_b32 v15, v13 :: v_dual_mov_b32 v13, v12
	v_add_nc_u32_e32 v16, s44, v3
	s_sub_co_i32 s42, s29, s43
	s_sub_co_i32 s43, s40, s44
.LBB133_69:                             ;   Parent Loop BB133_3 Depth=1
                                        ;     Parent Loop BB133_53 Depth=2
                                        ;       Parent Loop BB133_56 Depth=3
                                        ;         Parent Loop BB133_61 Depth=4
                                        ; =>        This Inner Loop Header: Depth=5
	s_delay_alu instid0(SALU_CYCLE_1)
	v_mov_b32_e32 v17, s43
	s_add_co_i32 s42, s42, -1
	s_add_co_i32 s43, s43, -8
	s_cmp_eq_u32 s42, 0
	ds_load_b64 v[18:19], v17
	ds_load_b64 v[24:25], v16
	s_wait_dscnt 0x1
	v_pk_mul_f32 v[26:27], v[18:19], v[14:15] op_sel:[1,0] op_sel_hi:[0,1]
	s_delay_alu instid0(VALU_DEP_1) | instskip(SKIP_1) | instid1(VALU_DEP_2)
	v_pk_fma_f32 v[28:29], v[18:19], v[12:13], v[26:27]
	v_pk_fma_f32 v[18:19], v[18:19], v[12:13], v[26:27] neg_lo:[0,0,1] neg_hi:[0,0,1]
	v_mov_b32_e32 v19, v29
	s_wait_dscnt 0x0
	s_delay_alu instid0(VALU_DEP_1)
	v_pk_add_f32 v[18:19], v[24:25], v[18:19] neg_lo:[0,1] neg_hi:[0,1]
	ds_store_b64 v16, v[18:19]
	v_add_nc_u32_e32 v16, 8, v16
	s_cbranch_scc0 .LBB133_69
	s_branch .LBB133_60
.LBB133_70:                             ;   in Loop: Header=BB133_56 Depth=3
	s_mov_b32 s39, 0
	s_mov_b32 s40, s37
	s_branch .LBB133_72
.LBB133_71:                             ;   in Loop: Header=BB133_72 Depth=4
	s_mul_i32 s42, s41, 40
	s_add_co_i32 s39, s39, 1
	v_mov_b32_e32 v13, s42
	s_add_co_i32 s40, s40, -8
	s_cmp_eq_u32 s39, s29
	ds_load_b64 v[16:17], v13
	s_wait_dscnt 0x0
	v_pk_mul_f32 v[18:19], v[16:17], v[14:15] op_sel:[1,0] op_sel_hi:[0,0]
	v_lshl_add_u32 v14, s41, 5, v20
	s_delay_alu instid0(VALU_DEP_2) | instskip(SKIP_1) | instid1(VALU_DEP_2)
	v_pk_fma_f32 v[24:25], v[16:17], v[12:13], v[18:19] op_sel_hi:[1,0,1]
	v_pk_fma_f32 v[12:13], v[16:17], v[12:13], v[18:19] neg_lo:[0,0,1] neg_hi:[0,0,1]
	v_mov_b32_e32 v13, v25
	ds_store_b64 v15, v[12:13]
	ds_store_b64 v14, v[12:13]
	s_cbranch_scc1 .LBB133_55
.LBB133_72:                             ;   Parent Loop BB133_3 Depth=1
                                        ;     Parent Loop BB133_53 Depth=2
                                        ;       Parent Loop BB133_56 Depth=3
                                        ; =>      This Loop Header: Depth=4
                                        ;           Child Loop BB133_74 Depth 5
	v_lshl_add_u32 v15, s39, 3, v3
	s_cmp_lg_u32 s39, 0
	s_cbranch_scc0 .LBB133_76
; %bb.73:                               ;   in Loop: Header=BB133_72 Depth=4
	ds_load_b64 v[12:13], v15
	v_mov_b32_e32 v14, v3
	s_mov_b32 s41, s40
	s_mov_b32 s42, s39
.LBB133_74:                             ;   Parent Loop BB133_3 Depth=1
                                        ;     Parent Loop BB133_53 Depth=2
                                        ;       Parent Loop BB133_56 Depth=3
                                        ;         Parent Loop BB133_72 Depth=4
                                        ; =>        This Inner Loop Header: Depth=5
	v_mov_b32_e32 v18, s41
	s_add_co_i32 s42, s42, -1
	s_sub_co_i32 s41, s41, 32
	s_cmp_eq_u32 s42, 0
	ds_load_b64 v[16:17], v14
	ds_load_b64 v[18:19], v18
	v_add_nc_u32_e32 v14, 8, v14
	s_wait_dscnt 0x0
	v_pk_mul_f32 v[24:25], v[18:19], v[16:17] op_sel:[1,1] op_sel_hi:[0,1]
	s_delay_alu instid0(VALU_DEP_1) | instskip(SKIP_1) | instid1(VALU_DEP_2)
	v_pk_fma_f32 v[26:27], v[18:19], v[16:17], v[24:25] op_sel_hi:[1,0,1]
	v_pk_fma_f32 v[16:17], v[18:19], v[16:17], v[24:25] neg_lo:[0,0,1] neg_hi:[0,0,1]
	v_mov_b32_e32 v17, v27
	s_delay_alu instid0(VALU_DEP_1)
	v_pk_add_f32 v[12:13], v[12:13], v[16:17] neg_lo:[0,1] neg_hi:[0,1]
	ds_store_b64 v15, v[12:13]
	s_cbranch_scc0 .LBB133_74
; %bb.75:                               ;   in Loop: Header=BB133_72 Depth=4
	v_mov_b32_e32 v14, v13
	s_sub_co_i32 s41, s21, s39
	s_branch .LBB133_71
.LBB133_76:                             ;   in Loop: Header=BB133_72 Depth=4
                                        ; implicit-def: $vgpr12
                                        ; implicit-def: $vgpr14
                                        ; implicit-def: $sgpr41
	s_cbranch_execz .LBB133_71
; %bb.77:                               ;   in Loop: Header=BB133_72 Depth=4
	ds_load_b64 v[12:13], v3
	s_mov_b32 s41, s21
	s_wait_dscnt 0x0
	v_mov_b32_e32 v14, v13
	s_branch .LBB133_71
.LBB133_78:                             ;   in Loop: Header=BB133_3 Depth=1
	s_wait_dscnt 0x0
	; wave barrier
	s_and_saveexec_b32 s21, s14
	s_cbranch_execz .LBB133_2
; %bb.79:                               ;   in Loop: Header=BB133_3 Depth=1
	v_add_nc_u64_e32 v[12:13], s[12:13], v[4:5]
	v_mov_b32_e32 v14, v20
	s_mov_b32 s12, s22
.LBB133_80:                             ;   Parent Loop BB133_3 Depth=1
                                        ; =>  This Inner Loop Header: Depth=2
	ds_load_b64 v[16:17], v14
	v_add_nc_u32_e32 v14, 32, v14
	s_add_co_i32 s12, s12, -1
	s_delay_alu instid0(SALU_CYCLE_1)
	s_cmp_lg_u32 s12, 0
	s_wait_dscnt 0x0
	global_store_b64 v[12:13], v[16:17], off
	s_wait_xcnt 0x0
	v_add_nc_u64_e32 v[12:13], 8, v[12:13]
	s_cbranch_scc1 .LBB133_80
	s_branch .LBB133_2
.LBB133_81:
	s_endpgm
	.section	.rodata,"a",@progbits
	.p2align	6, 0x0
	.amdhsa_kernel _ZL38rocblas_trsm_small_left_device_sharedBILi4ELi4ELb0E19rocblas_complex_numIfES1_PKS1_PS1_Ev13rocblas_fill_18rocblas_operation_17rocblas_diagonal_iiT3_T4_lilT5_lili
		.amdhsa_group_segment_fixed_size 384
		.amdhsa_private_segment_fixed_size 0
		.amdhsa_kernarg_size 360
		.amdhsa_user_sgpr_count 4
		.amdhsa_user_sgpr_dispatch_ptr 1
		.amdhsa_user_sgpr_queue_ptr 0
		.amdhsa_user_sgpr_kernarg_segment_ptr 1
		.amdhsa_user_sgpr_dispatch_id 0
		.amdhsa_user_sgpr_kernarg_preload_length 0
		.amdhsa_user_sgpr_kernarg_preload_offset 0
		.amdhsa_user_sgpr_private_segment_size 0
		.amdhsa_wavefront_size32 1
		.amdhsa_uses_dynamic_stack 0
		.amdhsa_enable_private_segment 0
		.amdhsa_system_sgpr_workgroup_id_x 1
		.amdhsa_system_sgpr_workgroup_id_y 0
		.amdhsa_system_sgpr_workgroup_id_z 1
		.amdhsa_system_sgpr_workgroup_info 0
		.amdhsa_system_vgpr_workitem_id 2
		.amdhsa_next_free_vgpr 36
		.amdhsa_next_free_sgpr 48
		.amdhsa_named_barrier_count 0
		.amdhsa_reserve_vcc 1
		.amdhsa_float_round_mode_32 0
		.amdhsa_float_round_mode_16_64 0
		.amdhsa_float_denorm_mode_32 3
		.amdhsa_float_denorm_mode_16_64 3
		.amdhsa_fp16_overflow 0
		.amdhsa_memory_ordered 1
		.amdhsa_forward_progress 1
		.amdhsa_inst_pref_size 28
		.amdhsa_round_robin_scheduling 0
		.amdhsa_exception_fp_ieee_invalid_op 0
		.amdhsa_exception_fp_denorm_src 0
		.amdhsa_exception_fp_ieee_div_zero 0
		.amdhsa_exception_fp_ieee_overflow 0
		.amdhsa_exception_fp_ieee_underflow 0
		.amdhsa_exception_fp_ieee_inexact 0
		.amdhsa_exception_int_div_zero 0
	.end_amdhsa_kernel
	.section	.text._ZL38rocblas_trsm_small_left_device_sharedBILi4ELi4ELb0E19rocblas_complex_numIfES1_PKS1_PS1_Ev13rocblas_fill_18rocblas_operation_17rocblas_diagonal_iiT3_T4_lilT5_lili,"axG",@progbits,_ZL38rocblas_trsm_small_left_device_sharedBILi4ELi4ELb0E19rocblas_complex_numIfES1_PKS1_PS1_Ev13rocblas_fill_18rocblas_operation_17rocblas_diagonal_iiT3_T4_lilT5_lili,comdat
.Lfunc_end133:
	.size	_ZL38rocblas_trsm_small_left_device_sharedBILi4ELi4ELb0E19rocblas_complex_numIfES1_PKS1_PS1_Ev13rocblas_fill_18rocblas_operation_17rocblas_diagonal_iiT3_T4_lilT5_lili, .Lfunc_end133-_ZL38rocblas_trsm_small_left_device_sharedBILi4ELi4ELb0E19rocblas_complex_numIfES1_PKS1_PS1_Ev13rocblas_fill_18rocblas_operation_17rocblas_diagonal_iiT3_T4_lilT5_lili
                                        ; -- End function
	.set _ZL38rocblas_trsm_small_left_device_sharedBILi4ELi4ELb0E19rocblas_complex_numIfES1_PKS1_PS1_Ev13rocblas_fill_18rocblas_operation_17rocblas_diagonal_iiT3_T4_lilT5_lili.num_vgpr, 36
	.set _ZL38rocblas_trsm_small_left_device_sharedBILi4ELi4ELb0E19rocblas_complex_numIfES1_PKS1_PS1_Ev13rocblas_fill_18rocblas_operation_17rocblas_diagonal_iiT3_T4_lilT5_lili.num_agpr, 0
	.set _ZL38rocblas_trsm_small_left_device_sharedBILi4ELi4ELb0E19rocblas_complex_numIfES1_PKS1_PS1_Ev13rocblas_fill_18rocblas_operation_17rocblas_diagonal_iiT3_T4_lilT5_lili.numbered_sgpr, 48
	.set _ZL38rocblas_trsm_small_left_device_sharedBILi4ELi4ELb0E19rocblas_complex_numIfES1_PKS1_PS1_Ev13rocblas_fill_18rocblas_operation_17rocblas_diagonal_iiT3_T4_lilT5_lili.num_named_barrier, 0
	.set _ZL38rocblas_trsm_small_left_device_sharedBILi4ELi4ELb0E19rocblas_complex_numIfES1_PKS1_PS1_Ev13rocblas_fill_18rocblas_operation_17rocblas_diagonal_iiT3_T4_lilT5_lili.private_seg_size, 0
	.set _ZL38rocblas_trsm_small_left_device_sharedBILi4ELi4ELb0E19rocblas_complex_numIfES1_PKS1_PS1_Ev13rocblas_fill_18rocblas_operation_17rocblas_diagonal_iiT3_T4_lilT5_lili.uses_vcc, 1
	.set _ZL38rocblas_trsm_small_left_device_sharedBILi4ELi4ELb0E19rocblas_complex_numIfES1_PKS1_PS1_Ev13rocblas_fill_18rocblas_operation_17rocblas_diagonal_iiT3_T4_lilT5_lili.uses_flat_scratch, 0
	.set _ZL38rocblas_trsm_small_left_device_sharedBILi4ELi4ELb0E19rocblas_complex_numIfES1_PKS1_PS1_Ev13rocblas_fill_18rocblas_operation_17rocblas_diagonal_iiT3_T4_lilT5_lili.has_dyn_sized_stack, 0
	.set _ZL38rocblas_trsm_small_left_device_sharedBILi4ELi4ELb0E19rocblas_complex_numIfES1_PKS1_PS1_Ev13rocblas_fill_18rocblas_operation_17rocblas_diagonal_iiT3_T4_lilT5_lili.has_recursion, 0
	.set _ZL38rocblas_trsm_small_left_device_sharedBILi4ELi4ELb0E19rocblas_complex_numIfES1_PKS1_PS1_Ev13rocblas_fill_18rocblas_operation_17rocblas_diagonal_iiT3_T4_lilT5_lili.has_indirect_call, 0
	.section	.AMDGPU.csdata,"",@progbits
; Kernel info:
; codeLenInByte = 3540
; TotalNumSgprs: 50
; NumVgprs: 36
; ScratchSize: 0
; MemoryBound: 0
; FloatMode: 240
; IeeeMode: 1
; LDSByteSize: 384 bytes/workgroup (compile time only)
; SGPRBlocks: 0
; VGPRBlocks: 2
; NumSGPRsForWavesPerEU: 50
; NumVGPRsForWavesPerEU: 36
; NamedBarCnt: 0
; Occupancy: 16
; WaveLimiterHint : 0
; COMPUTE_PGM_RSRC2:SCRATCH_EN: 0
; COMPUTE_PGM_RSRC2:USER_SGPR: 4
; COMPUTE_PGM_RSRC2:TRAP_HANDLER: 0
; COMPUTE_PGM_RSRC2:TGID_X_EN: 1
; COMPUTE_PGM_RSRC2:TGID_Y_EN: 0
; COMPUTE_PGM_RSRC2:TGID_Z_EN: 1
; COMPUTE_PGM_RSRC2:TIDIG_COMP_CNT: 2
	.section	.text._ZL30rocblas_trsm_small_left_deviceILi4ELi4ELb0E19rocblas_complex_numIfES1_PKS1_PS1_Ev13rocblas_fill_18rocblas_operation_17rocblas_diagonal_iiT3_T4_lilT5_lili,"axG",@progbits,_ZL30rocblas_trsm_small_left_deviceILi4ELi4ELb0E19rocblas_complex_numIfES1_PKS1_PS1_Ev13rocblas_fill_18rocblas_operation_17rocblas_diagonal_iiT3_T4_lilT5_lili,comdat
	.globl	_ZL30rocblas_trsm_small_left_deviceILi4ELi4ELb0E19rocblas_complex_numIfES1_PKS1_PS1_Ev13rocblas_fill_18rocblas_operation_17rocblas_diagonal_iiT3_T4_lilT5_lili ; -- Begin function _ZL30rocblas_trsm_small_left_deviceILi4ELi4ELb0E19rocblas_complex_numIfES1_PKS1_PS1_Ev13rocblas_fill_18rocblas_operation_17rocblas_diagonal_iiT3_T4_lilT5_lili
	.p2align	8
	.type	_ZL30rocblas_trsm_small_left_deviceILi4ELi4ELb0E19rocblas_complex_numIfES1_PKS1_PS1_Ev13rocblas_fill_18rocblas_operation_17rocblas_diagonal_iiT3_T4_lilT5_lili,@function
_ZL30rocblas_trsm_small_left_deviceILi4ELi4ELb0E19rocblas_complex_numIfES1_PKS1_PS1_Ev13rocblas_fill_18rocblas_operation_17rocblas_diagonal_iiT3_T4_lilT5_lili: ; @_ZL30rocblas_trsm_small_left_deviceILi4ELi4ELb0E19rocblas_complex_numIfES1_PKS1_PS1_Ev13rocblas_fill_18rocblas_operation_17rocblas_diagonal_iiT3_T4_lilT5_lili
; %bb.0:
	s_load_b32 s33, s[2:3], 0x60
	s_bfe_u32 s4, ttmp6, 0x40014
	s_lshr_b32 s5, ttmp7, 16
	s_add_co_i32 s4, s4, 1
	s_bfe_u32 s6, ttmp6, 0x40008
	s_mul_i32 s4, s5, s4
	s_getreg_b32 s11, hwreg(HW_REG_IB_STS2, 6, 4)
	s_add_co_i32 s6, s6, s4
	s_cmp_eq_u32 s11, 0
	s_mov_b32 s19, 0
	s_cselect_b32 s16, s5, s6
	s_wait_kmcnt 0x0
	s_cmp_ge_u32 s16, s33
	s_cbranch_scc1 .LBB134_87
; %bb.1:
	s_clause 0x1
	s_load_b32 s26, s[2:3], 0x30
	s_load_b96 s[8:10], s[2:3], 0x48
	s_load_b64 s[28:29], s[0:1], 0x4
	s_clause 0x2
	s_load_b128 s[4:7], s[2:3], 0x4
	s_load_b32 s12, s[2:3], 0x68
	s_load_b64 s[20:21], s[2:3], 0x14
	v_and_b32_e32 v8, 0x3ff, v0
	v_bfe_u32 v6, v0, 10, 10
	v_bfe_u32 v7, v0, 20, 10
	v_mov_b64_e32 v[10:11], 0x3f800000
	s_mov_b32 s40, 0
	v_dual_mov_b32 v1, 0 :: v_dual_lshlrev_b32 v12, 5, v8
	v_lshlrev_b32_e32 v0, 3, v8
	s_delay_alu instid0(VALU_DEP_1)
	v_add_nc_u32_e32 v24, v0, v12
	s_wait_kmcnt 0x0
	s_ashr_i32 s27, s26, 31
	s_ashr_i32 s1, s10, 31
	s_lshr_b32 s17, s28, 16
	s_cmp_lg_u32 s4, 0x71
	s_mul_i32 s17, s17, s29
	s_cselect_b32 s34, -1, 0
	s_bfe_u32 s0, ttmp6, 0x4000c
	s_min_i32 s35, s6, 4
	s_add_co_i32 s0, s0, 1
	s_and_b32 s6, ttmp6, 15
	s_mul_i32 s0, ttmp9, s0
	s_lshl_b64 s[30:31], s[8:9], 3
	s_add_co_i32 s18, s12, -1
	s_add_co_i32 s36, s35, -1
	s_add_co_i32 s6, s6, s0
	s_cmp_eq_u32 s11, 0
	s_mov_b32 s0, s10
	s_cselect_b32 s28, ttmp9, s6
	s_clause 0x1
	s_load_b128 s[12:15], s[2:3], 0x20
	s_load_b128 s[8:11], s[2:3], 0x38
	s_lshl_b32 s37, s28, 2
	s_wait_xcnt 0x0
	s_load_b64 s[2:3], s[2:3], 0x58
	v_or_b32_e32 v2, s37, v8
	v_mul_u32_u24_e32 v9, s17, v8
	v_mul_u32_u24_e32 v6, s29, v6
	s_mov_b32 s22, s20
	s_mov_b32 s23, s20
	v_ashrrev_i32_e32 v3, 31, v2
	s_mov_b32 s24, s21
	v_add3_u32 v9, v9, v6, v7
	s_mov_b32 s25, s21
	s_mov_b32 s6, s21
	v_mul_u64_e32 v[4:5], s[0:1], v[2:3]
	s_sub_co_i32 s0, s7, s37
	s_cmp_ge_u32 s28, s18
	v_mov_b64_e32 v[2:3], 0xbf80000000000000
	s_cselect_b32 s17, s0, 4
	s_cmp_lg_u32 s5, 0x84
	s_mov_b32 s7, s20
	s_cselect_b32 s37, -1, 0
	s_cmp_lg_u32 s4, 0x6f
	s_wait_kmcnt 0x0
	s_add_nc_u64 s[4:5], s[10:11], s[30:31]
	s_cselect_b32 s38, -1, 0
	s_lshl_b64 s[0:1], s[14:15], 3
	s_lshl_b32 s14, s35, 5
	s_add_nc_u64 s[10:11], s[12:13], s[0:1]
	v_cmp_gt_i32_e64 s0, s35, v8
	v_add_nc_u64_e32 v[6:7], s[10:11], v[0:1]
	v_lshl_add_u32 v1, v9, 5, 0x80
	v_cmp_gt_i32_e64 s1, s17, v8
	s_lshl_b64 s[12:13], s[2:3], 3
	s_sub_co_i32 s39, s14, 32
	s_get_pc_i64 s[10:11]
	s_add_nc_u64 s[10:11], s[10:11], __const._ZL30rocblas_trsm_small_left_deviceILi4ELi4ELb0E19rocblas_complex_numIfES1_PKS1_PS1_Ev13rocblas_fill_18rocblas_operation_17rocblas_diagonal_iiT3_T4_lilT5_lili.step_sizes@rel64+4
	v_add_nc_u64_e32 v[6:7], 4, v[6:7]
	v_lshl_add_u64 v[4:5], v[4:5], 3, s[4:5]
	s_lshl_b64 s[4:5], s[8:9], 3
	s_lshl_b64 s[8:9], s[26:27], 3
	s_delay_alu instid0(VALU_DEP_1)
	v_add_nc_u64_e32 v[8:9], 4, v[4:5]
	s_branch .LBB134_4
.LBB134_2:                              ;   in Loop: Header=BB134_4 Depth=1
	s_add_co_i32 s16, s16, 0x10000
	s_delay_alu instid0(SALU_CYCLE_1) | instskip(SKIP_1) | instid1(SALU_CYCLE_1)
	s_cmp_ge_u32 s16, s33
	s_cselect_b32 s14, -1, 0
	s_or_not1_b32 s14, s14, exec_lo
.LBB134_3:                              ;   in Loop: Header=BB134_4 Depth=1
	s_wait_xcnt 0x0
	s_or_b32 exec_lo, exec_lo, s41
	s_delay_alu instid0(SALU_CYCLE_1) | instskip(NEXT) | instid1(SALU_CYCLE_1)
	s_and_b32 s14, exec_lo, s14
	s_or_b32 s40, s14, s40
	s_delay_alu instid0(SALU_CYCLE_1)
	s_and_not1_b32 exec_lo, exec_lo, s40
	s_cbranch_execz .LBB134_87
.LBB134_4:                              ; =>This Loop Header: Depth=1
                                        ;     Child Loop BB134_7 Depth 2
                                        ;     Child Loop BB134_23 Depth 2
                                        ;       Child Loop BB134_26 Depth 3
                                        ;         Child Loop BB134_28 Depth 4
                                        ;         Child Loop BB134_32 Depth 4
                                        ;         Child Loop BB134_36 Depth 4
                                        ;           Child Loop BB134_38 Depth 5
                                        ;           Child Loop BB134_44 Depth 5
                                        ;         Child Loop BB134_47 Depth 4
                                        ;           Child Loop BB134_49 Depth 5
                                        ;     Child Loop BB134_57 Depth 2
                                        ;       Child Loop BB134_60 Depth 3
                                        ;         Child Loop BB134_62 Depth 4
                                        ;         Child Loop BB134_66 Depth 4
	;; [unrolled: 1-line block ×3, first 2 shown]
                                        ;           Child Loop BB134_72 Depth 5
                                        ;           Child Loop BB134_78 Depth 5
                                        ;         Child Loop BB134_81 Depth 4
                                        ;           Child Loop BB134_83 Depth 5
	s_mov_b32 s17, s19
	s_and_saveexec_b32 s14, s0
	s_cbranch_execz .LBB134_19
; %bb.5:                                ;   in Loop: Header=BB134_4 Depth=1
	v_mad_nc_u64_u32 v[12:13], s4, s16, v[6:7]
	v_mov_b32_e32 v16, v0
	s_mov_b32 s15, s35
	s_delay_alu instid0(VALU_DEP_2)
	v_mad_u32 v13, s5, s16, v13
	s_branch .LBB134_7
.LBB134_6:                              ;   in Loop: Header=BB134_7 Depth=2
	global_load_b32 v14, v[12:13], off offset:-4
	s_wait_xcnt 0x0
	v_add_nc_u64_e32 v[12:13], s[8:9], v[12:13]
	s_add_co_i32 s15, s15, -1
	s_delay_alu instid0(SALU_CYCLE_1)
	s_cmp_eq_u32 s15, 0
	s_wait_loadcnt 0x0
	ds_store_b64 v16, v[14:15]
	v_add_nc_u32_e32 v16, 32, v16
	s_cbranch_scc1 .LBB134_11
.LBB134_7:                              ;   Parent Loop BB134_4 Depth=1
                                        ; =>  This Inner Loop Header: Depth=2
	s_and_b32 vcc_lo, exec_lo, s34
	s_mov_b32 s18, -1
                                        ; implicit-def: $vgpr15
	s_cbranch_vccz .LBB134_9
; %bb.8:                                ;   in Loop: Header=BB134_7 Depth=2
	global_load_b32 v15, v[12:13], off
	s_mov_b32 s18, 0
.LBB134_9:                              ;   in Loop: Header=BB134_7 Depth=2
	s_delay_alu instid0(SALU_CYCLE_1)
	s_and_not1_b32 vcc_lo, exec_lo, s18
	s_cbranch_vccnz .LBB134_6
; %bb.10:                               ;   in Loop: Header=BB134_7 Depth=2
	global_load_b32 v14, v[12:13], off
	s_wait_loadcnt 0x0
	v_xor_b32_e32 v15, 0x80000000, v14
	s_branch .LBB134_6
.LBB134_11:                             ;   in Loop: Header=BB134_4 Depth=1
	s_and_b32 vcc_lo, exec_lo, s37
	s_mov_b32 s15, -1
	s_cbranch_vccz .LBB134_17
; %bb.12:                               ;   in Loop: Header=BB134_4 Depth=1
	ds_load_b64 v[12:13], v24
                                        ; implicit-def: $vgpr14_vgpr15
	s_wait_dscnt 0x0
	v_cmp_ngt_f32_e64 s15, |v12|, |v13|
	s_and_saveexec_b32 s18, s15
	s_delay_alu instid0(SALU_CYCLE_1)
	s_xor_b32 s15, exec_lo, s18
	s_cbranch_execz .LBB134_14
; %bb.13:                               ;   in Loop: Header=BB134_4 Depth=1
	v_div_scale_f32 v14, null, v13, v13, v12
	v_div_scale_f32 v17, vcc_lo, v12, v13, v12
	s_delay_alu instid0(VALU_DEP_2) | instskip(SKIP_1) | instid1(TRANS32_DEP_1)
	v_rcp_f32_e32 v15, v14
	v_nop
	v_fma_f32 v16, -v14, v15, 1.0
	s_delay_alu instid0(VALU_DEP_1) | instskip(NEXT) | instid1(VALU_DEP_1)
	v_fmac_f32_e32 v15, v16, v15
	v_mul_f32_e32 v16, v17, v15
	s_delay_alu instid0(VALU_DEP_1) | instskip(NEXT) | instid1(VALU_DEP_1)
	v_fma_f32 v18, -v14, v16, v17
	v_fmac_f32_e32 v16, v18, v15
	s_delay_alu instid0(VALU_DEP_1) | instskip(NEXT) | instid1(VALU_DEP_1)
	v_fma_f32 v14, -v14, v16, v17
	v_div_fmas_f32 v14, v14, v15, v16
	s_delay_alu instid0(VALU_DEP_1) | instskip(NEXT) | instid1(VALU_DEP_1)
	v_div_fixup_f32 v14, v14, v13, v12
	v_fmac_f32_e32 v13, v12, v14
	s_delay_alu instid0(VALU_DEP_1) | instskip(SKIP_1) | instid1(VALU_DEP_2)
	v_div_scale_f32 v12, null, v13, v13, 1.0
	v_div_scale_f32 v17, vcc_lo, 1.0, v13, 1.0
	v_rcp_f32_e32 v15, v12
	v_nop
	s_delay_alu instid0(TRANS32_DEP_1) | instskip(NEXT) | instid1(VALU_DEP_1)
	v_fma_f32 v16, -v12, v15, 1.0
	v_fmac_f32_e32 v15, v16, v15
	s_delay_alu instid0(VALU_DEP_1) | instskip(NEXT) | instid1(VALU_DEP_1)
	v_mul_f32_e32 v16, v17, v15
	v_fma_f32 v18, -v12, v16, v17
	s_delay_alu instid0(VALU_DEP_1) | instskip(NEXT) | instid1(VALU_DEP_1)
	v_fmac_f32_e32 v16, v18, v15
	v_fma_f32 v12, -v12, v16, v17
	s_delay_alu instid0(VALU_DEP_1) | instskip(SKIP_1) | instid1(VALU_DEP_2)
	v_div_fmas_f32 v12, v12, v15, v16
	v_mul_f32_e32 v15, 0, v14
	v_div_fixup_f32 v12, v12, v13, 1.0
	s_delay_alu instid0(VALU_DEP_2) | instskip(NEXT) | instid1(VALU_DEP_1)
	v_pk_add_f32 v[14:15], v[14:15], v[2:3]
	v_pk_mul_f32 v[14:15], v[14:15], v[12:13] op_sel_hi:[1,0]
                                        ; implicit-def: $vgpr12_vgpr13
.LBB134_14:                             ;   in Loop: Header=BB134_4 Depth=1
	s_and_not1_saveexec_b32 s15, s15
	s_cbranch_execz .LBB134_16
; %bb.15:                               ;   in Loop: Header=BB134_4 Depth=1
	v_div_scale_f32 v14, null, v12, v12, v13
	v_div_scale_f32 v17, vcc_lo, v13, v12, v13
	s_delay_alu instid0(VALU_DEP_2) | instskip(SKIP_1) | instid1(TRANS32_DEP_1)
	v_rcp_f32_e32 v15, v14
	v_nop
	v_fma_f32 v16, -v14, v15, 1.0
	s_delay_alu instid0(VALU_DEP_1) | instskip(NEXT) | instid1(VALU_DEP_1)
	v_fmac_f32_e32 v15, v16, v15
	v_mul_f32_e32 v16, v17, v15
	s_delay_alu instid0(VALU_DEP_1) | instskip(NEXT) | instid1(VALU_DEP_1)
	v_fma_f32 v18, -v14, v16, v17
	v_fmac_f32_e32 v16, v18, v15
	s_delay_alu instid0(VALU_DEP_1) | instskip(NEXT) | instid1(VALU_DEP_1)
	v_fma_f32 v14, -v14, v16, v17
	v_div_fmas_f32 v14, v14, v15, v16
	s_delay_alu instid0(VALU_DEP_1) | instskip(NEXT) | instid1(VALU_DEP_1)
	v_div_fixup_f32 v15, v14, v12, v13
	v_fmac_f32_e32 v12, v13, v15
	s_delay_alu instid0(VALU_DEP_1) | instskip(SKIP_1) | instid1(VALU_DEP_2)
	v_div_scale_f32 v13, null, v12, v12, 1.0
	v_div_scale_f32 v17, vcc_lo, 1.0, v12, 1.0
	v_rcp_f32_e32 v14, v13
	v_nop
	s_delay_alu instid0(TRANS32_DEP_1) | instskip(NEXT) | instid1(VALU_DEP_1)
	v_fma_f32 v16, -v13, v14, 1.0
	v_fmac_f32_e32 v14, v16, v14
	s_delay_alu instid0(VALU_DEP_1) | instskip(NEXT) | instid1(VALU_DEP_1)
	v_mul_f32_e32 v16, v17, v14
	v_fma_f32 v18, -v13, v16, v17
	s_delay_alu instid0(VALU_DEP_1) | instskip(NEXT) | instid1(VALU_DEP_1)
	v_fmac_f32_e32 v16, v18, v14
	v_dual_fma_f32 v13, -v13, v16, v17 :: v_dual_mul_f32 v17, 0, v15
	v_sub_f32_e32 v15, 0, v15
	s_delay_alu instid0(VALU_DEP_2) | instskip(NEXT) | instid1(VALU_DEP_3)
	v_div_fmas_f32 v13, v13, v14, v16
	v_add_f32_e32 v14, 1.0, v17
	s_delay_alu instid0(VALU_DEP_2) | instskip(NEXT) | instid1(VALU_DEP_1)
	v_div_fixup_f32 v12, v13, v12, 1.0
	v_pk_mul_f32 v[14:15], v[14:15], v[12:13] op_sel_hi:[1,0]
.LBB134_16:                             ;   in Loop: Header=BB134_4 Depth=1
	s_or_b32 exec_lo, exec_lo, s15
	s_mov_b32 s15, 0
	ds_store_b64 v24, v[14:15]
.LBB134_17:                             ;   in Loop: Header=BB134_4 Depth=1
	s_and_b32 vcc_lo, exec_lo, s15
	s_cbranch_vccz .LBB134_19
; %bb.18:                               ;   in Loop: Header=BB134_4 Depth=1
	ds_store_b64 v24, v[10:11]
.LBB134_19:                             ;   in Loop: Header=BB134_4 Depth=1
	s_or_b32 exec_lo, exec_lo, s14
	s_mov_b32 s14, -1
	s_wait_dscnt 0x0
	; wave barrier
	s_and_saveexec_b32 s41, s1
	s_cbranch_execz .LBB134_3
; %bb.20:                               ;   in Loop: Header=BB134_4 Depth=1
	s_mul_u64 s[14:15], s[2:3], s[16:17]
	s_and_not1_b32 vcc_lo, exec_lo, s38
	v_lshl_add_u64 v[12:13], s[14:15], 3, v[4:5]
	s_mul_u64 s[14:15], s[12:13], s[16:17]
	s_mov_b32 s17, -1
	s_cbranch_vccnz .LBB134_54
; %bb.21:                               ;   in Loop: Header=BB134_4 Depth=1
	v_add_nc_u64_e32 v[14:15], s[14:15], v[8:9]
	s_mov_b32 s17, 0
	s_mov_b32 s26, 0
	s_branch .LBB134_23
.LBB134_22:                             ;   in Loop: Header=BB134_23 Depth=2
	s_cmp_lt_i32 s26, s35
	s_cselect_b32 s18, -1, 0
	s_add_co_i32 s27, s17, 1
	s_cmp_lt_u32 s17, 2
	s_wait_xcnt 0x0
	s_cselect_b32 s17, -1, 0
	s_delay_alu instid0(SALU_CYCLE_1) | instskip(NEXT) | instid1(SALU_CYCLE_1)
	s_and_b32 s17, s18, s17
	s_and_b32 vcc_lo, exec_lo, s17
	s_mov_b32 s17, s27
	s_cbranch_vccz .LBB134_53
.LBB134_23:                             ;   Parent Loop BB134_4 Depth=1
                                        ; =>  This Loop Header: Depth=2
                                        ;       Child Loop BB134_26 Depth 3
                                        ;         Child Loop BB134_28 Depth 4
                                        ;         Child Loop BB134_32 Depth 4
	;; [unrolled: 1-line block ×3, first 2 shown]
                                        ;           Child Loop BB134_38 Depth 5
                                        ;           Child Loop BB134_44 Depth 5
                                        ;         Child Loop BB134_47 Depth 4
                                        ;           Child Loop BB134_49 Depth 5
	s_load_b32 s28, s[10:11], s17 offset:0x0 scale_offset
	s_wait_kmcnt 0x0
	s_add_co_i32 s42, s28, -1
	s_delay_alu instid0(SALU_CYCLE_1) | instskip(NEXT) | instid1(SALU_CYCLE_1)
	s_add_co_i32 s18, s42, s26
	s_cmp_ge_i32 s18, s35
	s_cbranch_scc1 .LBB134_22
; %bb.24:                               ;   in Loop: Header=BB134_23 Depth=2
	s_add_co_i32 s18, s17, -1
	s_max_i32 s43, s28, 1
	s_cmp_gt_u32 s18, 1
	s_mul_i32 s47, s26, 40
	s_cselect_b32 s44, -1, 0
	s_and_b32 s45, s43, 0x7ffffffe
	s_mul_i32 s48, s28, 40
	s_cmp_lg_u32 s43, s45
	s_cselect_b32 s46, -1, 0
	s_ashr_i32 s27, s26, 31
	s_ashr_i32 s29, s28, 31
	s_branch .LBB134_26
.LBB134_25:                             ;   in Loop: Header=BB134_26 Depth=3
	s_add_nc_u64 s[26:27], s[26:27], s[28:29]
	s_add_co_i32 s47, s47, s48
	s_add_co_i32 s18, s42, s26
	s_delay_alu instid0(SALU_CYCLE_1)
	s_cmp_ge_i32 s18, s35
	s_cbranch_scc1 .LBB134_22
.LBB134_26:                             ;   Parent Loop BB134_4 Depth=1
                                        ;     Parent Loop BB134_23 Depth=2
                                        ; =>    This Loop Header: Depth=3
                                        ;         Child Loop BB134_28 Depth 4
                                        ;         Child Loop BB134_32 Depth 4
	;; [unrolled: 1-line block ×3, first 2 shown]
                                        ;           Child Loop BB134_38 Depth 5
                                        ;           Child Loop BB134_44 Depth 5
                                        ;         Child Loop BB134_47 Depth 4
                                        ;           Child Loop BB134_49 Depth 5
	s_and_not1_b32 vcc_lo, exec_lo, s44
	s_cbranch_vccnz .LBB134_30
; %bb.27:                               ;   in Loop: Header=BB134_26 Depth=3
	s_wait_xcnt 0x0
	v_mov_b32_e32 v16, v1
	s_mov_b32 s30, s26
	s_mov_b32 s31, s26
	;; [unrolled: 1-line block ×5, first 2 shown]
.LBB134_28:                             ;   Parent Loop BB134_4 Depth=1
                                        ;     Parent Loop BB134_23 Depth=2
                                        ;       Parent Loop BB134_26 Depth=3
                                        ; =>      This Inner Loop Header: Depth=4
	s_add_co_i32 s52, s49, s31
	s_add_co_i32 s54, s50, s30
	s_ashr_i32 s53, s52, 31
	s_ashr_i32 s55, s54, 31
	v_lshl_add_u64 v[18:19], s[52:53], 3, v[12:13]
	v_lshl_add_u64 v[20:21], s[54:55], 3, v[12:13]
	s_add_co_i32 s51, s51, -2
	s_add_co_i32 s50, s50, 2
	s_add_co_i32 s49, s49, 2
	s_clause 0x1
	global_load_b64 v[22:23], v[18:19], off
	global_load_b64 v[26:27], v[20:21], off
	s_wait_xcnt 0x1
	v_mov_b64_e32 v[18:19], s[24:25]
	s_wait_xcnt 0x0
	v_mov_b64_e32 v[20:21], s[22:23]
	s_mov_b32 s18, s45
	s_cmp_lg_u32 s51, 0
	s_mov_b32 s52, s46
	s_wait_loadcnt 0x0
	v_dual_mov_b32 v29, v22 :: v_dual_mov_b32 v22, v27
	v_mov_b32_e32 v28, v26
	s_delay_alu instid0(VALU_DEP_2) | instskip(SKIP_1) | instid1(VALU_DEP_2)
	v_pk_mul_f32 v[26:27], v[22:23], v[18:19]
	v_pk_mul_f32 v[22:23], v[22:23], v[20:21]
	v_pk_fma_f32 v[26:27], v[28:29], v[20:21], v[26:27] neg_lo:[0,0,1] neg_hi:[0,0,1]
	s_delay_alu instid0(VALU_DEP_2) | instskip(NEXT) | instid1(VALU_DEP_1)
	v_pk_fma_f32 v[20:21], v[28:29], v[18:19], v[22:23]
	v_dual_mov_b32 v18, v26 :: v_dual_mov_b32 v19, v20
	s_delay_alu instid0(VALU_DEP_3)
	v_mov_b32_e32 v20, v27
	ds_store_b128 v16, v[18:21]
	v_add_nc_u32_e32 v16, 16, v16
	s_cbranch_scc1 .LBB134_28
; %bb.29:                               ;   in Loop: Header=BB134_26 Depth=3
	s_and_b32 vcc_lo, exec_lo, s52
	s_cbranch_vccnz .LBB134_31
	s_branch .LBB134_33
.LBB134_30:                             ;   in Loop: Header=BB134_26 Depth=3
	s_mov_b32 s18, 0
	s_cbranch_execz .LBB134_33
.LBB134_31:                             ;   in Loop: Header=BB134_26 Depth=3
	s_add_nc_u64 s[30:31], s[26:27], s[18:19]
	v_lshl_add_u32 v18, s18, 3, v1
	s_wait_xcnt 0x0
	v_lshl_add_u64 v[16:17], s[30:31], 3, v[14:15]
	s_sub_co_i32 s18, s43, s18
.LBB134_32:                             ;   Parent Loop BB134_4 Depth=1
                                        ;     Parent Loop BB134_23 Depth=2
                                        ;       Parent Loop BB134_26 Depth=3
                                        ; =>      This Inner Loop Header: Depth=4
	global_load_b64 v[20:21], v[16:17], off offset:-4
	v_mov_b64_e32 v[22:23], s[6:7]
	v_mov_b64_e32 v[26:27], s[20:21]
	s_wait_xcnt 0x0
	v_add_nc_u64_e32 v[16:17], 8, v[16:17]
	s_add_co_i32 s18, s18, -1
	s_delay_alu instid0(SALU_CYCLE_1) | instskip(SKIP_2) | instid1(VALU_DEP_1)
	s_cmp_eq_u32 s18, 0
	s_wait_loadcnt 0x0
	v_pk_mul_f32 v[22:23], v[20:21], v[22:23] op_sel:[1,0]
	v_pk_fma_f32 v[28:29], v[20:21], v[26:27], v[22:23] op_sel_hi:[0,1,1]
	v_pk_fma_f32 v[20:21], v[20:21], v[26:27], v[22:23] neg_lo:[0,0,1] neg_hi:[0,0,1]
	s_delay_alu instid0(VALU_DEP_2)
	v_mov_b32_e32 v21, v29
	ds_store_b64 v18, v[20:21]
	v_add_nc_u32_e32 v18, 8, v18
	s_cbranch_scc0 .LBB134_32
.LBB134_33:                             ;   in Loop: Header=BB134_26 Depth=3
	s_cmp_lt_i32 s26, 1
	s_cbranch_scc1 .LBB134_45
; %bb.34:                               ;   in Loop: Header=BB134_26 Depth=3
	s_mov_b32 s31, 0
	s_mov_b32 s30, s26
	;; [unrolled: 1-line block ×4, first 2 shown]
	s_branch .LBB134_36
.LBB134_35:                             ;   in Loop: Header=BB134_36 Depth=4
	s_add_co_i32 s18, s18, 1
	s_add_co_i32 s31, s31, 8
	s_cmp_eq_u32 s18, s26
	s_cbranch_scc1 .LBB134_45
.LBB134_36:                             ;   Parent Loop BB134_4 Depth=1
                                        ;     Parent Loop BB134_23 Depth=2
                                        ;       Parent Loop BB134_26 Depth=3
                                        ; =>      This Loop Header: Depth=4
                                        ;           Child Loop BB134_38 Depth 5
                                        ;           Child Loop BB134_44 Depth 5
	s_wait_xcnt 0x0
	v_lshl_add_u64 v[16:17], s[18:19], 3, v[12:13]
	s_and_b32 vcc_lo, exec_lo, s44
	global_load_b64 v[16:17], v[16:17], off
	s_cbranch_vccz .LBB134_40
; %bb.37:                               ;   in Loop: Header=BB134_36 Depth=4
	s_wait_loadcnt 0x0
	v_dual_mov_b32 v20, v16 :: v_dual_mov_b32 v21, v16
	v_dual_mov_b32 v18, v17 :: v_dual_mov_b32 v22, v17
	;; [unrolled: 1-line block ×3, first 2 shown]
	s_lshl_b32 s50, s18, 3
	s_mov_b32 s51, 1
	s_mov_b32 s52, 0
	;; [unrolled: 1-line block ×3, first 2 shown]
.LBB134_38:                             ;   Parent Loop BB134_4 Depth=1
                                        ;     Parent Loop BB134_23 Depth=2
                                        ;       Parent Loop BB134_26 Depth=3
                                        ;         Parent Loop BB134_36 Depth=4
                                        ; =>        This Inner Loop Header: Depth=5
	s_add_co_i32 s54, s52, s30
	s_add_co_i32 s55, s51, s49
	s_lshl_b32 s54, s54, 5
	s_lshl_b32 s55, s55, 5
	s_add_co_i32 s54, s50, s54
	s_add_co_i32 s55, s50, s55
	s_delay_alu instid0(SALU_CYCLE_1)
	v_dual_mov_b32 v25, s54 :: v_dual_mov_b32 v26, s55
	s_add_co_i32 s53, s53, -2
	s_add_co_i32 s52, s52, 2
	s_add_co_i32 s51, s51, 2
	ds_load_b64 v[30:31], v25
	ds_load_b64 v[32:33], v26
	ds_load_b128 v[26:29], v19
	s_cmp_lg_u32 s53, 0
	s_wait_dscnt 0x1
	v_dual_mov_b32 v36, v30 :: v_dual_mov_b32 v37, v32
	s_wait_dscnt 0x0
	v_dual_mov_b32 v32, v31 :: v_dual_mov_b32 v34, v26
	v_dual_mov_b32 v35, v28 :: v_dual_mov_b32 v28, v27
	s_delay_alu instid0(VALU_DEP_2) | instskip(SKIP_1) | instid1(VALU_DEP_2)
	v_pk_mul_f32 v[30:31], v[32:33], v[22:23]
	v_pk_mul_f32 v[32:33], v[32:33], v[20:21]
	v_pk_fma_f32 v[26:27], v[36:37], v[20:21], v[30:31] neg_lo:[0,0,1] neg_hi:[0,0,1]
	s_delay_alu instid0(VALU_DEP_2) | instskip(NEXT) | instid1(VALU_DEP_2)
	v_pk_fma_f32 v[30:31], v[36:37], v[22:23], v[32:33]
	v_pk_add_f32 v[32:33], v[34:35], v[26:27] neg_lo:[0,1] neg_hi:[0,1]
	s_delay_alu instid0(VALU_DEP_2) | instskip(NEXT) | instid1(VALU_DEP_1)
	v_pk_add_f32 v[28:29], v[28:29], v[30:31] neg_lo:[0,1] neg_hi:[0,1]
	v_dual_mov_b32 v26, v32 :: v_dual_mov_b32 v27, v28
	s_delay_alu instid0(VALU_DEP_3)
	v_mov_b32_e32 v28, v33
	ds_store_b128 v19, v[26:29]
	v_add_nc_u32_e32 v19, 16, v19
	s_cbranch_scc1 .LBB134_38
; %bb.39:                               ;   in Loop: Header=BB134_36 Depth=4
	s_mov_b32 s50, s46
	s_mov_b32 s51, s45
	s_branch .LBB134_42
.LBB134_40:                             ;   in Loop: Header=BB134_36 Depth=4
	s_wait_loadcnt 0x0
	v_mov_b32_e32 v18, v17
	s_mov_b32 s50, 0
	s_mov_b32 s51, s45
	s_cbranch_execz .LBB134_42
; %bb.41:                               ;   in Loop: Header=BB134_36 Depth=4
	s_mov_b32 s50, -1
	s_mov_b32 s51, 0
.LBB134_42:                             ;   in Loop: Header=BB134_36 Depth=4
	s_and_not1_b32 vcc_lo, exec_lo, s50
	s_cbranch_vccnz .LBB134_35
; %bb.43:                               ;   in Loop: Header=BB134_36 Depth=4
	s_add_co_i32 s50, s26, s51
	s_wait_xcnt 0x0
	v_dual_mov_b32 v19, v17 :: v_dual_mov_b32 v17, v16
	v_lshl_add_u32 v20, s51, 3, v1
	s_lshl_b32 s52, s50, 5
	s_sub_co_i32 s50, s43, s51
	s_add_co_i32 s51, s31, s52
.LBB134_44:                             ;   Parent Loop BB134_4 Depth=1
                                        ;     Parent Loop BB134_23 Depth=2
                                        ;       Parent Loop BB134_26 Depth=3
                                        ;         Parent Loop BB134_36 Depth=4
                                        ; =>        This Inner Loop Header: Depth=5
	s_delay_alu instid0(SALU_CYCLE_1)
	v_mov_b32_e32 v21, s51
	s_add_co_i32 s50, s50, -1
	s_add_co_i32 s51, s51, 32
	s_cmp_eq_u32 s50, 0
	ds_load_b64 v[22:23], v21
	ds_load_b64 v[26:27], v20
	s_wait_dscnt 0x1
	v_pk_mul_f32 v[28:29], v[22:23], v[18:19] op_sel:[1,0] op_sel_hi:[0,1]
	s_delay_alu instid0(VALU_DEP_1) | instskip(SKIP_1) | instid1(VALU_DEP_2)
	v_pk_fma_f32 v[30:31], v[22:23], v[16:17], v[28:29]
	v_pk_fma_f32 v[22:23], v[22:23], v[16:17], v[28:29] neg_lo:[0,0,1] neg_hi:[0,0,1]
	v_mov_b32_e32 v23, v31
	s_wait_dscnt 0x0
	s_delay_alu instid0(VALU_DEP_1)
	v_pk_add_f32 v[22:23], v[26:27], v[22:23] neg_lo:[0,1] neg_hi:[0,1]
	ds_store_b64 v20, v[22:23]
	v_add_nc_u32_e32 v20, 8, v20
	s_cbranch_scc0 .LBB134_44
	s_branch .LBB134_35
.LBB134_45:                             ;   in Loop: Header=BB134_26 Depth=3
	s_mov_b32 s18, 0
	s_mov_b32 s49, s47
	s_branch .LBB134_47
.LBB134_46:                             ;   in Loop: Header=BB134_47 Depth=4
	s_mul_i32 s31, s30, 40
	s_add_co_i32 s18, s18, 1
	s_wait_xcnt 0x0
	v_mov_b32_e32 v17, s31
	s_ashr_i32 s31, s30, 31
	s_add_co_i32 s49, s49, 32
	s_cmp_eq_u32 s18, s43
	ds_load_b64 v[20:21], v17
	s_wait_dscnt 0x0
	v_pk_mul_f32 v[22:23], v[20:21], v[18:19] op_sel:[1,0] op_sel_hi:[0,0]
	s_delay_alu instid0(VALU_DEP_1) | instskip(SKIP_2) | instid1(VALU_DEP_3)
	v_pk_fma_f32 v[26:27], v[20:21], v[16:17], v[22:23] op_sel_hi:[1,0,1]
	v_pk_fma_f32 v[16:17], v[20:21], v[16:17], v[22:23] neg_lo:[0,0,1] neg_hi:[0,0,1]
	v_lshl_add_u64 v[20:21], s[30:31], 3, v[12:13]
	v_mov_b32_e32 v17, v27
	ds_store_b64 v19, v[16:17]
	global_store_b64 v[20:21], v[16:17], off
	s_cbranch_scc1 .LBB134_25
.LBB134_47:                             ;   Parent Loop BB134_4 Depth=1
                                        ;     Parent Loop BB134_23 Depth=2
                                        ;       Parent Loop BB134_26 Depth=3
                                        ; =>      This Loop Header: Depth=4
                                        ;           Child Loop BB134_49 Depth 5
	v_lshl_add_u32 v19, s18, 3, v1
	s_cmp_lg_u32 s18, 0
	s_cbranch_scc0 .LBB134_51
; %bb.48:                               ;   in Loop: Header=BB134_47 Depth=4
	s_wait_xcnt 0x0
	ds_load_b64 v[16:17], v19
	v_mov_b32_e32 v18, v1
	s_mov_b32 s30, s49
	s_mov_b32 s31, s18
.LBB134_49:                             ;   Parent Loop BB134_4 Depth=1
                                        ;     Parent Loop BB134_23 Depth=2
                                        ;       Parent Loop BB134_26 Depth=3
                                        ;         Parent Loop BB134_47 Depth=4
                                        ; =>        This Inner Loop Header: Depth=5
	v_mov_b32_e32 v22, s30
	s_add_co_i32 s31, s31, -1
	s_add_co_i32 s30, s30, 8
	s_cmp_eq_u32 s31, 0
	ds_load_b64 v[20:21], v18
	ds_load_b64 v[22:23], v22
	v_add_nc_u32_e32 v18, 8, v18
	s_wait_dscnt 0x0
	v_pk_mul_f32 v[26:27], v[22:23], v[20:21] op_sel:[1,1] op_sel_hi:[0,1]
	s_delay_alu instid0(VALU_DEP_1) | instskip(SKIP_1) | instid1(VALU_DEP_2)
	v_pk_fma_f32 v[28:29], v[22:23], v[20:21], v[26:27] op_sel_hi:[1,0,1]
	v_pk_fma_f32 v[20:21], v[22:23], v[20:21], v[26:27] neg_lo:[0,0,1] neg_hi:[0,0,1]
	v_mov_b32_e32 v21, v29
	s_delay_alu instid0(VALU_DEP_1)
	v_pk_add_f32 v[16:17], v[16:17], v[20:21] neg_lo:[0,1] neg_hi:[0,1]
	ds_store_b64 v19, v[16:17]
	s_cbranch_scc0 .LBB134_49
; %bb.50:                               ;   in Loop: Header=BB134_47 Depth=4
	v_mov_b32_e32 v18, v17
	s_add_co_i32 s30, s18, s26
	s_branch .LBB134_46
.LBB134_51:                             ;   in Loop: Header=BB134_47 Depth=4
                                        ; implicit-def: $vgpr16
                                        ; implicit-def: $vgpr18
                                        ; implicit-def: $sgpr30
	s_cbranch_execz .LBB134_46
; %bb.52:                               ;   in Loop: Header=BB134_47 Depth=4
	s_wait_xcnt 0x0
	ds_load_b64 v[16:17], v1
	s_mov_b32 s30, s26
	s_wait_dscnt 0x0
	v_mov_b32_e32 v18, v17
	s_branch .LBB134_46
.LBB134_53:                             ;   in Loop: Header=BB134_4 Depth=1
	s_mov_b32 s17, 0
.LBB134_54:                             ;   in Loop: Header=BB134_4 Depth=1
	s_delay_alu instid0(SALU_CYCLE_1)
	s_and_b32 vcc_lo, exec_lo, s17
	s_cbranch_vccz .LBB134_2
; %bb.55:                               ;   in Loop: Header=BB134_4 Depth=1
	v_add_nc_u64_e32 v[14:15], s[14:15], v[8:9]
	s_mov_b32 s17, 0
	s_mov_b32 s14, s36
	s_branch .LBB134_57
.LBB134_56:                             ;   in Loop: Header=BB134_57 Depth=2
	s_cmp_gt_i32 s14, -1
	s_cselect_b32 s15, -1, 0
	s_add_co_i32 s18, s17, 1
	s_cmp_lt_u32 s17, 2
	s_cselect_b32 s17, -1, 0
	s_delay_alu instid0(SALU_CYCLE_1)
	s_and_b32 s15, s15, s17
	s_mov_b32 s17, s18
	s_and_not1_b32 vcc_lo, exec_lo, s15
	s_cbranch_vccnz .LBB134_2
.LBB134_57:                             ;   Parent Loop BB134_4 Depth=1
                                        ; =>  This Loop Header: Depth=2
                                        ;       Child Loop BB134_60 Depth 3
                                        ;         Child Loop BB134_62 Depth 4
                                        ;         Child Loop BB134_66 Depth 4
	;; [unrolled: 1-line block ×3, first 2 shown]
                                        ;           Child Loop BB134_72 Depth 5
                                        ;           Child Loop BB134_78 Depth 5
                                        ;         Child Loop BB134_81 Depth 4
                                        ;           Child Loop BB134_83 Depth 5
	s_load_b32 s30, s[10:11], s17 offset:0x0 scale_offset
	s_wait_kmcnt 0x0
	s_add_co_i32 s31, s30, -1
	s_delay_alu instid0(SALU_CYCLE_1)
	s_cmp_lt_i32 s14, s31
	s_cbranch_scc1 .LBB134_56
; %bb.58:                               ;   in Loop: Header=BB134_57 Depth=2
	s_add_co_i32 s15, s17, -1
	s_max_i32 s42, s30, 1
	s_cmp_gt_u32 s15, 1
	s_mul_i32 s48, s14, 40
	s_cselect_b32 s43, -1, 0
	s_and_b32 s44, s42, 0x7ffffffe
	s_mul_i32 s49, s30, 0xffffffd8
	s_cmp_lg_u32 s42, s44
	s_cselect_b32 s45, -1, 0
	s_lshl_b32 s15, s14, 3
	s_lshl_b32 s18, s30, 3
	s_add_co_i32 s46, s39, s15
	s_sub_co_i32 s47, 0, s18
	s_branch .LBB134_60
.LBB134_59:                             ;   in Loop: Header=BB134_60 Depth=3
	s_sub_co_i32 s14, s14, s30
	s_add_co_i32 s46, s46, s47
	s_add_co_i32 s48, s48, s49
	s_cmp_lt_i32 s14, s31
	s_cbranch_scc1 .LBB134_56
.LBB134_60:                             ;   Parent Loop BB134_4 Depth=1
                                        ;     Parent Loop BB134_57 Depth=2
                                        ; =>    This Loop Header: Depth=3
                                        ;         Child Loop BB134_62 Depth 4
                                        ;         Child Loop BB134_66 Depth 4
	;; [unrolled: 1-line block ×3, first 2 shown]
                                        ;           Child Loop BB134_72 Depth 5
                                        ;           Child Loop BB134_78 Depth 5
                                        ;         Child Loop BB134_81 Depth 4
                                        ;           Child Loop BB134_83 Depth 5
	s_and_not1_b32 vcc_lo, exec_lo, s43
	s_cbranch_vccnz .LBB134_64
; %bb.61:                               ;   in Loop: Header=BB134_60 Depth=3
	s_wait_xcnt 0x0
	v_mov_b32_e32 v16, v1
	s_mov_b32 s15, s14
	s_mov_b32 s26, 1
	;; [unrolled: 1-line block ×4, first 2 shown]
.LBB134_62:                             ;   Parent Loop BB134_4 Depth=1
                                        ;     Parent Loop BB134_57 Depth=2
                                        ;       Parent Loop BB134_60 Depth=3
                                        ; =>      This Inner Loop Header: Depth=4
	s_sub_co_i32 s50, s15, s26
	s_sub_co_i32 s52, s14, s27
	s_ashr_i32 s51, s50, 31
	s_ashr_i32 s53, s52, 31
	v_lshl_add_u64 v[18:19], s[50:51], 3, v[12:13]
	v_lshl_add_u64 v[20:21], s[52:53], 3, v[12:13]
	s_add_co_i32 s28, s28, -2
	s_add_co_i32 s27, s27, 2
	s_add_co_i32 s26, s26, 2
	s_clause 0x1
	global_load_b64 v[22:23], v[18:19], off
	global_load_b64 v[26:27], v[20:21], off
	s_wait_xcnt 0x1
	v_mov_b64_e32 v[18:19], s[24:25]
	s_wait_xcnt 0x0
	v_mov_b64_e32 v[20:21], s[22:23]
	s_mov_b32 s18, s44
	s_cmp_lg_u32 s28, 0
	s_mov_b32 s29, s45
	s_wait_loadcnt 0x0
	v_dual_mov_b32 v29, v22 :: v_dual_mov_b32 v22, v27
	v_mov_b32_e32 v28, v26
	s_delay_alu instid0(VALU_DEP_2) | instskip(SKIP_1) | instid1(VALU_DEP_2)
	v_pk_mul_f32 v[26:27], v[22:23], v[18:19]
	v_pk_mul_f32 v[22:23], v[22:23], v[20:21]
	v_pk_fma_f32 v[26:27], v[28:29], v[20:21], v[26:27] neg_lo:[0,0,1] neg_hi:[0,0,1]
	s_delay_alu instid0(VALU_DEP_2) | instskip(NEXT) | instid1(VALU_DEP_1)
	v_pk_fma_f32 v[20:21], v[28:29], v[18:19], v[22:23]
	v_dual_mov_b32 v18, v26 :: v_dual_mov_b32 v19, v20
	s_delay_alu instid0(VALU_DEP_3)
	v_mov_b32_e32 v20, v27
	ds_store_b128 v16, v[18:21]
	v_add_nc_u32_e32 v16, 16, v16
	s_cbranch_scc1 .LBB134_62
; %bb.63:                               ;   in Loop: Header=BB134_60 Depth=3
	s_and_b32 vcc_lo, exec_lo, s29
	s_ashr_i32 s15, s14, 31
	s_cbranch_vccnz .LBB134_65
	s_branch .LBB134_67
.LBB134_64:                             ;   in Loop: Header=BB134_60 Depth=3
	s_mov_b32 s18, 0
	s_ashr_i32 s15, s14, 31
	s_cbranch_execz .LBB134_67
.LBB134_65:                             ;   in Loop: Header=BB134_60 Depth=3
	s_lshl_b64 s[26:27], s[14:15], 3
	s_lshl_b64 s[28:29], s[18:19], 3
	v_lshl_add_u32 v18, s18, 3, v1
	s_sub_nc_u64 s[26:27], s[26:27], s[28:29]
	s_sub_co_i32 s18, s42, s18
	s_wait_xcnt 0x0
	v_add_nc_u64_e32 v[16:17], s[26:27], v[14:15]
.LBB134_66:                             ;   Parent Loop BB134_4 Depth=1
                                        ;     Parent Loop BB134_57 Depth=2
                                        ;       Parent Loop BB134_60 Depth=3
                                        ; =>      This Inner Loop Header: Depth=4
	global_load_b64 v[20:21], v[16:17], off offset:-4
	v_mov_b64_e32 v[22:23], s[6:7]
	v_mov_b64_e32 v[26:27], s[20:21]
	s_wait_xcnt 0x0
	v_add_nc_u64_e32 v[16:17], -8, v[16:17]
	s_add_co_i32 s18, s18, -1
	s_delay_alu instid0(SALU_CYCLE_1) | instskip(SKIP_2) | instid1(VALU_DEP_1)
	s_cmp_eq_u32 s18, 0
	s_wait_loadcnt 0x0
	v_pk_mul_f32 v[22:23], v[20:21], v[22:23] op_sel:[1,0]
	v_pk_fma_f32 v[28:29], v[20:21], v[26:27], v[22:23] op_sel_hi:[0,1,1]
	v_pk_fma_f32 v[20:21], v[20:21], v[26:27], v[22:23] neg_lo:[0,0,1] neg_hi:[0,0,1]
	s_delay_alu instid0(VALU_DEP_2)
	v_mov_b32_e32 v21, v29
	ds_store_b64 v18, v[20:21]
	v_add_nc_u32_e32 v18, 8, v18
	s_cbranch_scc0 .LBB134_66
.LBB134_67:                             ;   in Loop: Header=BB134_60 Depth=3
	s_cmp_le_i32 s36, s14
	s_cbranch_scc1 .LBB134_79
; %bb.68:                               ;   in Loop: Header=BB134_60 Depth=3
	s_mov_b32 s18, s14
	s_mov_b32 s28, s14
	;; [unrolled: 1-line block ×4, first 2 shown]
	s_branch .LBB134_70
.LBB134_69:                             ;   in Loop: Header=BB134_70 Depth=4
	s_add_co_i32 s26, s26, -1
	s_sub_co_i32 s29, s29, 32
	s_cmp_le_i32 s26, s14
	s_cbranch_scc1 .LBB134_79
.LBB134_70:                             ;   Parent Loop BB134_4 Depth=1
                                        ;     Parent Loop BB134_57 Depth=2
                                        ;       Parent Loop BB134_60 Depth=3
                                        ; =>      This Loop Header: Depth=4
                                        ;           Child Loop BB134_72 Depth 5
                                        ;           Child Loop BB134_78 Depth 5
	s_ashr_i32 s27, s26, 31
	s_and_b32 vcc_lo, exec_lo, s43
	s_wait_xcnt 0x0
	v_lshl_add_u64 v[16:17], s[26:27], 3, v[12:13]
	global_load_b64 v[16:17], v[16:17], off
	s_cbranch_vccz .LBB134_74
; %bb.71:                               ;   in Loop: Header=BB134_70 Depth=4
	s_wait_loadcnt 0x0
	v_dual_mov_b32 v20, v16 :: v_dual_mov_b32 v21, v16
	v_dual_mov_b32 v18, v17 :: v_dual_mov_b32 v22, v17
	;; [unrolled: 1-line block ×3, first 2 shown]
	s_lshl_b32 s27, s26, 5
	s_mov_b32 s50, 1
	s_mov_b32 s51, 0
	s_mov_b32 s52, s44
.LBB134_72:                             ;   Parent Loop BB134_4 Depth=1
                                        ;     Parent Loop BB134_57 Depth=2
                                        ;       Parent Loop BB134_60 Depth=3
                                        ;         Parent Loop BB134_70 Depth=4
                                        ; =>        This Inner Loop Header: Depth=5
	s_sub_co_i32 s53, s18, s51
	s_sub_co_i32 s54, s28, s50
	s_lshl_b32 s53, s53, 3
	s_lshl_b32 s54, s54, 3
	s_add_co_i32 s53, s27, s53
	s_add_co_i32 s54, s27, s54
	s_delay_alu instid0(SALU_CYCLE_1)
	v_dual_mov_b32 v25, s53 :: v_dual_mov_b32 v26, s54
	s_add_co_i32 s52, s52, -2
	s_add_co_i32 s51, s51, 2
	s_add_co_i32 s50, s50, 2
	ds_load_b64 v[30:31], v25
	ds_load_b64 v[32:33], v26
	ds_load_b128 v[26:29], v19
	s_cmp_lg_u32 s52, 0
	s_wait_dscnt 0x1
	v_dual_mov_b32 v36, v30 :: v_dual_mov_b32 v37, v32
	s_wait_dscnt 0x0
	v_dual_mov_b32 v32, v31 :: v_dual_mov_b32 v34, v26
	v_dual_mov_b32 v35, v28 :: v_dual_mov_b32 v28, v27
	s_delay_alu instid0(VALU_DEP_2) | instskip(SKIP_1) | instid1(VALU_DEP_2)
	v_pk_mul_f32 v[30:31], v[32:33], v[22:23]
	v_pk_mul_f32 v[32:33], v[32:33], v[20:21]
	v_pk_fma_f32 v[26:27], v[36:37], v[20:21], v[30:31] neg_lo:[0,0,1] neg_hi:[0,0,1]
	s_delay_alu instid0(VALU_DEP_2) | instskip(NEXT) | instid1(VALU_DEP_2)
	v_pk_fma_f32 v[30:31], v[36:37], v[22:23], v[32:33]
	v_pk_add_f32 v[32:33], v[34:35], v[26:27] neg_lo:[0,1] neg_hi:[0,1]
	s_delay_alu instid0(VALU_DEP_2) | instskip(NEXT) | instid1(VALU_DEP_1)
	v_pk_add_f32 v[28:29], v[28:29], v[30:31] neg_lo:[0,1] neg_hi:[0,1]
	v_dual_mov_b32 v26, v32 :: v_dual_mov_b32 v27, v28
	s_delay_alu instid0(VALU_DEP_3)
	v_mov_b32_e32 v28, v33
	ds_store_b128 v19, v[26:29]
	v_add_nc_u32_e32 v19, 16, v19
	s_cbranch_scc1 .LBB134_72
; %bb.73:                               ;   in Loop: Header=BB134_70 Depth=4
	s_mov_b32 s27, s45
	s_mov_b32 s50, s44
	s_branch .LBB134_76
.LBB134_74:                             ;   in Loop: Header=BB134_70 Depth=4
	s_wait_loadcnt 0x0
	v_mov_b32_e32 v18, v17
	s_mov_b32 s27, 0
	s_mov_b32 s50, s44
	s_cbranch_execz .LBB134_76
; %bb.75:                               ;   in Loop: Header=BB134_70 Depth=4
	s_mov_b32 s27, -1
	s_mov_b32 s50, 0
.LBB134_76:                             ;   in Loop: Header=BB134_70 Depth=4
	s_and_not1_b32 vcc_lo, exec_lo, s27
	s_cbranch_vccnz .LBB134_69
; %bb.77:                               ;   in Loop: Header=BB134_70 Depth=4
	s_lshl_b32 s51, s50, 3
	s_wait_xcnt 0x0
	v_dual_mov_b32 v19, v17 :: v_dual_mov_b32 v17, v16
	v_add_nc_u32_e32 v20, s51, v1
	s_sub_co_i32 s27, s42, s50
	s_sub_co_i32 s50, s29, s51
.LBB134_78:                             ;   Parent Loop BB134_4 Depth=1
                                        ;     Parent Loop BB134_57 Depth=2
                                        ;       Parent Loop BB134_60 Depth=3
                                        ;         Parent Loop BB134_70 Depth=4
                                        ; =>        This Inner Loop Header: Depth=5
	s_delay_alu instid0(SALU_CYCLE_1)
	v_mov_b32_e32 v21, s50
	s_add_co_i32 s27, s27, -1
	s_add_co_i32 s50, s50, -8
	s_cmp_eq_u32 s27, 0
	ds_load_b64 v[22:23], v21
	ds_load_b64 v[26:27], v20
	s_wait_dscnt 0x1
	v_pk_mul_f32 v[28:29], v[22:23], v[18:19] op_sel:[1,0] op_sel_hi:[0,1]
	s_delay_alu instid0(VALU_DEP_1) | instskip(SKIP_1) | instid1(VALU_DEP_2)
	v_pk_fma_f32 v[30:31], v[22:23], v[16:17], v[28:29]
	v_pk_fma_f32 v[22:23], v[22:23], v[16:17], v[28:29] neg_lo:[0,0,1] neg_hi:[0,0,1]
	v_mov_b32_e32 v23, v31
	s_wait_dscnt 0x0
	s_delay_alu instid0(VALU_DEP_1)
	v_pk_add_f32 v[22:23], v[26:27], v[22:23] neg_lo:[0,1] neg_hi:[0,1]
	ds_store_b64 v20, v[22:23]
	v_add_nc_u32_e32 v20, 8, v20
	s_cbranch_scc0 .LBB134_78
	s_branch .LBB134_69
.LBB134_79:                             ;   in Loop: Header=BB134_60 Depth=3
	s_mov_b32 s18, 0
	s_mov_b32 s50, s48
	s_branch .LBB134_81
.LBB134_80:                             ;   in Loop: Header=BB134_81 Depth=4
	s_mul_i32 s28, s28, 40
	s_add_co_i32 s18, s18, 1
	s_wait_xcnt 0x0
	v_mov_b32_e32 v17, s28
	s_add_co_i32 s50, s50, -8
	s_cmp_eq_u32 s18, s42
	ds_load_b64 v[20:21], v17
	s_wait_dscnt 0x0
	v_pk_mul_f32 v[22:23], v[20:21], v[18:19] op_sel:[1,0] op_sel_hi:[0,0]
	s_delay_alu instid0(VALU_DEP_1) | instskip(SKIP_2) | instid1(VALU_DEP_3)
	v_pk_fma_f32 v[26:27], v[20:21], v[16:17], v[22:23] op_sel_hi:[1,0,1]
	v_pk_fma_f32 v[16:17], v[20:21], v[16:17], v[22:23] neg_lo:[0,0,1] neg_hi:[0,0,1]
	v_lshl_add_u64 v[20:21], s[26:27], 3, v[12:13]
	v_mov_b32_e32 v17, v27
	ds_store_b64 v19, v[16:17]
	global_store_b64 v[20:21], v[16:17], off
	s_cbranch_scc1 .LBB134_59
.LBB134_81:                             ;   Parent Loop BB134_4 Depth=1
                                        ;     Parent Loop BB134_57 Depth=2
                                        ;       Parent Loop BB134_60 Depth=3
                                        ; =>      This Loop Header: Depth=4
                                        ;           Child Loop BB134_83 Depth 5
	v_lshl_add_u32 v19, s18, 3, v1
	s_cmp_lg_u32 s18, 0
	s_cbranch_scc0 .LBB134_85
; %bb.82:                               ;   in Loop: Header=BB134_81 Depth=4
	s_wait_xcnt 0x0
	ds_load_b64 v[16:17], v19
	v_mov_b32_e32 v18, v1
	s_mov_b32 s26, s50
	s_mov_b32 s27, s18
.LBB134_83:                             ;   Parent Loop BB134_4 Depth=1
                                        ;     Parent Loop BB134_57 Depth=2
                                        ;       Parent Loop BB134_60 Depth=3
                                        ;         Parent Loop BB134_81 Depth=4
                                        ; =>        This Inner Loop Header: Depth=5
	v_mov_b32_e32 v22, s26
	s_add_co_i32 s27, s27, -1
	s_sub_co_i32 s26, s26, 32
	s_cmp_eq_u32 s27, 0
	ds_load_b64 v[20:21], v18
	ds_load_b64 v[22:23], v22
	v_add_nc_u32_e32 v18, 8, v18
	s_wait_dscnt 0x0
	v_pk_mul_f32 v[26:27], v[22:23], v[20:21] op_sel:[1,1] op_sel_hi:[0,1]
	s_delay_alu instid0(VALU_DEP_1) | instskip(SKIP_1) | instid1(VALU_DEP_2)
	v_pk_fma_f32 v[28:29], v[22:23], v[20:21], v[26:27] op_sel_hi:[1,0,1]
	v_pk_fma_f32 v[20:21], v[22:23], v[20:21], v[26:27] neg_lo:[0,0,1] neg_hi:[0,0,1]
	v_mov_b32_e32 v21, v29
	s_delay_alu instid0(VALU_DEP_1)
	v_pk_add_f32 v[16:17], v[16:17], v[20:21] neg_lo:[0,1] neg_hi:[0,1]
	ds_store_b64 v19, v[16:17]
	s_cbranch_scc0 .LBB134_83
; %bb.84:                               ;   in Loop: Header=BB134_81 Depth=4
	s_sub_co_i32 s28, s14, s18
	v_mov_b32_e32 v18, v17
	s_ashr_i32 s29, s28, 31
	s_delay_alu instid0(SALU_CYCLE_1)
	s_mov_b64 s[26:27], s[28:29]
	s_branch .LBB134_80
.LBB134_85:                             ;   in Loop: Header=BB134_81 Depth=4
                                        ; implicit-def: $vgpr16
                                        ; implicit-def: $vgpr18
                                        ; implicit-def: $sgpr28
                                        ; implicit-def: $sgpr26_sgpr27
	s_cbranch_execz .LBB134_80
; %bb.86:                               ;   in Loop: Header=BB134_81 Depth=4
	s_wait_xcnt 0x0
	ds_load_b64 v[16:17], v1
	s_mov_b64 s[26:27], s[14:15]
	s_mov_b32 s28, s14
	s_wait_dscnt 0x0
	v_mov_b32_e32 v18, v17
	s_branch .LBB134_80
.LBB134_87:
	s_endpgm
	.section	.rodata,"a",@progbits
	.p2align	6, 0x0
	.amdhsa_kernel _ZL30rocblas_trsm_small_left_deviceILi4ELi4ELb0E19rocblas_complex_numIfES1_PKS1_PS1_Ev13rocblas_fill_18rocblas_operation_17rocblas_diagonal_iiT3_T4_lilT5_lili
		.amdhsa_group_segment_fixed_size 256
		.amdhsa_private_segment_fixed_size 0
		.amdhsa_kernarg_size 360
		.amdhsa_user_sgpr_count 4
		.amdhsa_user_sgpr_dispatch_ptr 1
		.amdhsa_user_sgpr_queue_ptr 0
		.amdhsa_user_sgpr_kernarg_segment_ptr 1
		.amdhsa_user_sgpr_dispatch_id 0
		.amdhsa_user_sgpr_kernarg_preload_length 0
		.amdhsa_user_sgpr_kernarg_preload_offset 0
		.amdhsa_user_sgpr_private_segment_size 0
		.amdhsa_wavefront_size32 1
		.amdhsa_uses_dynamic_stack 0
		.amdhsa_enable_private_segment 0
		.amdhsa_system_sgpr_workgroup_id_x 1
		.amdhsa_system_sgpr_workgroup_id_y 0
		.amdhsa_system_sgpr_workgroup_id_z 1
		.amdhsa_system_sgpr_workgroup_info 0
		.amdhsa_system_vgpr_workitem_id 2
		.amdhsa_next_free_vgpr 38
		.amdhsa_next_free_sgpr 56
		.amdhsa_named_barrier_count 0
		.amdhsa_reserve_vcc 1
		.amdhsa_float_round_mode_32 0
		.amdhsa_float_round_mode_16_64 0
		.amdhsa_float_denorm_mode_32 3
		.amdhsa_float_denorm_mode_16_64 3
		.amdhsa_fp16_overflow 0
		.amdhsa_memory_ordered 1
		.amdhsa_forward_progress 1
		.amdhsa_inst_pref_size 32
		.amdhsa_round_robin_scheduling 0
		.amdhsa_exception_fp_ieee_invalid_op 0
		.amdhsa_exception_fp_denorm_src 0
		.amdhsa_exception_fp_ieee_div_zero 0
		.amdhsa_exception_fp_ieee_overflow 0
		.amdhsa_exception_fp_ieee_underflow 0
		.amdhsa_exception_fp_ieee_inexact 0
		.amdhsa_exception_int_div_zero 0
	.end_amdhsa_kernel
	.section	.text._ZL30rocblas_trsm_small_left_deviceILi4ELi4ELb0E19rocblas_complex_numIfES1_PKS1_PS1_Ev13rocblas_fill_18rocblas_operation_17rocblas_diagonal_iiT3_T4_lilT5_lili,"axG",@progbits,_ZL30rocblas_trsm_small_left_deviceILi4ELi4ELb0E19rocblas_complex_numIfES1_PKS1_PS1_Ev13rocblas_fill_18rocblas_operation_17rocblas_diagonal_iiT3_T4_lilT5_lili,comdat
.Lfunc_end134:
	.size	_ZL30rocblas_trsm_small_left_deviceILi4ELi4ELb0E19rocblas_complex_numIfES1_PKS1_PS1_Ev13rocblas_fill_18rocblas_operation_17rocblas_diagonal_iiT3_T4_lilT5_lili, .Lfunc_end134-_ZL30rocblas_trsm_small_left_deviceILi4ELi4ELb0E19rocblas_complex_numIfES1_PKS1_PS1_Ev13rocblas_fill_18rocblas_operation_17rocblas_diagonal_iiT3_T4_lilT5_lili
                                        ; -- End function
	.set _ZL30rocblas_trsm_small_left_deviceILi4ELi4ELb0E19rocblas_complex_numIfES1_PKS1_PS1_Ev13rocblas_fill_18rocblas_operation_17rocblas_diagonal_iiT3_T4_lilT5_lili.num_vgpr, 38
	.set _ZL30rocblas_trsm_small_left_deviceILi4ELi4ELb0E19rocblas_complex_numIfES1_PKS1_PS1_Ev13rocblas_fill_18rocblas_operation_17rocblas_diagonal_iiT3_T4_lilT5_lili.num_agpr, 0
	.set _ZL30rocblas_trsm_small_left_deviceILi4ELi4ELb0E19rocblas_complex_numIfES1_PKS1_PS1_Ev13rocblas_fill_18rocblas_operation_17rocblas_diagonal_iiT3_T4_lilT5_lili.numbered_sgpr, 56
	.set _ZL30rocblas_trsm_small_left_deviceILi4ELi4ELb0E19rocblas_complex_numIfES1_PKS1_PS1_Ev13rocblas_fill_18rocblas_operation_17rocblas_diagonal_iiT3_T4_lilT5_lili.num_named_barrier, 0
	.set _ZL30rocblas_trsm_small_left_deviceILi4ELi4ELb0E19rocblas_complex_numIfES1_PKS1_PS1_Ev13rocblas_fill_18rocblas_operation_17rocblas_diagonal_iiT3_T4_lilT5_lili.private_seg_size, 0
	.set _ZL30rocblas_trsm_small_left_deviceILi4ELi4ELb0E19rocblas_complex_numIfES1_PKS1_PS1_Ev13rocblas_fill_18rocblas_operation_17rocblas_diagonal_iiT3_T4_lilT5_lili.uses_vcc, 1
	.set _ZL30rocblas_trsm_small_left_deviceILi4ELi4ELb0E19rocblas_complex_numIfES1_PKS1_PS1_Ev13rocblas_fill_18rocblas_operation_17rocblas_diagonal_iiT3_T4_lilT5_lili.uses_flat_scratch, 0
	.set _ZL30rocblas_trsm_small_left_deviceILi4ELi4ELb0E19rocblas_complex_numIfES1_PKS1_PS1_Ev13rocblas_fill_18rocblas_operation_17rocblas_diagonal_iiT3_T4_lilT5_lili.has_dyn_sized_stack, 0
	.set _ZL30rocblas_trsm_small_left_deviceILi4ELi4ELb0E19rocblas_complex_numIfES1_PKS1_PS1_Ev13rocblas_fill_18rocblas_operation_17rocblas_diagonal_iiT3_T4_lilT5_lili.has_recursion, 0
	.set _ZL30rocblas_trsm_small_left_deviceILi4ELi4ELb0E19rocblas_complex_numIfES1_PKS1_PS1_Ev13rocblas_fill_18rocblas_operation_17rocblas_diagonal_iiT3_T4_lilT5_lili.has_indirect_call, 0
	.section	.AMDGPU.csdata,"",@progbits
; Kernel info:
; codeLenInByte = 4052
; TotalNumSgprs: 58
; NumVgprs: 38
; ScratchSize: 0
; MemoryBound: 0
; FloatMode: 240
; IeeeMode: 1
; LDSByteSize: 256 bytes/workgroup (compile time only)
; SGPRBlocks: 0
; VGPRBlocks: 2
; NumSGPRsForWavesPerEU: 58
; NumVGPRsForWavesPerEU: 38
; NamedBarCnt: 0
; Occupancy: 16
; WaveLimiterHint : 0
; COMPUTE_PGM_RSRC2:SCRATCH_EN: 0
; COMPUTE_PGM_RSRC2:USER_SGPR: 4
; COMPUTE_PGM_RSRC2:TRAP_HANDLER: 0
; COMPUTE_PGM_RSRC2:TGID_X_EN: 1
; COMPUTE_PGM_RSRC2:TGID_Y_EN: 0
; COMPUTE_PGM_RSRC2:TGID_Z_EN: 1
; COMPUTE_PGM_RSRC2:TIDIG_COMP_CNT: 2
	.section	.text._ZL38rocblas_trsm_small_left_device_sharedBILi4ELi4ELb1E19rocblas_complex_numIfES1_PKS1_PS1_Ev13rocblas_fill_18rocblas_operation_17rocblas_diagonal_iiT3_T4_lilT5_lili,"axG",@progbits,_ZL38rocblas_trsm_small_left_device_sharedBILi4ELi4ELb1E19rocblas_complex_numIfES1_PKS1_PS1_Ev13rocblas_fill_18rocblas_operation_17rocblas_diagonal_iiT3_T4_lilT5_lili,comdat
	.globl	_ZL38rocblas_trsm_small_left_device_sharedBILi4ELi4ELb1E19rocblas_complex_numIfES1_PKS1_PS1_Ev13rocblas_fill_18rocblas_operation_17rocblas_diagonal_iiT3_T4_lilT5_lili ; -- Begin function _ZL38rocblas_trsm_small_left_device_sharedBILi4ELi4ELb1E19rocblas_complex_numIfES1_PKS1_PS1_Ev13rocblas_fill_18rocblas_operation_17rocblas_diagonal_iiT3_T4_lilT5_lili
	.p2align	8
	.type	_ZL38rocblas_trsm_small_left_device_sharedBILi4ELi4ELb1E19rocblas_complex_numIfES1_PKS1_PS1_Ev13rocblas_fill_18rocblas_operation_17rocblas_diagonal_iiT3_T4_lilT5_lili,@function
_ZL38rocblas_trsm_small_left_device_sharedBILi4ELi4ELb1E19rocblas_complex_numIfES1_PKS1_PS1_Ev13rocblas_fill_18rocblas_operation_17rocblas_diagonal_iiT3_T4_lilT5_lili: ; @_ZL38rocblas_trsm_small_left_device_sharedBILi4ELi4ELb1E19rocblas_complex_numIfES1_PKS1_PS1_Ev13rocblas_fill_18rocblas_operation_17rocblas_diagonal_iiT3_T4_lilT5_lili
; %bb.0:
	s_load_b32 s15, s[2:3], 0x60
	s_bfe_u32 s4, ttmp6, 0x40014
	s_lshr_b32 s5, ttmp7, 16
	s_add_co_i32 s4, s4, 1
	s_bfe_u32 s7, ttmp6, 0x40008
	s_mul_i32 s6, s5, s4
	s_getreg_b32 s4, hwreg(HW_REG_IB_STS2, 6, 4)
	s_add_co_i32 s7, s7, s6
	s_cmp_eq_u32 s4, 0
	s_mov_b32 s17, 0
	s_cselect_b32 s16, s5, s7
	s_wait_kmcnt 0x0
	s_cmp_ge_u32 s16, s15
	s_cbranch_scc1 .LBB135_81
; %bb.1:
	s_clause 0x1
	s_load_b32 s20, s[2:3], 0x30
	s_load_b96 s[12:14], s[2:3], 0x48
	s_load_b64 s[26:27], s[0:1], 0x4
	s_clause 0x2
	s_load_b128 s[8:11], s[2:3], 0x4
	s_load_b32 s5, s[2:3], 0x68
	s_load_b64 s[18:19], s[2:3], 0x14
	v_and_b32_e32 v8, 0x3ff, v0
	v_bfe_u32 v1, v0, 10, 10
	v_bfe_u32 v7, v0, 20, 10
	s_delay_alu instid0(VALU_DEP_3) | instskip(SKIP_1) | instid1(VALU_DEP_2)
	v_dual_mov_b32 v3, 0 :: v_dual_lshlrev_b32 v2, 3, v8
	v_lshlrev_b32_e32 v12, 5, v8
	v_add_nc_u32_e32 v20, 0x80, v2
	s_delay_alu instid0(VALU_DEP_2)
	v_add_nc_u32_e32 v21, v2, v12
	s_wait_kmcnt 0x0
	s_ashr_i32 s21, s20, 31
	s_ashr_i32 s0, s14, 31
	s_lshr_b32 s26, s26, 16
	s_cmp_lg_u32 s8, 0x71
	s_mul_i32 s26, s26, s27
	s_cselect_b32 s1, -1, 0
	s_bfe_u32 s6, ttmp6, 0x4000c
	s_min_i32 s22, s10, 4
	s_add_co_i32 s6, s6, 1
	s_add_co_i32 s24, s5, -1
	s_and_b32 s5, ttmp6, 15
	s_mul_i32 s6, ttmp9, s6
	s_add_co_i32 s23, s22, -1
	s_add_co_i32 s5, s5, s6
	s_cmp_eq_u32 s4, 0
	v_mul_u32_u24_e32 v9, s27, v1
	s_cselect_b32 s25, ttmp9, s5
	s_load_b128 s[4:7], s[2:3], 0x38
	s_lshl_b32 s28, s25, 2
	v_mul_u32_u24_e32 v10, s26, v8
	s_sub_co_i32 s11, s11, s28
	s_cmp_ge_u32 s25, s24
	v_mov_b64_e32 v[0:1], 0xbf80000000000000
	s_cselect_b32 s30, s11, 4
	s_ashr_i32 s29, s28, 31
	s_cmp_lg_u32 s9, 0x84
	v_add3_u32 v9, v10, v9, v7
	s_cselect_b32 s24, -1, 0
	s_cmp_gt_i32 s10, 0
	v_cmp_gt_i32_e32 vcc_lo, s30, v8
	s_cselect_b32 s31, -1, 0
	s_cmp_lg_u32 s8, 0x6f
	v_mov_b64_e32 v[10:11], 0x3f800000
	s_cselect_b32 s25, -1, 0
	s_lshl_b64 s[28:29], s[28:29], 3
	s_lshl_b64 s[8:9], s[12:13], 3
	v_or_b32_e32 v6, s28, v2
	s_wait_kmcnt 0x0
	s_add_nc_u64 s[6:7], s[6:7], s[8:9]
	s_clause 0x1
	s_load_b128 s[8:11], s[2:3], 0x20
	s_load_b64 s[12:13], s[2:3], 0x58
	s_wait_xcnt 0x0
	s_mov_b32 s2, s19
	s_mov_b32 s3, s18
	v_mad_nc_u64_u32 v[4:5], v6, s14, s[6:7]
	s_lshl_b64 s[4:5], s[4:5], 3
	s_delay_alu instid0(VALU_DEP_1)
	v_mad_u32 v5, s29, s14, v5
	s_and_b32 s14, vcc_lo, s31
	s_wait_kmcnt 0x0
	s_lshl_b64 s[6:7], s[10:11], 3
	s_lshl_b64 s[10:11], s[12:13], 3
	s_add_nc_u64 s[6:7], s[8:9], s[6:7]
	s_get_pc_i64 s[8:9]
	s_add_nc_u64 s[8:9], s[8:9], __const._ZL38rocblas_trsm_small_left_device_sharedBILi4ELi4ELb1E19rocblas_complex_numIfES1_PKS1_PS1_Ev13rocblas_fill_18rocblas_operation_17rocblas_diagonal_iiT3_T4_lilT5_lili.step_sizes@rel64+4
	s_delay_alu instid0(VALU_DEP_1)
	v_mad_u32 v5, v6, s0, v5
	v_add_nc_u64_e32 v[6:7], s[6:7], v[2:3]
	v_cmp_gt_i32_e64 s0, s22, v8
	v_lshl_add_u32 v3, v9, 5, 0x100
	s_lshl_b64 s[6:7], s[20:21], 3
	s_lshl_b32 s20, s22, 3
	s_delay_alu instid0(SALU_CYCLE_1)
	s_add_co_i32 s20, s20, -8
	v_add_nc_u64_e32 v[6:7], 4, v[6:7]
	v_add_nc_u64_e32 v[8:9], 4, v[4:5]
	s_branch .LBB135_3
.LBB135_2:                              ;   in Loop: Header=BB135_3 Depth=1
	s_or_b32 exec_lo, exec_lo, s21
	s_add_co_i32 s16, s16, 0x10000
	s_delay_alu instid0(SALU_CYCLE_1)
	s_cmp_lt_u32 s16, s15
	s_cbranch_scc0 .LBB135_81
.LBB135_3:                              ; =>This Loop Header: Depth=1
                                        ;     Child Loop BB135_6 Depth 2
                                        ;     Child Loop BB135_20 Depth 2
	;; [unrolled: 1-line block ×3, first 2 shown]
                                        ;       Child Loop BB135_27 Depth 3
                                        ;         Child Loop BB135_28 Depth 4
                                        ;         Child Loop BB135_32 Depth 4
                                        ;           Child Loop BB135_34 Depth 5
                                        ;           Child Loop BB135_40 Depth 5
                                        ;         Child Loop BB135_43 Depth 4
                                        ;           Child Loop BB135_45 Depth 5
                                        ;     Child Loop BB135_53 Depth 2
                                        ;       Child Loop BB135_56 Depth 3
                                        ;         Child Loop BB135_57 Depth 4
                                        ;         Child Loop BB135_61 Depth 4
                                        ;           Child Loop BB135_63 Depth 5
                                        ;           Child Loop BB135_69 Depth 5
                                        ;         Child Loop BB135_72 Depth 4
                                        ;           Child Loop BB135_74 Depth 5
                                        ;     Child Loop BB135_80 Depth 2
	s_and_saveexec_b32 s12, s0
	s_cbranch_execz .LBB135_18
; %bb.4:                                ;   in Loop: Header=BB135_3 Depth=1
	s_delay_alu instid0(VALU_DEP_2) | instskip(SKIP_2) | instid1(VALU_DEP_2)
	v_mad_nc_u64_u32 v[12:13], s4, s16, v[6:7]
	v_mov_b32_e32 v16, v2
	s_mov_b32 s13, s22
	v_mad_u32 v13, s5, s16, v13
	s_branch .LBB135_6
.LBB135_5:                              ;   in Loop: Header=BB135_6 Depth=2
	global_load_b32 v14, v[12:13], off offset:-4
	s_wait_xcnt 0x0
	v_add_nc_u64_e32 v[12:13], s[6:7], v[12:13]
	s_add_co_i32 s13, s13, -1
	s_delay_alu instid0(SALU_CYCLE_1)
	s_cmp_eq_u32 s13, 0
	s_wait_loadcnt 0x0
	ds_store_b64 v16, v[14:15]
	v_add_nc_u32_e32 v16, 32, v16
	s_cbranch_scc1 .LBB135_10
.LBB135_6:                              ;   Parent Loop BB135_3 Depth=1
                                        ; =>  This Inner Loop Header: Depth=2
	s_and_b32 vcc_lo, exec_lo, s1
	s_mov_b32 s21, -1
                                        ; implicit-def: $vgpr15
	s_cbranch_vccz .LBB135_8
; %bb.7:                                ;   in Loop: Header=BB135_6 Depth=2
	global_load_b32 v15, v[12:13], off
	s_mov_b32 s21, 0
.LBB135_8:                              ;   in Loop: Header=BB135_6 Depth=2
	s_delay_alu instid0(SALU_CYCLE_1)
	s_and_not1_b32 vcc_lo, exec_lo, s21
	s_cbranch_vccnz .LBB135_5
; %bb.9:                                ;   in Loop: Header=BB135_6 Depth=2
	global_load_b32 v14, v[12:13], off
	s_wait_loadcnt 0x0
	v_xor_b32_e32 v15, 0x80000000, v14
	s_branch .LBB135_5
.LBB135_10:                             ;   in Loop: Header=BB135_3 Depth=1
	s_and_b32 vcc_lo, exec_lo, s24
	s_mov_b32 s13, -1
	s_cbranch_vccz .LBB135_16
; %bb.11:                               ;   in Loop: Header=BB135_3 Depth=1
	ds_load_b64 v[12:13], v21
                                        ; implicit-def: $vgpr14_vgpr15
	s_wait_dscnt 0x0
	v_cmp_ngt_f32_e64 s13, |v12|, |v13|
	s_and_saveexec_b32 s21, s13
	s_delay_alu instid0(SALU_CYCLE_1)
	s_xor_b32 s13, exec_lo, s21
	s_cbranch_execz .LBB135_13
; %bb.12:                               ;   in Loop: Header=BB135_3 Depth=1
	v_div_scale_f32 v14, null, v13, v13, v12
	v_div_scale_f32 v17, vcc_lo, v12, v13, v12
	s_delay_alu instid0(VALU_DEP_2) | instskip(SKIP_1) | instid1(TRANS32_DEP_1)
	v_rcp_f32_e32 v15, v14
	v_nop
	v_fma_f32 v16, -v14, v15, 1.0
	s_delay_alu instid0(VALU_DEP_1) | instskip(NEXT) | instid1(VALU_DEP_1)
	v_fmac_f32_e32 v15, v16, v15
	v_mul_f32_e32 v16, v17, v15
	s_delay_alu instid0(VALU_DEP_1) | instskip(NEXT) | instid1(VALU_DEP_1)
	v_fma_f32 v18, -v14, v16, v17
	v_fmac_f32_e32 v16, v18, v15
	s_delay_alu instid0(VALU_DEP_1) | instskip(NEXT) | instid1(VALU_DEP_1)
	v_fma_f32 v14, -v14, v16, v17
	v_div_fmas_f32 v14, v14, v15, v16
	s_delay_alu instid0(VALU_DEP_1) | instskip(NEXT) | instid1(VALU_DEP_1)
	v_div_fixup_f32 v14, v14, v13, v12
	v_fmac_f32_e32 v13, v12, v14
	s_delay_alu instid0(VALU_DEP_1) | instskip(SKIP_1) | instid1(VALU_DEP_2)
	v_div_scale_f32 v12, null, v13, v13, 1.0
	v_div_scale_f32 v17, vcc_lo, 1.0, v13, 1.0
	v_rcp_f32_e32 v15, v12
	v_nop
	s_delay_alu instid0(TRANS32_DEP_1) | instskip(NEXT) | instid1(VALU_DEP_1)
	v_fma_f32 v16, -v12, v15, 1.0
	v_fmac_f32_e32 v15, v16, v15
	s_delay_alu instid0(VALU_DEP_1) | instskip(NEXT) | instid1(VALU_DEP_1)
	v_mul_f32_e32 v16, v17, v15
	v_fma_f32 v18, -v12, v16, v17
	s_delay_alu instid0(VALU_DEP_1) | instskip(NEXT) | instid1(VALU_DEP_1)
	v_fmac_f32_e32 v16, v18, v15
	v_fma_f32 v12, -v12, v16, v17
	s_delay_alu instid0(VALU_DEP_1) | instskip(SKIP_1) | instid1(VALU_DEP_2)
	v_div_fmas_f32 v12, v12, v15, v16
	v_mul_f32_e32 v15, 0, v14
	v_div_fixup_f32 v12, v12, v13, 1.0
	s_delay_alu instid0(VALU_DEP_2) | instskip(NEXT) | instid1(VALU_DEP_1)
	v_pk_add_f32 v[14:15], v[14:15], v[0:1]
	v_pk_mul_f32 v[14:15], v[14:15], v[12:13] op_sel_hi:[1,0]
                                        ; implicit-def: $vgpr12_vgpr13
.LBB135_13:                             ;   in Loop: Header=BB135_3 Depth=1
	s_and_not1_saveexec_b32 s13, s13
	s_cbranch_execz .LBB135_15
; %bb.14:                               ;   in Loop: Header=BB135_3 Depth=1
	v_div_scale_f32 v14, null, v12, v12, v13
	v_div_scale_f32 v17, vcc_lo, v13, v12, v13
	s_delay_alu instid0(VALU_DEP_2) | instskip(SKIP_1) | instid1(TRANS32_DEP_1)
	v_rcp_f32_e32 v15, v14
	v_nop
	v_fma_f32 v16, -v14, v15, 1.0
	s_delay_alu instid0(VALU_DEP_1) | instskip(NEXT) | instid1(VALU_DEP_1)
	v_fmac_f32_e32 v15, v16, v15
	v_mul_f32_e32 v16, v17, v15
	s_delay_alu instid0(VALU_DEP_1) | instskip(NEXT) | instid1(VALU_DEP_1)
	v_fma_f32 v18, -v14, v16, v17
	v_fmac_f32_e32 v16, v18, v15
	s_delay_alu instid0(VALU_DEP_1) | instskip(NEXT) | instid1(VALU_DEP_1)
	v_fma_f32 v14, -v14, v16, v17
	v_div_fmas_f32 v14, v14, v15, v16
	s_delay_alu instid0(VALU_DEP_1) | instskip(NEXT) | instid1(VALU_DEP_1)
	v_div_fixup_f32 v15, v14, v12, v13
	v_fmac_f32_e32 v12, v13, v15
	s_delay_alu instid0(VALU_DEP_1) | instskip(SKIP_1) | instid1(VALU_DEP_2)
	v_div_scale_f32 v13, null, v12, v12, 1.0
	v_div_scale_f32 v17, vcc_lo, 1.0, v12, 1.0
	v_rcp_f32_e32 v14, v13
	v_nop
	s_delay_alu instid0(TRANS32_DEP_1) | instskip(NEXT) | instid1(VALU_DEP_1)
	v_fma_f32 v16, -v13, v14, 1.0
	v_fmac_f32_e32 v14, v16, v14
	s_delay_alu instid0(VALU_DEP_1) | instskip(NEXT) | instid1(VALU_DEP_1)
	v_mul_f32_e32 v16, v17, v14
	v_fma_f32 v18, -v13, v16, v17
	s_delay_alu instid0(VALU_DEP_1) | instskip(NEXT) | instid1(VALU_DEP_1)
	v_fmac_f32_e32 v16, v18, v14
	v_dual_fma_f32 v13, -v13, v16, v17 :: v_dual_mul_f32 v17, 0, v15
	v_sub_f32_e32 v15, 0, v15
	s_delay_alu instid0(VALU_DEP_2) | instskip(NEXT) | instid1(VALU_DEP_3)
	v_div_fmas_f32 v13, v13, v14, v16
	v_add_f32_e32 v14, 1.0, v17
	s_delay_alu instid0(VALU_DEP_2) | instskip(NEXT) | instid1(VALU_DEP_1)
	v_div_fixup_f32 v12, v13, v12, 1.0
	v_pk_mul_f32 v[14:15], v[14:15], v[12:13] op_sel_hi:[1,0]
.LBB135_15:                             ;   in Loop: Header=BB135_3 Depth=1
	s_or_b32 exec_lo, exec_lo, s13
	s_mov_b32 s13, 0
	ds_store_b64 v21, v[14:15]
.LBB135_16:                             ;   in Loop: Header=BB135_3 Depth=1
	s_and_b32 vcc_lo, exec_lo, s13
	s_cbranch_vccz .LBB135_18
; %bb.17:                               ;   in Loop: Header=BB135_3 Depth=1
	ds_store_b64 v21, v[10:11]
.LBB135_18:                             ;   in Loop: Header=BB135_3 Depth=1
	s_or_b32 exec_lo, exec_lo, s12
	s_mul_u64 s[12:13], s[10:11], s[16:17]
	s_and_saveexec_b32 s21, s14
	s_cbranch_execz .LBB135_21
; %bb.19:                               ;   in Loop: Header=BB135_3 Depth=1
	v_add_nc_u64_e32 v[12:13], s[12:13], v[8:9]
	v_mov_b32_e32 v14, v20
	s_mov_b32 s26, s22
.LBB135_20:                             ;   Parent Loop BB135_3 Depth=1
                                        ; =>  This Inner Loop Header: Depth=2
	global_load_b64 v[16:17], v[12:13], off offset:-4
	v_mov_b64_e32 v[18:19], s[2:3]
	v_mov_b64_e32 v[22:23], s[18:19]
	s_wait_xcnt 0x0
	v_add_nc_u64_e32 v[12:13], 8, v[12:13]
	s_add_co_i32 s26, s26, -1
	s_delay_alu instid0(SALU_CYCLE_1) | instskip(SKIP_2) | instid1(VALU_DEP_1)
	s_cmp_lg_u32 s26, 0
	s_wait_loadcnt 0x0
	v_pk_mul_f32 v[18:19], v[18:19], v[16:17] op_sel:[0,1]
	v_pk_fma_f32 v[24:25], v[22:23], v[16:17], v[18:19] op_sel_hi:[1,0,1]
	v_pk_fma_f32 v[16:17], v[22:23], v[16:17], v[18:19] neg_lo:[0,0,1] neg_hi:[0,0,1]
	s_delay_alu instid0(VALU_DEP_2)
	v_mov_b32_e32 v17, v25
	ds_store_b64 v14, v[16:17]
	v_add_nc_u32_e32 v14, 32, v14
	s_cbranch_scc1 .LBB135_20
.LBB135_21:                             ;   in Loop: Header=BB135_3 Depth=1
	s_or_b32 exec_lo, exec_lo, s21
	s_delay_alu instid0(SALU_CYCLE_1)
	s_and_not1_b32 vcc_lo, exec_lo, s25
	s_mov_b32 s21, -1
	s_wait_dscnt 0x0
	; wave barrier
	s_cbranch_vccnz .LBB135_50
; %bb.22:                               ;   in Loop: Header=BB135_3 Depth=1
	s_mov_b32 s26, 0
	s_mov_b32 s21, s23
	s_branch .LBB135_24
.LBB135_23:                             ;   in Loop: Header=BB135_24 Depth=2
	s_cmp_gt_i32 s21, -1
	s_cselect_b32 s27, -1, 0
	s_add_co_i32 s28, s26, 1
	s_cmp_lt_u32 s26, 2
	s_wait_xcnt 0x0
	s_cselect_b32 s26, -1, 0
	s_delay_alu instid0(SALU_CYCLE_1) | instskip(NEXT) | instid1(SALU_CYCLE_1)
	s_and_b32 s26, s27, s26
	s_and_b32 vcc_lo, exec_lo, s26
	s_mov_b32 s26, s28
	s_cbranch_vccz .LBB135_49
.LBB135_24:                             ;   Parent Loop BB135_3 Depth=1
                                        ; =>  This Loop Header: Depth=2
                                        ;       Child Loop BB135_27 Depth 3
                                        ;         Child Loop BB135_28 Depth 4
                                        ;         Child Loop BB135_32 Depth 4
                                        ;           Child Loop BB135_34 Depth 5
                                        ;           Child Loop BB135_40 Depth 5
                                        ;         Child Loop BB135_43 Depth 4
                                        ;           Child Loop BB135_45 Depth 5
	s_load_b32 s27, s[8:9], s26 offset:0x0 scale_offset
	s_wait_kmcnt 0x0
	s_add_co_i32 s28, s27, -1
	s_delay_alu instid0(SALU_CYCLE_1)
	s_cmp_lt_i32 s21, s28
	s_cbranch_scc1 .LBB135_23
; %bb.25:                               ;   in Loop: Header=BB135_24 Depth=2
	s_add_co_i32 s30, s26, -1
	s_max_i32 s29, s27, 1
	s_cmp_gt_u32 s30, 1
	s_mul_i32 s36, s21, 40
	s_cselect_b32 s30, -1, 0
	s_and_b32 s31, s29, 0x7ffffffe
	s_mul_i32 s37, s27, 0xffffffd8
	s_cmp_lg_u32 s29, s31
	s_cselect_b32 s33, -1, 0
	s_lshl_b32 s35, s21, 5
	s_lshl_b32 s34, s27, 5
	v_add_nc_u32_e32 v22, s35, v20
	s_sub_co_i32 s34, 0, s34
	s_add_co_i32 s35, s20, s35
	s_branch .LBB135_27
.LBB135_26:                             ;   in Loop: Header=BB135_27 Depth=3
	v_add_nc_u32_e32 v22, s34, v22
	s_sub_co_i32 s21, s21, s27
	s_add_co_i32 s35, s35, s34
	s_add_co_i32 s36, s36, s37
	s_cmp_lt_i32 s21, s28
	s_cbranch_scc1 .LBB135_23
.LBB135_27:                             ;   Parent Loop BB135_3 Depth=1
                                        ;     Parent Loop BB135_24 Depth=2
                                        ; =>    This Loop Header: Depth=3
                                        ;         Child Loop BB135_28 Depth 4
                                        ;         Child Loop BB135_32 Depth 4
                                        ;           Child Loop BB135_34 Depth 5
                                        ;           Child Loop BB135_40 Depth 5
                                        ;         Child Loop BB135_43 Depth 4
                                        ;           Child Loop BB135_45 Depth 5
	s_delay_alu instid0(VALU_DEP_1)
	v_dual_mov_b32 v12, v3 :: v_dual_mov_b32 v13, v22
	s_mov_b32 s38, s29
.LBB135_28:                             ;   Parent Loop BB135_3 Depth=1
                                        ;     Parent Loop BB135_24 Depth=2
                                        ;       Parent Loop BB135_27 Depth=3
                                        ; =>      This Inner Loop Header: Depth=4
	ds_load_b64 v[14:15], v13
	v_subrev_nc_u32_e32 v13, 32, v13
	s_add_co_i32 s38, s38, -1
	s_delay_alu instid0(SALU_CYCLE_1)
	s_cmp_eq_u32 s38, 0
	s_wait_dscnt 0x0
	ds_store_b64 v12, v[14:15]
	v_add_nc_u32_e32 v12, 8, v12
	s_cbranch_scc0 .LBB135_28
; %bb.29:                               ;   in Loop: Header=BB135_27 Depth=3
	s_cmp_le_i32 s23, s21
	s_cbranch_scc1 .LBB135_41
; %bb.30:                               ;   in Loop: Header=BB135_27 Depth=3
	s_mov_b32 s38, s21
	s_mov_b32 s39, s35
	;; [unrolled: 1-line block ×3, first 2 shown]
	s_branch .LBB135_32
.LBB135_31:                             ;   in Loop: Header=BB135_32 Depth=4
	s_add_co_i32 s40, s40, -1
	s_add_co_i32 s39, s39, -8
	s_cmp_le_i32 s40, s21
	s_cbranch_scc1 .LBB135_41
.LBB135_32:                             ;   Parent Loop BB135_3 Depth=1
                                        ;     Parent Loop BB135_24 Depth=2
                                        ;       Parent Loop BB135_27 Depth=3
                                        ; =>      This Loop Header: Depth=4
                                        ;           Child Loop BB135_34 Depth 5
                                        ;           Child Loop BB135_40 Depth 5
	v_lshl_add_u32 v12, s40, 5, v20
	s_and_b32 vcc_lo, exec_lo, s30
	ds_load_b64 v[12:13], v12
	s_cbranch_vccz .LBB135_36
; %bb.33:                               ;   in Loop: Header=BB135_32 Depth=4
	s_wait_dscnt 0x0
	v_dual_mov_b32 v16, v12 :: v_dual_mov_b32 v17, v12
	v_dual_mov_b32 v14, v13 :: v_dual_mov_b32 v18, v13
	;; [unrolled: 1-line block ×3, first 2 shown]
	s_lshl_b32 s41, s40, 3
	s_mov_b32 s42, 1
	s_mov_b32 s43, 0
	;; [unrolled: 1-line block ×3, first 2 shown]
.LBB135_34:                             ;   Parent Loop BB135_3 Depth=1
                                        ;     Parent Loop BB135_24 Depth=2
                                        ;       Parent Loop BB135_27 Depth=3
                                        ;         Parent Loop BB135_32 Depth=4
                                        ; =>        This Inner Loop Header: Depth=5
	s_sub_co_i32 s45, s21, s43
	s_sub_co_i32 s46, s38, s42
	s_lshl_b32 s45, s45, 5
	s_lshl_b32 s46, s46, 5
	s_add_co_i32 s45, s41, s45
	s_add_co_i32 s46, s41, s46
	s_delay_alu instid0(SALU_CYCLE_1)
	v_dual_mov_b32 v23, s45 :: v_dual_mov_b32 v24, s46
	s_add_co_i32 s44, s44, -2
	s_add_co_i32 s43, s43, 2
	s_add_co_i32 s42, s42, 2
	ds_load_b64 v[28:29], v23
	ds_load_b64 v[30:31], v24
	ds_load_b128 v[24:27], v15
	s_cmp_lg_u32 s44, 0
	s_wait_dscnt 0x1
	v_dual_mov_b32 v34, v28 :: v_dual_mov_b32 v35, v30
	s_wait_dscnt 0x0
	v_dual_mov_b32 v30, v29 :: v_dual_mov_b32 v32, v24
	v_dual_mov_b32 v33, v26 :: v_dual_mov_b32 v26, v25
	s_delay_alu instid0(VALU_DEP_2) | instskip(SKIP_1) | instid1(VALU_DEP_2)
	v_pk_mul_f32 v[28:29], v[30:31], v[18:19]
	v_pk_mul_f32 v[30:31], v[30:31], v[16:17]
	v_pk_fma_f32 v[24:25], v[34:35], v[16:17], v[28:29] neg_lo:[0,0,1] neg_hi:[0,0,1]
	s_delay_alu instid0(VALU_DEP_2) | instskip(NEXT) | instid1(VALU_DEP_2)
	v_pk_fma_f32 v[28:29], v[34:35], v[18:19], v[30:31]
	v_pk_add_f32 v[30:31], v[32:33], v[24:25] neg_lo:[0,1] neg_hi:[0,1]
	s_delay_alu instid0(VALU_DEP_2) | instskip(NEXT) | instid1(VALU_DEP_1)
	v_pk_add_f32 v[26:27], v[26:27], v[28:29] neg_lo:[0,1] neg_hi:[0,1]
	v_dual_mov_b32 v24, v30 :: v_dual_mov_b32 v25, v26
	s_delay_alu instid0(VALU_DEP_3)
	v_mov_b32_e32 v26, v31
	ds_store_b128 v15, v[24:27]
	v_add_nc_u32_e32 v15, 16, v15
	s_cbranch_scc1 .LBB135_34
; %bb.35:                               ;   in Loop: Header=BB135_32 Depth=4
	s_mov_b32 s41, s33
	s_mov_b32 s42, s31
	s_branch .LBB135_38
.LBB135_36:                             ;   in Loop: Header=BB135_32 Depth=4
	s_wait_dscnt 0x0
	v_mov_b32_e32 v14, v13
	s_mov_b32 s41, 0
	s_mov_b32 s42, s31
	s_cbranch_execz .LBB135_38
; %bb.37:                               ;   in Loop: Header=BB135_32 Depth=4
	s_mov_b32 s41, -1
	s_mov_b32 s42, 0
.LBB135_38:                             ;   in Loop: Header=BB135_32 Depth=4
	s_and_not1_b32 vcc_lo, exec_lo, s41
	s_cbranch_vccnz .LBB135_31
; %bb.39:                               ;   in Loop: Header=BB135_32 Depth=4
	v_dual_mov_b32 v15, v13 :: v_dual_mov_b32 v13, v12
	v_lshl_add_u32 v16, s42, 3, v3
	s_lshl_b32 s43, s42, 5
	s_sub_co_i32 s41, s29, s42
	s_sub_co_i32 s42, s39, s43
.LBB135_40:                             ;   Parent Loop BB135_3 Depth=1
                                        ;     Parent Loop BB135_24 Depth=2
                                        ;       Parent Loop BB135_27 Depth=3
                                        ;         Parent Loop BB135_32 Depth=4
                                        ; =>        This Inner Loop Header: Depth=5
	s_delay_alu instid0(SALU_CYCLE_1)
	v_mov_b32_e32 v17, s42
	s_add_co_i32 s41, s41, -1
	s_sub_co_i32 s42, s42, 32
	s_cmp_eq_u32 s41, 0
	ds_load_b64 v[18:19], v17
	ds_load_b64 v[24:25], v16
	s_wait_dscnt 0x1
	v_pk_mul_f32 v[26:27], v[18:19], v[14:15] op_sel:[1,0] op_sel_hi:[0,1]
	s_delay_alu instid0(VALU_DEP_1) | instskip(SKIP_1) | instid1(VALU_DEP_2)
	v_pk_fma_f32 v[28:29], v[18:19], v[12:13], v[26:27]
	v_pk_fma_f32 v[18:19], v[18:19], v[12:13], v[26:27] neg_lo:[0,0,1] neg_hi:[0,0,1]
	v_mov_b32_e32 v19, v29
	s_wait_dscnt 0x0
	s_delay_alu instid0(VALU_DEP_1)
	v_pk_add_f32 v[18:19], v[24:25], v[18:19] neg_lo:[0,1] neg_hi:[0,1]
	ds_store_b64 v16, v[18:19]
	v_add_nc_u32_e32 v16, 8, v16
	s_cbranch_scc0 .LBB135_40
	s_branch .LBB135_31
.LBB135_41:                             ;   in Loop: Header=BB135_27 Depth=3
	s_lshl_b32 s38, s21, 5
	s_mov_b32 s39, 0
	s_mov_b32 s40, s36
	s_branch .LBB135_43
.LBB135_42:                             ;   in Loop: Header=BB135_43 Depth=4
	s_mul_i32 s42, s42, 40
	s_add_co_i32 s39, s39, 1
	v_mov_b32_e32 v13, s42
	s_sub_co_i32 s40, s40, 32
	s_cmp_eq_u32 s39, s29
	ds_load_b64 v[16:17], v13
	s_wait_dscnt 0x0
	v_pk_mul_f32 v[18:19], v[16:17], v[14:15] op_sel:[1,0] op_sel_hi:[0,0]
	v_add_nc_u32_e32 v14, s41, v20
	s_delay_alu instid0(VALU_DEP_2) | instskip(SKIP_1) | instid1(VALU_DEP_2)
	v_pk_fma_f32 v[24:25], v[16:17], v[12:13], v[18:19] op_sel_hi:[1,0,1]
	v_pk_fma_f32 v[12:13], v[16:17], v[12:13], v[18:19] neg_lo:[0,0,1] neg_hi:[0,0,1]
	v_mov_b32_e32 v13, v25
	ds_store_b64 v15, v[12:13]
	ds_store_b64 v14, v[12:13]
	s_cbranch_scc1 .LBB135_26
.LBB135_43:                             ;   Parent Loop BB135_3 Depth=1
                                        ;     Parent Loop BB135_24 Depth=2
                                        ;       Parent Loop BB135_27 Depth=3
                                        ; =>      This Loop Header: Depth=4
                                        ;           Child Loop BB135_45 Depth 5
	v_lshl_add_u32 v15, s39, 3, v3
	s_cmp_lg_u32 s39, 0
	s_cbranch_scc0 .LBB135_47
; %bb.44:                               ;   in Loop: Header=BB135_43 Depth=4
	ds_load_b64 v[12:13], v15
	v_mov_b32_e32 v14, v3
	s_mov_b32 s41, s40
	s_mov_b32 s42, s39
.LBB135_45:                             ;   Parent Loop BB135_3 Depth=1
                                        ;     Parent Loop BB135_24 Depth=2
                                        ;       Parent Loop BB135_27 Depth=3
                                        ;         Parent Loop BB135_43 Depth=4
                                        ; =>        This Inner Loop Header: Depth=5
	v_mov_b32_e32 v18, s41
	s_add_co_i32 s42, s42, -1
	s_add_co_i32 s41, s41, -8
	s_cmp_eq_u32 s42, 0
	ds_load_b64 v[16:17], v14
	ds_load_b64 v[18:19], v18
	v_add_nc_u32_e32 v14, 8, v14
	s_wait_dscnt 0x0
	v_pk_mul_f32 v[24:25], v[18:19], v[16:17] op_sel:[1,1] op_sel_hi:[0,1]
	s_delay_alu instid0(VALU_DEP_1) | instskip(SKIP_1) | instid1(VALU_DEP_2)
	v_pk_fma_f32 v[26:27], v[18:19], v[16:17], v[24:25] op_sel_hi:[1,0,1]
	v_pk_fma_f32 v[16:17], v[18:19], v[16:17], v[24:25] neg_lo:[0,0,1] neg_hi:[0,0,1]
	v_mov_b32_e32 v17, v27
	s_delay_alu instid0(VALU_DEP_1)
	v_pk_add_f32 v[12:13], v[12:13], v[16:17] neg_lo:[0,1] neg_hi:[0,1]
	ds_store_b64 v15, v[12:13]
	s_cbranch_scc0 .LBB135_45
; %bb.46:                               ;   in Loop: Header=BB135_43 Depth=4
	v_mov_b32_e32 v14, v13
	s_sub_co_i32 s42, s21, s39
	s_delay_alu instid0(SALU_CYCLE_1)
	s_lshl_b32 s41, s42, 5
	s_branch .LBB135_42
.LBB135_47:                             ;   in Loop: Header=BB135_43 Depth=4
                                        ; implicit-def: $vgpr12
                                        ; implicit-def: $vgpr14
                                        ; implicit-def: $sgpr42
                                        ; implicit-def: $sgpr41
	s_cbranch_execz .LBB135_42
; %bb.48:                               ;   in Loop: Header=BB135_43 Depth=4
	ds_load_b64 v[12:13], v3
	s_mov_b32 s41, s38
	s_mov_b32 s42, s21
	s_wait_dscnt 0x0
	v_mov_b32_e32 v14, v13
	s_branch .LBB135_42
.LBB135_49:                             ;   in Loop: Header=BB135_3 Depth=1
	s_mov_b32 s21, 0
.LBB135_50:                             ;   in Loop: Header=BB135_3 Depth=1
	s_delay_alu instid0(SALU_CYCLE_1)
	s_and_b32 vcc_lo, exec_lo, s21
	s_cbranch_vccz .LBB135_78
; %bb.51:                               ;   in Loop: Header=BB135_3 Depth=1
	s_mov_b32 s26, 0
	s_mov_b32 s21, 0
	s_branch .LBB135_53
.LBB135_52:                             ;   in Loop: Header=BB135_53 Depth=2
	s_cmp_lt_i32 s21, s22
	s_cselect_b32 s27, -1, 0
	s_add_co_i32 s28, s26, 1
	s_cmp_lt_u32 s26, 2
	s_wait_xcnt 0x0
	s_cselect_b32 s26, -1, 0
	s_delay_alu instid0(SALU_CYCLE_1) | instskip(NEXT) | instid1(SALU_CYCLE_1)
	s_and_b32 s26, s27, s26
	s_and_not1_b32 vcc_lo, exec_lo, s26
	s_mov_b32 s26, s28
	s_cbranch_vccnz .LBB135_78
.LBB135_53:                             ;   Parent Loop BB135_3 Depth=1
                                        ; =>  This Loop Header: Depth=2
                                        ;       Child Loop BB135_56 Depth 3
                                        ;         Child Loop BB135_57 Depth 4
                                        ;         Child Loop BB135_61 Depth 4
                                        ;           Child Loop BB135_63 Depth 5
                                        ;           Child Loop BB135_69 Depth 5
                                        ;         Child Loop BB135_72 Depth 4
                                        ;           Child Loop BB135_74 Depth 5
	s_load_b32 s27, s[8:9], s26 offset:0x0 scale_offset
	s_wait_kmcnt 0x0
	s_add_co_i32 s28, s27, -1
	s_delay_alu instid0(SALU_CYCLE_1) | instskip(NEXT) | instid1(SALU_CYCLE_1)
	s_add_co_i32 s29, s28, s21
	s_cmp_ge_i32 s29, s22
	s_cbranch_scc1 .LBB135_52
; %bb.54:                               ;   in Loop: Header=BB135_53 Depth=2
	s_add_co_i32 s30, s26, -1
	s_max_i32 s29, s27, 1
	s_cmp_gt_u32 s30, 1
	v_lshl_add_u32 v22, s21, 5, v20
	s_cselect_b32 s30, -1, 0
	s_and_b32 s31, s29, 0x7ffffffe
	s_mul_i32 s37, s21, 40
	s_cmp_lg_u32 s29, s31
	s_mul_i32 s38, s27, 40
	s_cselect_b32 s33, -1, 0
	s_lshl_b32 s34, s27, 5
	s_lshl_b32 s35, s21, 3
	;; [unrolled: 1-line block ×3, first 2 shown]
	s_branch .LBB135_56
.LBB135_55:                             ;   in Loop: Header=BB135_56 Depth=3
	s_add_co_i32 s21, s21, s27
	v_add_nc_u32_e32 v22, s34, v22
	s_add_co_i32 s39, s28, s21
	s_add_co_i32 s35, s35, s36
	;; [unrolled: 1-line block ×3, first 2 shown]
	s_cmp_ge_i32 s39, s22
	s_cbranch_scc1 .LBB135_52
.LBB135_56:                             ;   Parent Loop BB135_3 Depth=1
                                        ;     Parent Loop BB135_53 Depth=2
                                        ; =>    This Loop Header: Depth=3
                                        ;         Child Loop BB135_57 Depth 4
                                        ;         Child Loop BB135_61 Depth 4
                                        ;           Child Loop BB135_63 Depth 5
                                        ;           Child Loop BB135_69 Depth 5
                                        ;         Child Loop BB135_72 Depth 4
                                        ;           Child Loop BB135_74 Depth 5
	v_dual_mov_b32 v12, v3 :: v_dual_mov_b32 v13, v22
	s_mov_b32 s39, s29
.LBB135_57:                             ;   Parent Loop BB135_3 Depth=1
                                        ;     Parent Loop BB135_53 Depth=2
                                        ;       Parent Loop BB135_56 Depth=3
                                        ; =>      This Inner Loop Header: Depth=4
	ds_load_b64 v[14:15], v13
	v_add_nc_u32_e32 v13, 32, v13
	s_add_co_i32 s39, s39, -1
	s_delay_alu instid0(SALU_CYCLE_1)
	s_cmp_eq_u32 s39, 0
	s_wait_dscnt 0x0
	ds_store_b64 v12, v[14:15]
	v_add_nc_u32_e32 v12, 8, v12
	s_cbranch_scc0 .LBB135_57
; %bb.58:                               ;   in Loop: Header=BB135_56 Depth=3
	s_cmp_lt_i32 s21, 1
	s_cbranch_scc1 .LBB135_70
; %bb.59:                               ;   in Loop: Header=BB135_56 Depth=3
	s_mov_b32 s39, 0
	s_mov_b32 s40, s35
	s_branch .LBB135_61
.LBB135_60:                             ;   in Loop: Header=BB135_61 Depth=4
	s_add_co_i32 s39, s39, 1
	s_add_co_i32 s40, s40, 32
	s_cmp_eq_u32 s39, s21
	s_cbranch_scc1 .LBB135_70
.LBB135_61:                             ;   Parent Loop BB135_3 Depth=1
                                        ;     Parent Loop BB135_53 Depth=2
                                        ;       Parent Loop BB135_56 Depth=3
                                        ; =>      This Loop Header: Depth=4
                                        ;           Child Loop BB135_63 Depth 5
                                        ;           Child Loop BB135_69 Depth 5
	v_lshl_add_u32 v12, s39, 5, v20
	s_and_b32 vcc_lo, exec_lo, s30
	ds_load_b64 v[12:13], v12
	s_cbranch_vccz .LBB135_65
; %bb.62:                               ;   in Loop: Header=BB135_61 Depth=4
	s_wait_dscnt 0x0
	v_dual_mov_b32 v16, v12 :: v_dual_mov_b32 v17, v12
	v_dual_mov_b32 v14, v13 :: v_dual_mov_b32 v18, v13
	;; [unrolled: 1-line block ×3, first 2 shown]
	s_mov_b32 s41, s31
	s_mov_b32 s42, s40
.LBB135_63:                             ;   Parent Loop BB135_3 Depth=1
                                        ;     Parent Loop BB135_53 Depth=2
                                        ;       Parent Loop BB135_56 Depth=3
                                        ;         Parent Loop BB135_61 Depth=4
                                        ; =>        This Inner Loop Header: Depth=5
	s_delay_alu instid0(SALU_CYCLE_1)
	v_mov_b32_e32 v23, s42
	s_add_co_i32 s41, s41, -2
	s_add_co_i32 s42, s42, 16
	s_cmp_lg_u32 s41, 0
	ds_load_2addr_b64 v[24:27], v23 offset1:1
	ds_load_b128 v[28:31], v15
	s_wait_dscnt 0x0
	v_dual_mov_b32 v35, v26 :: v_dual_mov_b32 v33, v30
	v_dual_mov_b32 v26, v25 :: v_dual_mov_b32 v34, v24
	;; [unrolled: 1-line block ×3, first 2 shown]
	s_delay_alu instid0(VALU_DEP_2) | instskip(SKIP_1) | instid1(VALU_DEP_2)
	v_pk_mul_f32 v[24:25], v[26:27], v[18:19]
	v_pk_mul_f32 v[26:27], v[26:27], v[16:17]
	v_pk_fma_f32 v[24:25], v[34:35], v[16:17], v[24:25] neg_lo:[0,0,1] neg_hi:[0,0,1]
	s_delay_alu instid0(VALU_DEP_2) | instskip(NEXT) | instid1(VALU_DEP_2)
	v_pk_fma_f32 v[26:27], v[34:35], v[18:19], v[26:27]
	v_pk_add_f32 v[28:29], v[32:33], v[24:25] neg_lo:[0,1] neg_hi:[0,1]
	s_delay_alu instid0(VALU_DEP_1) | instskip(NEXT) | instid1(VALU_DEP_3)
	v_mov_b32_e32 v24, v28
	v_pk_add_f32 v[26:27], v[30:31], v[26:27] neg_lo:[0,1] neg_hi:[0,1]
	s_delay_alu instid0(VALU_DEP_1)
	v_dual_mov_b32 v25, v26 :: v_dual_mov_b32 v26, v29
	ds_store_b128 v15, v[24:27]
	v_add_nc_u32_e32 v15, 16, v15
	s_cbranch_scc1 .LBB135_63
; %bb.64:                               ;   in Loop: Header=BB135_61 Depth=4
	s_mov_b32 s41, s33
	s_mov_b32 s42, s31
	s_branch .LBB135_67
.LBB135_65:                             ;   in Loop: Header=BB135_61 Depth=4
	s_wait_dscnt 0x0
	v_mov_b32_e32 v14, v13
	s_mov_b32 s41, 0
	s_mov_b32 s42, s31
	s_cbranch_execz .LBB135_67
; %bb.66:                               ;   in Loop: Header=BB135_61 Depth=4
	s_mov_b32 s41, -1
	s_mov_b32 s42, 0
.LBB135_67:                             ;   in Loop: Header=BB135_61 Depth=4
	s_and_not1_b32 vcc_lo, exec_lo, s41
	s_cbranch_vccnz .LBB135_60
; %bb.68:                               ;   in Loop: Header=BB135_61 Depth=4
	v_dual_mov_b32 v15, v13 :: v_dual_mov_b32 v13, v12
	s_sub_co_i32 s41, s29, s42
	s_lshl_b32 s42, s42, 3
.LBB135_69:                             ;   Parent Loop BB135_3 Depth=1
                                        ;     Parent Loop BB135_53 Depth=2
                                        ;       Parent Loop BB135_56 Depth=3
                                        ;         Parent Loop BB135_61 Depth=4
                                        ; =>        This Inner Loop Header: Depth=5
	s_delay_alu instid0(SALU_CYCLE_1)
	s_add_co_i32 s43, s40, s42
	s_add_co_i32 s41, s41, -1
	v_dual_mov_b32 v16, s43 :: v_dual_add_nc_u32 v23, s42, v3
	s_add_co_i32 s42, s42, 8
	s_cmp_eq_u32 s41, 0
	ds_load_b64 v[16:17], v16
	ds_load_b64 v[18:19], v23
	s_wait_dscnt 0x1
	v_pk_mul_f32 v[24:25], v[16:17], v[14:15] op_sel:[1,0] op_sel_hi:[0,1]
	s_delay_alu instid0(VALU_DEP_1) | instskip(SKIP_1) | instid1(VALU_DEP_2)
	v_pk_fma_f32 v[26:27], v[16:17], v[12:13], v[24:25]
	v_pk_fma_f32 v[16:17], v[16:17], v[12:13], v[24:25] neg_lo:[0,0,1] neg_hi:[0,0,1]
	v_mov_b32_e32 v17, v27
	s_wait_dscnt 0x0
	s_delay_alu instid0(VALU_DEP_1)
	v_pk_add_f32 v[16:17], v[18:19], v[16:17] neg_lo:[0,1] neg_hi:[0,1]
	ds_store_b64 v23, v[16:17]
	s_cbranch_scc0 .LBB135_69
	s_branch .LBB135_60
.LBB135_70:                             ;   in Loop: Header=BB135_56 Depth=3
	s_mov_b32 s39, 0
	s_mov_b32 s40, s37
	s_branch .LBB135_72
.LBB135_71:                             ;   in Loop: Header=BB135_72 Depth=4
	s_add_co_i32 s41, s39, s21
	s_add_co_i32 s39, s39, 1
	s_mul_i32 s42, s41, 40
	s_add_co_i32 s40, s40, 8
	v_mov_b32_e32 v13, s42
	s_cmp_eq_u32 s39, s29
	ds_load_b64 v[16:17], v13
	s_wait_dscnt 0x0
	v_pk_mul_f32 v[18:19], v[16:17], v[14:15] op_sel:[1,0] op_sel_hi:[0,0]
	v_lshl_add_u32 v14, s41, 5, v20
	s_delay_alu instid0(VALU_DEP_2) | instskip(SKIP_1) | instid1(VALU_DEP_2)
	v_pk_fma_f32 v[24:25], v[16:17], v[12:13], v[18:19] op_sel_hi:[1,0,1]
	v_pk_fma_f32 v[12:13], v[16:17], v[12:13], v[18:19] neg_lo:[0,0,1] neg_hi:[0,0,1]
	v_mov_b32_e32 v13, v25
	ds_store_b64 v15, v[12:13]
	ds_store_b64 v14, v[12:13]
	s_cbranch_scc1 .LBB135_55
.LBB135_72:                             ;   Parent Loop BB135_3 Depth=1
                                        ;     Parent Loop BB135_53 Depth=2
                                        ;       Parent Loop BB135_56 Depth=3
                                        ; =>      This Loop Header: Depth=4
                                        ;           Child Loop BB135_74 Depth 5
	v_lshl_add_u32 v15, s39, 3, v3
	s_cmp_lg_u32 s39, 0
	s_cbranch_scc0 .LBB135_76
; %bb.73:                               ;   in Loop: Header=BB135_72 Depth=4
	ds_load_b64 v[12:13], v15
	v_mov_b32_e32 v14, v3
	s_mov_b32 s41, s40
	s_mov_b32 s42, s39
.LBB135_74:                             ;   Parent Loop BB135_3 Depth=1
                                        ;     Parent Loop BB135_53 Depth=2
                                        ;       Parent Loop BB135_56 Depth=3
                                        ;         Parent Loop BB135_72 Depth=4
                                        ; =>        This Inner Loop Header: Depth=5
	v_mov_b32_e32 v18, s41
	s_add_co_i32 s42, s42, -1
	s_add_co_i32 s41, s41, 32
	s_cmp_eq_u32 s42, 0
	ds_load_b64 v[16:17], v14
	ds_load_b64 v[18:19], v18
	v_add_nc_u32_e32 v14, 8, v14
	s_wait_dscnt 0x0
	v_pk_mul_f32 v[24:25], v[18:19], v[16:17] op_sel:[1,1] op_sel_hi:[0,1]
	s_delay_alu instid0(VALU_DEP_1) | instskip(SKIP_1) | instid1(VALU_DEP_2)
	v_pk_fma_f32 v[26:27], v[18:19], v[16:17], v[24:25] op_sel_hi:[1,0,1]
	v_pk_fma_f32 v[16:17], v[18:19], v[16:17], v[24:25] neg_lo:[0,0,1] neg_hi:[0,0,1]
	v_mov_b32_e32 v17, v27
	s_delay_alu instid0(VALU_DEP_1)
	v_pk_add_f32 v[12:13], v[12:13], v[16:17] neg_lo:[0,1] neg_hi:[0,1]
	ds_store_b64 v15, v[12:13]
	s_cbranch_scc0 .LBB135_74
; %bb.75:                               ;   in Loop: Header=BB135_72 Depth=4
	v_mov_b32_e32 v14, v13
	s_branch .LBB135_71
.LBB135_76:                             ;   in Loop: Header=BB135_72 Depth=4
                                        ; implicit-def: $vgpr12
                                        ; implicit-def: $vgpr14
	s_cbranch_execz .LBB135_71
; %bb.77:                               ;   in Loop: Header=BB135_72 Depth=4
	ds_load_b64 v[12:13], v3
	s_wait_dscnt 0x0
	v_mov_b32_e32 v14, v13
	s_branch .LBB135_71
.LBB135_78:                             ;   in Loop: Header=BB135_3 Depth=1
	s_wait_dscnt 0x0
	; wave barrier
	s_and_saveexec_b32 s21, s14
	s_cbranch_execz .LBB135_2
; %bb.79:                               ;   in Loop: Header=BB135_3 Depth=1
	v_add_nc_u64_e32 v[12:13], s[12:13], v[4:5]
	v_mov_b32_e32 v14, v20
	s_mov_b32 s12, s22
.LBB135_80:                             ;   Parent Loop BB135_3 Depth=1
                                        ; =>  This Inner Loop Header: Depth=2
	ds_load_b64 v[16:17], v14
	v_add_nc_u32_e32 v14, 32, v14
	s_add_co_i32 s12, s12, -1
	s_delay_alu instid0(SALU_CYCLE_1)
	s_cmp_lg_u32 s12, 0
	s_wait_dscnt 0x0
	global_store_b64 v[12:13], v[16:17], off
	s_wait_xcnt 0x0
	v_add_nc_u64_e32 v[12:13], 8, v[12:13]
	s_cbranch_scc1 .LBB135_80
	s_branch .LBB135_2
.LBB135_81:
	s_endpgm
	.section	.rodata,"a",@progbits
	.p2align	6, 0x0
	.amdhsa_kernel _ZL38rocblas_trsm_small_left_device_sharedBILi4ELi4ELb1E19rocblas_complex_numIfES1_PKS1_PS1_Ev13rocblas_fill_18rocblas_operation_17rocblas_diagonal_iiT3_T4_lilT5_lili
		.amdhsa_group_segment_fixed_size 384
		.amdhsa_private_segment_fixed_size 0
		.amdhsa_kernarg_size 360
		.amdhsa_user_sgpr_count 4
		.amdhsa_user_sgpr_dispatch_ptr 1
		.amdhsa_user_sgpr_queue_ptr 0
		.amdhsa_user_sgpr_kernarg_segment_ptr 1
		.amdhsa_user_sgpr_dispatch_id 0
		.amdhsa_user_sgpr_kernarg_preload_length 0
		.amdhsa_user_sgpr_kernarg_preload_offset 0
		.amdhsa_user_sgpr_private_segment_size 0
		.amdhsa_wavefront_size32 1
		.amdhsa_uses_dynamic_stack 0
		.amdhsa_enable_private_segment 0
		.amdhsa_system_sgpr_workgroup_id_x 1
		.amdhsa_system_sgpr_workgroup_id_y 0
		.amdhsa_system_sgpr_workgroup_id_z 1
		.amdhsa_system_sgpr_workgroup_info 0
		.amdhsa_system_vgpr_workitem_id 2
		.amdhsa_next_free_vgpr 36
		.amdhsa_next_free_sgpr 47
		.amdhsa_named_barrier_count 0
		.amdhsa_reserve_vcc 1
		.amdhsa_float_round_mode_32 0
		.amdhsa_float_round_mode_16_64 0
		.amdhsa_float_denorm_mode_32 3
		.amdhsa_float_denorm_mode_16_64 3
		.amdhsa_fp16_overflow 0
		.amdhsa_memory_ordered 1
		.amdhsa_forward_progress 1
		.amdhsa_inst_pref_size 28
		.amdhsa_round_robin_scheduling 0
		.amdhsa_exception_fp_ieee_invalid_op 0
		.amdhsa_exception_fp_denorm_src 0
		.amdhsa_exception_fp_ieee_div_zero 0
		.amdhsa_exception_fp_ieee_overflow 0
		.amdhsa_exception_fp_ieee_underflow 0
		.amdhsa_exception_fp_ieee_inexact 0
		.amdhsa_exception_int_div_zero 0
	.end_amdhsa_kernel
	.section	.text._ZL38rocblas_trsm_small_left_device_sharedBILi4ELi4ELb1E19rocblas_complex_numIfES1_PKS1_PS1_Ev13rocblas_fill_18rocblas_operation_17rocblas_diagonal_iiT3_T4_lilT5_lili,"axG",@progbits,_ZL38rocblas_trsm_small_left_device_sharedBILi4ELi4ELb1E19rocblas_complex_numIfES1_PKS1_PS1_Ev13rocblas_fill_18rocblas_operation_17rocblas_diagonal_iiT3_T4_lilT5_lili,comdat
.Lfunc_end135:
	.size	_ZL38rocblas_trsm_small_left_device_sharedBILi4ELi4ELb1E19rocblas_complex_numIfES1_PKS1_PS1_Ev13rocblas_fill_18rocblas_operation_17rocblas_diagonal_iiT3_T4_lilT5_lili, .Lfunc_end135-_ZL38rocblas_trsm_small_left_device_sharedBILi4ELi4ELb1E19rocblas_complex_numIfES1_PKS1_PS1_Ev13rocblas_fill_18rocblas_operation_17rocblas_diagonal_iiT3_T4_lilT5_lili
                                        ; -- End function
	.set _ZL38rocblas_trsm_small_left_device_sharedBILi4ELi4ELb1E19rocblas_complex_numIfES1_PKS1_PS1_Ev13rocblas_fill_18rocblas_operation_17rocblas_diagonal_iiT3_T4_lilT5_lili.num_vgpr, 36
	.set _ZL38rocblas_trsm_small_left_device_sharedBILi4ELi4ELb1E19rocblas_complex_numIfES1_PKS1_PS1_Ev13rocblas_fill_18rocblas_operation_17rocblas_diagonal_iiT3_T4_lilT5_lili.num_agpr, 0
	.set _ZL38rocblas_trsm_small_left_device_sharedBILi4ELi4ELb1E19rocblas_complex_numIfES1_PKS1_PS1_Ev13rocblas_fill_18rocblas_operation_17rocblas_diagonal_iiT3_T4_lilT5_lili.numbered_sgpr, 47
	.set _ZL38rocblas_trsm_small_left_device_sharedBILi4ELi4ELb1E19rocblas_complex_numIfES1_PKS1_PS1_Ev13rocblas_fill_18rocblas_operation_17rocblas_diagonal_iiT3_T4_lilT5_lili.num_named_barrier, 0
	.set _ZL38rocblas_trsm_small_left_device_sharedBILi4ELi4ELb1E19rocblas_complex_numIfES1_PKS1_PS1_Ev13rocblas_fill_18rocblas_operation_17rocblas_diagonal_iiT3_T4_lilT5_lili.private_seg_size, 0
	.set _ZL38rocblas_trsm_small_left_device_sharedBILi4ELi4ELb1E19rocblas_complex_numIfES1_PKS1_PS1_Ev13rocblas_fill_18rocblas_operation_17rocblas_diagonal_iiT3_T4_lilT5_lili.uses_vcc, 1
	.set _ZL38rocblas_trsm_small_left_device_sharedBILi4ELi4ELb1E19rocblas_complex_numIfES1_PKS1_PS1_Ev13rocblas_fill_18rocblas_operation_17rocblas_diagonal_iiT3_T4_lilT5_lili.uses_flat_scratch, 0
	.set _ZL38rocblas_trsm_small_left_device_sharedBILi4ELi4ELb1E19rocblas_complex_numIfES1_PKS1_PS1_Ev13rocblas_fill_18rocblas_operation_17rocblas_diagonal_iiT3_T4_lilT5_lili.has_dyn_sized_stack, 0
	.set _ZL38rocblas_trsm_small_left_device_sharedBILi4ELi4ELb1E19rocblas_complex_numIfES1_PKS1_PS1_Ev13rocblas_fill_18rocblas_operation_17rocblas_diagonal_iiT3_T4_lilT5_lili.has_recursion, 0
	.set _ZL38rocblas_trsm_small_left_device_sharedBILi4ELi4ELb1E19rocblas_complex_numIfES1_PKS1_PS1_Ev13rocblas_fill_18rocblas_operation_17rocblas_diagonal_iiT3_T4_lilT5_lili.has_indirect_call, 0
	.section	.AMDGPU.csdata,"",@progbits
; Kernel info:
; codeLenInByte = 3480
; TotalNumSgprs: 49
; NumVgprs: 36
; ScratchSize: 0
; MemoryBound: 0
; FloatMode: 240
; IeeeMode: 1
; LDSByteSize: 384 bytes/workgroup (compile time only)
; SGPRBlocks: 0
; VGPRBlocks: 2
; NumSGPRsForWavesPerEU: 49
; NumVGPRsForWavesPerEU: 36
; NamedBarCnt: 0
; Occupancy: 16
; WaveLimiterHint : 0
; COMPUTE_PGM_RSRC2:SCRATCH_EN: 0
; COMPUTE_PGM_RSRC2:USER_SGPR: 4
; COMPUTE_PGM_RSRC2:TRAP_HANDLER: 0
; COMPUTE_PGM_RSRC2:TGID_X_EN: 1
; COMPUTE_PGM_RSRC2:TGID_Y_EN: 0
; COMPUTE_PGM_RSRC2:TGID_Z_EN: 1
; COMPUTE_PGM_RSRC2:TIDIG_COMP_CNT: 2
	.section	.text._ZL30rocblas_trsm_small_left_deviceILi4ELi4ELb1E19rocblas_complex_numIfES1_PKS1_PS1_Ev13rocblas_fill_18rocblas_operation_17rocblas_diagonal_iiT3_T4_lilT5_lili,"axG",@progbits,_ZL30rocblas_trsm_small_left_deviceILi4ELi4ELb1E19rocblas_complex_numIfES1_PKS1_PS1_Ev13rocblas_fill_18rocblas_operation_17rocblas_diagonal_iiT3_T4_lilT5_lili,comdat
	.globl	_ZL30rocblas_trsm_small_left_deviceILi4ELi4ELb1E19rocblas_complex_numIfES1_PKS1_PS1_Ev13rocblas_fill_18rocblas_operation_17rocblas_diagonal_iiT3_T4_lilT5_lili ; -- Begin function _ZL30rocblas_trsm_small_left_deviceILi4ELi4ELb1E19rocblas_complex_numIfES1_PKS1_PS1_Ev13rocblas_fill_18rocblas_operation_17rocblas_diagonal_iiT3_T4_lilT5_lili
	.p2align	8
	.type	_ZL30rocblas_trsm_small_left_deviceILi4ELi4ELb1E19rocblas_complex_numIfES1_PKS1_PS1_Ev13rocblas_fill_18rocblas_operation_17rocblas_diagonal_iiT3_T4_lilT5_lili,@function
_ZL30rocblas_trsm_small_left_deviceILi4ELi4ELb1E19rocblas_complex_numIfES1_PKS1_PS1_Ev13rocblas_fill_18rocblas_operation_17rocblas_diagonal_iiT3_T4_lilT5_lili: ; @_ZL30rocblas_trsm_small_left_deviceILi4ELi4ELb1E19rocblas_complex_numIfES1_PKS1_PS1_Ev13rocblas_fill_18rocblas_operation_17rocblas_diagonal_iiT3_T4_lilT5_lili
; %bb.0:
	s_load_b32 s33, s[2:3], 0x60
	s_bfe_u32 s4, ttmp6, 0x40014
	s_lshr_b32 s5, ttmp7, 16
	s_add_co_i32 s4, s4, 1
	s_bfe_u32 s6, ttmp6, 0x40008
	s_mul_i32 s4, s5, s4
	s_getreg_b32 s11, hwreg(HW_REG_IB_STS2, 6, 4)
	s_add_co_i32 s6, s6, s4
	s_cmp_eq_u32 s11, 0
	s_mov_b32 s19, 0
	s_cselect_b32 s16, s5, s6
	s_wait_kmcnt 0x0
	s_cmp_ge_u32 s16, s33
	s_cbranch_scc1 .LBB136_87
; %bb.1:
	s_clause 0x1
	s_load_b32 s26, s[2:3], 0x30
	s_load_b96 s[8:10], s[2:3], 0x48
	s_load_b64 s[28:29], s[0:1], 0x4
	s_clause 0x2
	s_load_b128 s[4:7], s[2:3], 0x4
	s_load_b32 s12, s[2:3], 0x68
	s_load_b64 s[20:21], s[2:3], 0x14
	v_and_b32_e32 v8, 0x3ff, v0
	v_bfe_u32 v6, v0, 10, 10
	v_bfe_u32 v7, v0, 20, 10
	v_mov_b64_e32 v[10:11], 0x3f800000
	s_mov_b32 s40, 0
	v_dual_mov_b32 v1, 0 :: v_dual_lshlrev_b32 v12, 5, v8
	v_lshlrev_b32_e32 v0, 3, v8
	s_delay_alu instid0(VALU_DEP_1)
	v_add_nc_u32_e32 v24, v0, v12
	s_wait_kmcnt 0x0
	s_ashr_i32 s27, s26, 31
	s_ashr_i32 s1, s10, 31
	s_lshr_b32 s17, s28, 16
	s_cmp_lg_u32 s4, 0x71
	s_mul_i32 s17, s17, s29
	s_cselect_b32 s34, -1, 0
	s_bfe_u32 s0, ttmp6, 0x4000c
	s_min_i32 s35, s6, 4
	s_add_co_i32 s0, s0, 1
	s_and_b32 s6, ttmp6, 15
	s_mul_i32 s0, ttmp9, s0
	s_lshl_b64 s[30:31], s[8:9], 3
	s_add_co_i32 s18, s12, -1
	s_add_co_i32 s36, s35, -1
	s_add_co_i32 s6, s6, s0
	s_cmp_eq_u32 s11, 0
	s_mov_b32 s0, s10
	s_cselect_b32 s28, ttmp9, s6
	s_clause 0x1
	s_load_b128 s[12:15], s[2:3], 0x20
	s_load_b128 s[8:11], s[2:3], 0x38
	s_lshl_b32 s37, s28, 2
	s_wait_xcnt 0x0
	s_load_b64 s[2:3], s[2:3], 0x58
	v_or_b32_e32 v2, s37, v8
	v_mul_u32_u24_e32 v9, s17, v8
	v_mul_u32_u24_e32 v6, s29, v6
	s_mov_b32 s22, s20
	s_mov_b32 s23, s20
	v_ashrrev_i32_e32 v3, 31, v2
	s_mov_b32 s24, s21
	v_add3_u32 v9, v9, v6, v7
	s_mov_b32 s25, s21
	s_mov_b32 s6, s21
	v_mul_u64_e32 v[4:5], s[0:1], v[2:3]
	s_sub_co_i32 s0, s7, s37
	s_cmp_ge_u32 s28, s18
	v_mov_b64_e32 v[2:3], 0xbf80000000000000
	s_cselect_b32 s17, s0, 4
	s_cmp_lg_u32 s5, 0x84
	s_mov_b32 s7, s20
	s_cselect_b32 s37, -1, 0
	s_cmp_lg_u32 s4, 0x6f
	s_wait_kmcnt 0x0
	s_add_nc_u64 s[4:5], s[10:11], s[30:31]
	s_cselect_b32 s38, -1, 0
	s_lshl_b64 s[0:1], s[14:15], 3
	s_lshl_b32 s39, s35, 3
	s_add_nc_u64 s[10:11], s[12:13], s[0:1]
	v_cmp_gt_i32_e64 s0, s35, v8
	v_add_nc_u64_e32 v[6:7], s[10:11], v[0:1]
	v_lshl_add_u32 v1, v9, 5, 0x80
	v_cmp_gt_i32_e64 s1, s17, v8
	s_lshl_b64 s[12:13], s[2:3], 3
	s_add_co_i32 s39, s39, -8
	s_get_pc_i64 s[10:11]
	s_add_nc_u64 s[10:11], s[10:11], __const._ZL30rocblas_trsm_small_left_deviceILi4ELi4ELb1E19rocblas_complex_numIfES1_PKS1_PS1_Ev13rocblas_fill_18rocblas_operation_17rocblas_diagonal_iiT3_T4_lilT5_lili.step_sizes@rel64+4
	v_add_nc_u64_e32 v[6:7], 4, v[6:7]
	v_lshl_add_u64 v[4:5], v[4:5], 3, s[4:5]
	s_lshl_b64 s[4:5], s[8:9], 3
	s_lshl_b64 s[8:9], s[26:27], 3
	s_delay_alu instid0(VALU_DEP_1)
	v_add_nc_u64_e32 v[8:9], 4, v[4:5]
	s_branch .LBB136_4
.LBB136_2:                              ;   in Loop: Header=BB136_4 Depth=1
	s_add_co_i32 s16, s16, 0x10000
	s_delay_alu instid0(SALU_CYCLE_1) | instskip(SKIP_1) | instid1(SALU_CYCLE_1)
	s_cmp_ge_u32 s16, s33
	s_cselect_b32 s14, -1, 0
	s_or_not1_b32 s14, s14, exec_lo
.LBB136_3:                              ;   in Loop: Header=BB136_4 Depth=1
	s_wait_xcnt 0x0
	s_or_b32 exec_lo, exec_lo, s41
	s_delay_alu instid0(SALU_CYCLE_1) | instskip(NEXT) | instid1(SALU_CYCLE_1)
	s_and_b32 s14, exec_lo, s14
	s_or_b32 s40, s14, s40
	s_delay_alu instid0(SALU_CYCLE_1)
	s_and_not1_b32 exec_lo, exec_lo, s40
	s_cbranch_execz .LBB136_87
.LBB136_4:                              ; =>This Loop Header: Depth=1
                                        ;     Child Loop BB136_7 Depth 2
                                        ;     Child Loop BB136_23 Depth 2
                                        ;       Child Loop BB136_26 Depth 3
                                        ;         Child Loop BB136_28 Depth 4
                                        ;         Child Loop BB136_32 Depth 4
	;; [unrolled: 1-line block ×3, first 2 shown]
                                        ;           Child Loop BB136_38 Depth 5
                                        ;           Child Loop BB136_44 Depth 5
                                        ;         Child Loop BB136_47 Depth 4
                                        ;           Child Loop BB136_49 Depth 5
                                        ;     Child Loop BB136_57 Depth 2
                                        ;       Child Loop BB136_60 Depth 3
                                        ;         Child Loop BB136_62 Depth 4
                                        ;         Child Loop BB136_66 Depth 4
	;; [unrolled: 1-line block ×3, first 2 shown]
                                        ;           Child Loop BB136_72 Depth 5
                                        ;           Child Loop BB136_78 Depth 5
                                        ;         Child Loop BB136_81 Depth 4
                                        ;           Child Loop BB136_83 Depth 5
	s_mov_b32 s17, s19
	s_and_saveexec_b32 s14, s0
	s_cbranch_execz .LBB136_19
; %bb.5:                                ;   in Loop: Header=BB136_4 Depth=1
	v_mad_nc_u64_u32 v[12:13], s4, s16, v[6:7]
	v_mov_b32_e32 v16, v0
	s_mov_b32 s15, s35
	s_delay_alu instid0(VALU_DEP_2)
	v_mad_u32 v13, s5, s16, v13
	s_branch .LBB136_7
.LBB136_6:                              ;   in Loop: Header=BB136_7 Depth=2
	global_load_b32 v14, v[12:13], off offset:-4
	s_wait_xcnt 0x0
	v_add_nc_u64_e32 v[12:13], s[8:9], v[12:13]
	s_add_co_i32 s15, s15, -1
	s_delay_alu instid0(SALU_CYCLE_1)
	s_cmp_eq_u32 s15, 0
	s_wait_loadcnt 0x0
	ds_store_b64 v16, v[14:15]
	v_add_nc_u32_e32 v16, 32, v16
	s_cbranch_scc1 .LBB136_11
.LBB136_7:                              ;   Parent Loop BB136_4 Depth=1
                                        ; =>  This Inner Loop Header: Depth=2
	s_and_b32 vcc_lo, exec_lo, s34
	s_mov_b32 s18, -1
                                        ; implicit-def: $vgpr15
	s_cbranch_vccz .LBB136_9
; %bb.8:                                ;   in Loop: Header=BB136_7 Depth=2
	global_load_b32 v15, v[12:13], off
	s_mov_b32 s18, 0
.LBB136_9:                              ;   in Loop: Header=BB136_7 Depth=2
	s_delay_alu instid0(SALU_CYCLE_1)
	s_and_not1_b32 vcc_lo, exec_lo, s18
	s_cbranch_vccnz .LBB136_6
; %bb.10:                               ;   in Loop: Header=BB136_7 Depth=2
	global_load_b32 v14, v[12:13], off
	s_wait_loadcnt 0x0
	v_xor_b32_e32 v15, 0x80000000, v14
	s_branch .LBB136_6
.LBB136_11:                             ;   in Loop: Header=BB136_4 Depth=1
	s_and_b32 vcc_lo, exec_lo, s37
	s_mov_b32 s15, -1
	s_cbranch_vccz .LBB136_17
; %bb.12:                               ;   in Loop: Header=BB136_4 Depth=1
	ds_load_b64 v[12:13], v24
                                        ; implicit-def: $vgpr14_vgpr15
	s_wait_dscnt 0x0
	v_cmp_ngt_f32_e64 s15, |v12|, |v13|
	s_and_saveexec_b32 s18, s15
	s_delay_alu instid0(SALU_CYCLE_1)
	s_xor_b32 s15, exec_lo, s18
	s_cbranch_execz .LBB136_14
; %bb.13:                               ;   in Loop: Header=BB136_4 Depth=1
	v_div_scale_f32 v14, null, v13, v13, v12
	v_div_scale_f32 v17, vcc_lo, v12, v13, v12
	s_delay_alu instid0(VALU_DEP_2) | instskip(SKIP_1) | instid1(TRANS32_DEP_1)
	v_rcp_f32_e32 v15, v14
	v_nop
	v_fma_f32 v16, -v14, v15, 1.0
	s_delay_alu instid0(VALU_DEP_1) | instskip(NEXT) | instid1(VALU_DEP_1)
	v_fmac_f32_e32 v15, v16, v15
	v_mul_f32_e32 v16, v17, v15
	s_delay_alu instid0(VALU_DEP_1) | instskip(NEXT) | instid1(VALU_DEP_1)
	v_fma_f32 v18, -v14, v16, v17
	v_fmac_f32_e32 v16, v18, v15
	s_delay_alu instid0(VALU_DEP_1) | instskip(NEXT) | instid1(VALU_DEP_1)
	v_fma_f32 v14, -v14, v16, v17
	v_div_fmas_f32 v14, v14, v15, v16
	s_delay_alu instid0(VALU_DEP_1) | instskip(NEXT) | instid1(VALU_DEP_1)
	v_div_fixup_f32 v14, v14, v13, v12
	v_fmac_f32_e32 v13, v12, v14
	s_delay_alu instid0(VALU_DEP_1) | instskip(SKIP_1) | instid1(VALU_DEP_2)
	v_div_scale_f32 v12, null, v13, v13, 1.0
	v_div_scale_f32 v17, vcc_lo, 1.0, v13, 1.0
	v_rcp_f32_e32 v15, v12
	v_nop
	s_delay_alu instid0(TRANS32_DEP_1) | instskip(NEXT) | instid1(VALU_DEP_1)
	v_fma_f32 v16, -v12, v15, 1.0
	v_fmac_f32_e32 v15, v16, v15
	s_delay_alu instid0(VALU_DEP_1) | instskip(NEXT) | instid1(VALU_DEP_1)
	v_mul_f32_e32 v16, v17, v15
	v_fma_f32 v18, -v12, v16, v17
	s_delay_alu instid0(VALU_DEP_1) | instskip(NEXT) | instid1(VALU_DEP_1)
	v_fmac_f32_e32 v16, v18, v15
	v_fma_f32 v12, -v12, v16, v17
	s_delay_alu instid0(VALU_DEP_1) | instskip(SKIP_1) | instid1(VALU_DEP_2)
	v_div_fmas_f32 v12, v12, v15, v16
	v_mul_f32_e32 v15, 0, v14
	v_div_fixup_f32 v12, v12, v13, 1.0
	s_delay_alu instid0(VALU_DEP_2) | instskip(NEXT) | instid1(VALU_DEP_1)
	v_pk_add_f32 v[14:15], v[14:15], v[2:3]
	v_pk_mul_f32 v[14:15], v[14:15], v[12:13] op_sel_hi:[1,0]
                                        ; implicit-def: $vgpr12_vgpr13
.LBB136_14:                             ;   in Loop: Header=BB136_4 Depth=1
	s_and_not1_saveexec_b32 s15, s15
	s_cbranch_execz .LBB136_16
; %bb.15:                               ;   in Loop: Header=BB136_4 Depth=1
	v_div_scale_f32 v14, null, v12, v12, v13
	v_div_scale_f32 v17, vcc_lo, v13, v12, v13
	s_delay_alu instid0(VALU_DEP_2) | instskip(SKIP_1) | instid1(TRANS32_DEP_1)
	v_rcp_f32_e32 v15, v14
	v_nop
	v_fma_f32 v16, -v14, v15, 1.0
	s_delay_alu instid0(VALU_DEP_1) | instskip(NEXT) | instid1(VALU_DEP_1)
	v_fmac_f32_e32 v15, v16, v15
	v_mul_f32_e32 v16, v17, v15
	s_delay_alu instid0(VALU_DEP_1) | instskip(NEXT) | instid1(VALU_DEP_1)
	v_fma_f32 v18, -v14, v16, v17
	v_fmac_f32_e32 v16, v18, v15
	s_delay_alu instid0(VALU_DEP_1) | instskip(NEXT) | instid1(VALU_DEP_1)
	v_fma_f32 v14, -v14, v16, v17
	v_div_fmas_f32 v14, v14, v15, v16
	s_delay_alu instid0(VALU_DEP_1) | instskip(NEXT) | instid1(VALU_DEP_1)
	v_div_fixup_f32 v15, v14, v12, v13
	v_fmac_f32_e32 v12, v13, v15
	s_delay_alu instid0(VALU_DEP_1) | instskip(SKIP_1) | instid1(VALU_DEP_2)
	v_div_scale_f32 v13, null, v12, v12, 1.0
	v_div_scale_f32 v17, vcc_lo, 1.0, v12, 1.0
	v_rcp_f32_e32 v14, v13
	v_nop
	s_delay_alu instid0(TRANS32_DEP_1) | instskip(NEXT) | instid1(VALU_DEP_1)
	v_fma_f32 v16, -v13, v14, 1.0
	v_fmac_f32_e32 v14, v16, v14
	s_delay_alu instid0(VALU_DEP_1) | instskip(NEXT) | instid1(VALU_DEP_1)
	v_mul_f32_e32 v16, v17, v14
	v_fma_f32 v18, -v13, v16, v17
	s_delay_alu instid0(VALU_DEP_1) | instskip(NEXT) | instid1(VALU_DEP_1)
	v_fmac_f32_e32 v16, v18, v14
	v_dual_fma_f32 v13, -v13, v16, v17 :: v_dual_mul_f32 v17, 0, v15
	v_sub_f32_e32 v15, 0, v15
	s_delay_alu instid0(VALU_DEP_2) | instskip(NEXT) | instid1(VALU_DEP_3)
	v_div_fmas_f32 v13, v13, v14, v16
	v_add_f32_e32 v14, 1.0, v17
	s_delay_alu instid0(VALU_DEP_2) | instskip(NEXT) | instid1(VALU_DEP_1)
	v_div_fixup_f32 v12, v13, v12, 1.0
	v_pk_mul_f32 v[14:15], v[14:15], v[12:13] op_sel_hi:[1,0]
.LBB136_16:                             ;   in Loop: Header=BB136_4 Depth=1
	s_or_b32 exec_lo, exec_lo, s15
	s_mov_b32 s15, 0
	ds_store_b64 v24, v[14:15]
.LBB136_17:                             ;   in Loop: Header=BB136_4 Depth=1
	s_and_b32 vcc_lo, exec_lo, s15
	s_cbranch_vccz .LBB136_19
; %bb.18:                               ;   in Loop: Header=BB136_4 Depth=1
	ds_store_b64 v24, v[10:11]
.LBB136_19:                             ;   in Loop: Header=BB136_4 Depth=1
	s_or_b32 exec_lo, exec_lo, s14
	s_mov_b32 s14, -1
	s_wait_dscnt 0x0
	; wave barrier
	s_and_saveexec_b32 s41, s1
	s_cbranch_execz .LBB136_3
; %bb.20:                               ;   in Loop: Header=BB136_4 Depth=1
	s_mul_u64 s[14:15], s[2:3], s[16:17]
	s_and_not1_b32 vcc_lo, exec_lo, s38
	v_lshl_add_u64 v[12:13], s[14:15], 3, v[4:5]
	s_mul_u64 s[14:15], s[12:13], s[16:17]
	s_mov_b32 s17, -1
	s_cbranch_vccnz .LBB136_54
; %bb.21:                               ;   in Loop: Header=BB136_4 Depth=1
	v_add_nc_u64_e32 v[14:15], s[14:15], v[8:9]
	s_mov_b32 s17, 0
	s_mov_b32 s26, s36
	s_branch .LBB136_23
.LBB136_22:                             ;   in Loop: Header=BB136_23 Depth=2
	s_cmp_gt_i32 s26, -1
	s_cselect_b32 s18, -1, 0
	s_add_co_i32 s27, s17, 1
	s_cmp_lt_u32 s17, 2
	s_wait_xcnt 0x0
	s_cselect_b32 s17, -1, 0
	s_delay_alu instid0(SALU_CYCLE_1) | instskip(NEXT) | instid1(SALU_CYCLE_1)
	s_and_b32 s17, s18, s17
	s_and_b32 vcc_lo, exec_lo, s17
	s_mov_b32 s17, s27
	s_cbranch_vccz .LBB136_53
.LBB136_23:                             ;   Parent Loop BB136_4 Depth=1
                                        ; =>  This Loop Header: Depth=2
                                        ;       Child Loop BB136_26 Depth 3
                                        ;         Child Loop BB136_28 Depth 4
                                        ;         Child Loop BB136_32 Depth 4
	;; [unrolled: 1-line block ×3, first 2 shown]
                                        ;           Child Loop BB136_38 Depth 5
                                        ;           Child Loop BB136_44 Depth 5
                                        ;         Child Loop BB136_47 Depth 4
                                        ;           Child Loop BB136_49 Depth 5
	s_load_b32 s42, s[10:11], s17 offset:0x0 scale_offset
	s_wait_kmcnt 0x0
	s_add_co_i32 s43, s42, -1
	s_delay_alu instid0(SALU_CYCLE_1)
	s_cmp_lt_i32 s26, s43
	s_cbranch_scc1 .LBB136_22
; %bb.24:                               ;   in Loop: Header=BB136_23 Depth=2
	s_add_co_i32 s18, s17, -1
	s_max_i32 s44, s42, 1
	s_cmp_gt_u32 s18, 1
	s_mul_i32 s50, s26, 40
	s_cselect_b32 s45, -1, 0
	s_and_b32 s46, s44, 0x7ffffffe
	s_mul_i32 s51, s42, 0xffffffd8
	s_cmp_lg_u32 s44, s46
	s_cselect_b32 s47, -1, 0
	s_lshl_b32 s18, s26, 5
	s_lshl_b32 s27, s42, 5
	s_add_co_i32 s48, s39, s18
	s_sub_co_i32 s49, 0, s27
	s_branch .LBB136_26
.LBB136_25:                             ;   in Loop: Header=BB136_26 Depth=3
	s_sub_co_i32 s26, s26, s42
	s_add_co_i32 s48, s48, s49
	s_add_co_i32 s50, s50, s51
	s_cmp_lt_i32 s26, s43
	s_cbranch_scc1 .LBB136_22
.LBB136_26:                             ;   Parent Loop BB136_4 Depth=1
                                        ;     Parent Loop BB136_23 Depth=2
                                        ; =>    This Loop Header: Depth=3
                                        ;         Child Loop BB136_28 Depth 4
                                        ;         Child Loop BB136_32 Depth 4
	;; [unrolled: 1-line block ×3, first 2 shown]
                                        ;           Child Loop BB136_38 Depth 5
                                        ;           Child Loop BB136_44 Depth 5
                                        ;         Child Loop BB136_47 Depth 4
                                        ;           Child Loop BB136_49 Depth 5
	s_and_not1_b32 vcc_lo, exec_lo, s45
	s_cbranch_vccnz .LBB136_30
; %bb.27:                               ;   in Loop: Header=BB136_26 Depth=3
	s_wait_xcnt 0x0
	v_mov_b32_e32 v16, v1
	s_mov_b32 s27, s26
	s_mov_b32 s28, 1
	;; [unrolled: 1-line block ×4, first 2 shown]
.LBB136_28:                             ;   Parent Loop BB136_4 Depth=1
                                        ;     Parent Loop BB136_23 Depth=2
                                        ;       Parent Loop BB136_26 Depth=3
                                        ; =>      This Inner Loop Header: Depth=4
	s_sub_co_i32 s52, s27, s28
	s_sub_co_i32 s54, s26, s29
	s_ashr_i32 s53, s52, 31
	s_ashr_i32 s55, s54, 31
	v_lshl_add_u64 v[18:19], s[52:53], 3, v[12:13]
	v_lshl_add_u64 v[20:21], s[54:55], 3, v[12:13]
	s_add_co_i32 s30, s30, -2
	s_add_co_i32 s29, s29, 2
	s_add_co_i32 s28, s28, 2
	s_clause 0x1
	global_load_b64 v[22:23], v[18:19], off
	global_load_b64 v[26:27], v[20:21], off
	s_wait_xcnt 0x1
	v_mov_b64_e32 v[18:19], s[24:25]
	s_wait_xcnt 0x0
	v_mov_b64_e32 v[20:21], s[22:23]
	s_mov_b32 s18, s46
	s_cmp_lg_u32 s30, 0
	s_mov_b32 s31, s47
	s_wait_loadcnt 0x0
	v_dual_mov_b32 v29, v22 :: v_dual_mov_b32 v22, v27
	v_mov_b32_e32 v28, v26
	s_delay_alu instid0(VALU_DEP_2) | instskip(SKIP_1) | instid1(VALU_DEP_2)
	v_pk_mul_f32 v[26:27], v[22:23], v[18:19]
	v_pk_mul_f32 v[22:23], v[22:23], v[20:21]
	v_pk_fma_f32 v[26:27], v[28:29], v[20:21], v[26:27] neg_lo:[0,0,1] neg_hi:[0,0,1]
	s_delay_alu instid0(VALU_DEP_2) | instskip(NEXT) | instid1(VALU_DEP_1)
	v_pk_fma_f32 v[20:21], v[28:29], v[18:19], v[22:23]
	v_dual_mov_b32 v18, v26 :: v_dual_mov_b32 v19, v20
	s_delay_alu instid0(VALU_DEP_3)
	v_mov_b32_e32 v20, v27
	ds_store_b128 v16, v[18:21]
	v_add_nc_u32_e32 v16, 16, v16
	s_cbranch_scc1 .LBB136_28
; %bb.29:                               ;   in Loop: Header=BB136_26 Depth=3
	s_and_b32 vcc_lo, exec_lo, s31
	s_ashr_i32 s27, s26, 31
	s_cbranch_vccnz .LBB136_31
	s_branch .LBB136_33
.LBB136_30:                             ;   in Loop: Header=BB136_26 Depth=3
	s_mov_b32 s18, 0
	s_ashr_i32 s27, s26, 31
	s_cbranch_execz .LBB136_33
.LBB136_31:                             ;   in Loop: Header=BB136_26 Depth=3
	s_lshl_b64 s[28:29], s[26:27], 3
	s_lshl_b64 s[30:31], s[18:19], 3
	v_lshl_add_u32 v18, s18, 3, v1
	s_sub_nc_u64 s[28:29], s[28:29], s[30:31]
	s_sub_co_i32 s18, s44, s18
	s_wait_xcnt 0x0
	v_add_nc_u64_e32 v[16:17], s[28:29], v[14:15]
.LBB136_32:                             ;   Parent Loop BB136_4 Depth=1
                                        ;     Parent Loop BB136_23 Depth=2
                                        ;       Parent Loop BB136_26 Depth=3
                                        ; =>      This Inner Loop Header: Depth=4
	global_load_b64 v[20:21], v[16:17], off offset:-4
	v_mov_b64_e32 v[22:23], s[6:7]
	v_mov_b64_e32 v[26:27], s[20:21]
	s_wait_xcnt 0x0
	v_add_nc_u64_e32 v[16:17], -8, v[16:17]
	s_add_co_i32 s18, s18, -1
	s_delay_alu instid0(SALU_CYCLE_1) | instskip(SKIP_2) | instid1(VALU_DEP_1)
	s_cmp_eq_u32 s18, 0
	s_wait_loadcnt 0x0
	v_pk_mul_f32 v[22:23], v[20:21], v[22:23] op_sel:[1,0]
	v_pk_fma_f32 v[28:29], v[20:21], v[26:27], v[22:23] op_sel_hi:[0,1,1]
	v_pk_fma_f32 v[20:21], v[20:21], v[26:27], v[22:23] neg_lo:[0,0,1] neg_hi:[0,0,1]
	s_delay_alu instid0(VALU_DEP_2)
	v_mov_b32_e32 v21, v29
	ds_store_b64 v18, v[20:21]
	v_add_nc_u32_e32 v18, 8, v18
	s_cbranch_scc0 .LBB136_32
.LBB136_33:                             ;   in Loop: Header=BB136_26 Depth=3
	s_cmp_le_i32 s36, s26
	s_cbranch_scc1 .LBB136_45
; %bb.34:                               ;   in Loop: Header=BB136_26 Depth=3
	s_mov_b32 s18, s26
	s_mov_b32 s30, s26
	;; [unrolled: 1-line block ×4, first 2 shown]
	s_branch .LBB136_36
.LBB136_35:                             ;   in Loop: Header=BB136_36 Depth=4
	s_add_co_i32 s28, s28, -1
	s_add_co_i32 s31, s31, -8
	s_cmp_le_i32 s28, s26
	s_cbranch_scc1 .LBB136_45
.LBB136_36:                             ;   Parent Loop BB136_4 Depth=1
                                        ;     Parent Loop BB136_23 Depth=2
                                        ;       Parent Loop BB136_26 Depth=3
                                        ; =>      This Loop Header: Depth=4
                                        ;           Child Loop BB136_38 Depth 5
                                        ;           Child Loop BB136_44 Depth 5
	s_ashr_i32 s29, s28, 31
	s_and_b32 vcc_lo, exec_lo, s45
	s_wait_xcnt 0x0
	v_lshl_add_u64 v[16:17], s[28:29], 3, v[12:13]
	global_load_b64 v[16:17], v[16:17], off
	s_cbranch_vccz .LBB136_40
; %bb.37:                               ;   in Loop: Header=BB136_36 Depth=4
	s_wait_loadcnt 0x0
	v_dual_mov_b32 v20, v16 :: v_dual_mov_b32 v21, v16
	v_dual_mov_b32 v18, v17 :: v_dual_mov_b32 v22, v17
	;; [unrolled: 1-line block ×3, first 2 shown]
	s_lshl_b32 s29, s28, 3
	s_mov_b32 s52, 1
	s_mov_b32 s53, 0
	;; [unrolled: 1-line block ×3, first 2 shown]
.LBB136_38:                             ;   Parent Loop BB136_4 Depth=1
                                        ;     Parent Loop BB136_23 Depth=2
                                        ;       Parent Loop BB136_26 Depth=3
                                        ;         Parent Loop BB136_36 Depth=4
                                        ; =>        This Inner Loop Header: Depth=5
	s_sub_co_i32 s55, s18, s53
	s_sub_co_i32 s56, s30, s52
	s_lshl_b32 s55, s55, 5
	s_lshl_b32 s56, s56, 5
	s_add_co_i32 s55, s29, s55
	s_add_co_i32 s56, s29, s56
	s_delay_alu instid0(SALU_CYCLE_1)
	v_dual_mov_b32 v25, s55 :: v_dual_mov_b32 v26, s56
	s_add_co_i32 s54, s54, -2
	s_add_co_i32 s53, s53, 2
	s_add_co_i32 s52, s52, 2
	ds_load_b64 v[30:31], v25
	ds_load_b64 v[32:33], v26
	ds_load_b128 v[26:29], v19
	s_cmp_lg_u32 s54, 0
	s_wait_dscnt 0x1
	v_dual_mov_b32 v36, v30 :: v_dual_mov_b32 v37, v32
	s_wait_dscnt 0x0
	v_dual_mov_b32 v32, v31 :: v_dual_mov_b32 v34, v26
	v_dual_mov_b32 v35, v28 :: v_dual_mov_b32 v28, v27
	s_delay_alu instid0(VALU_DEP_2) | instskip(SKIP_1) | instid1(VALU_DEP_2)
	v_pk_mul_f32 v[30:31], v[32:33], v[22:23]
	v_pk_mul_f32 v[32:33], v[32:33], v[20:21]
	v_pk_fma_f32 v[26:27], v[36:37], v[20:21], v[30:31] neg_lo:[0,0,1] neg_hi:[0,0,1]
	s_delay_alu instid0(VALU_DEP_2) | instskip(NEXT) | instid1(VALU_DEP_2)
	v_pk_fma_f32 v[30:31], v[36:37], v[22:23], v[32:33]
	v_pk_add_f32 v[32:33], v[34:35], v[26:27] neg_lo:[0,1] neg_hi:[0,1]
	s_delay_alu instid0(VALU_DEP_2) | instskip(NEXT) | instid1(VALU_DEP_1)
	v_pk_add_f32 v[28:29], v[28:29], v[30:31] neg_lo:[0,1] neg_hi:[0,1]
	v_dual_mov_b32 v26, v32 :: v_dual_mov_b32 v27, v28
	s_delay_alu instid0(VALU_DEP_3)
	v_mov_b32_e32 v28, v33
	ds_store_b128 v19, v[26:29]
	v_add_nc_u32_e32 v19, 16, v19
	s_cbranch_scc1 .LBB136_38
; %bb.39:                               ;   in Loop: Header=BB136_36 Depth=4
	s_mov_b32 s29, s47
	s_mov_b32 s52, s46
	s_branch .LBB136_42
.LBB136_40:                             ;   in Loop: Header=BB136_36 Depth=4
	s_wait_loadcnt 0x0
	v_mov_b32_e32 v18, v17
	s_mov_b32 s29, 0
	s_mov_b32 s52, s46
	s_cbranch_execz .LBB136_42
; %bb.41:                               ;   in Loop: Header=BB136_36 Depth=4
	s_mov_b32 s29, -1
	s_mov_b32 s52, 0
.LBB136_42:                             ;   in Loop: Header=BB136_36 Depth=4
	s_and_not1_b32 vcc_lo, exec_lo, s29
	s_cbranch_vccnz .LBB136_35
; %bb.43:                               ;   in Loop: Header=BB136_36 Depth=4
	s_wait_xcnt 0x0
	v_dual_mov_b32 v19, v17 :: v_dual_mov_b32 v17, v16
	v_lshl_add_u32 v20, s52, 3, v1
	s_lshl_b32 s53, s52, 5
	s_sub_co_i32 s29, s44, s52
	s_sub_co_i32 s52, s31, s53
.LBB136_44:                             ;   Parent Loop BB136_4 Depth=1
                                        ;     Parent Loop BB136_23 Depth=2
                                        ;       Parent Loop BB136_26 Depth=3
                                        ;         Parent Loop BB136_36 Depth=4
                                        ; =>        This Inner Loop Header: Depth=5
	s_delay_alu instid0(SALU_CYCLE_1)
	v_mov_b32_e32 v21, s52
	s_add_co_i32 s29, s29, -1
	s_sub_co_i32 s52, s52, 32
	s_cmp_eq_u32 s29, 0
	ds_load_b64 v[22:23], v21
	ds_load_b64 v[26:27], v20
	s_wait_dscnt 0x1
	v_pk_mul_f32 v[28:29], v[22:23], v[18:19] op_sel:[1,0] op_sel_hi:[0,1]
	s_delay_alu instid0(VALU_DEP_1) | instskip(SKIP_1) | instid1(VALU_DEP_2)
	v_pk_fma_f32 v[30:31], v[22:23], v[16:17], v[28:29]
	v_pk_fma_f32 v[22:23], v[22:23], v[16:17], v[28:29] neg_lo:[0,0,1] neg_hi:[0,0,1]
	v_mov_b32_e32 v23, v31
	s_wait_dscnt 0x0
	s_delay_alu instid0(VALU_DEP_1)
	v_pk_add_f32 v[22:23], v[26:27], v[22:23] neg_lo:[0,1] neg_hi:[0,1]
	ds_store_b64 v20, v[22:23]
	v_add_nc_u32_e32 v20, 8, v20
	s_cbranch_scc0 .LBB136_44
	s_branch .LBB136_35
.LBB136_45:                             ;   in Loop: Header=BB136_26 Depth=3
	s_mov_b32 s18, 0
	s_mov_b32 s52, s50
	s_branch .LBB136_47
.LBB136_46:                             ;   in Loop: Header=BB136_47 Depth=4
	s_mul_i32 s30, s30, 40
	s_add_co_i32 s18, s18, 1
	s_wait_xcnt 0x0
	v_mov_b32_e32 v17, s30
	s_sub_co_i32 s52, s52, 32
	s_cmp_eq_u32 s18, s44
	ds_load_b64 v[20:21], v17
	s_wait_dscnt 0x0
	v_pk_mul_f32 v[22:23], v[20:21], v[18:19] op_sel:[1,0] op_sel_hi:[0,0]
	s_delay_alu instid0(VALU_DEP_1) | instskip(SKIP_2) | instid1(VALU_DEP_3)
	v_pk_fma_f32 v[26:27], v[20:21], v[16:17], v[22:23] op_sel_hi:[1,0,1]
	v_pk_fma_f32 v[16:17], v[20:21], v[16:17], v[22:23] neg_lo:[0,0,1] neg_hi:[0,0,1]
	v_lshl_add_u64 v[20:21], s[28:29], 3, v[12:13]
	v_mov_b32_e32 v17, v27
	ds_store_b64 v19, v[16:17]
	global_store_b64 v[20:21], v[16:17], off
	s_cbranch_scc1 .LBB136_25
.LBB136_47:                             ;   Parent Loop BB136_4 Depth=1
                                        ;     Parent Loop BB136_23 Depth=2
                                        ;       Parent Loop BB136_26 Depth=3
                                        ; =>      This Loop Header: Depth=4
                                        ;           Child Loop BB136_49 Depth 5
	v_lshl_add_u32 v19, s18, 3, v1
	s_cmp_lg_u32 s18, 0
	s_cbranch_scc0 .LBB136_51
; %bb.48:                               ;   in Loop: Header=BB136_47 Depth=4
	s_wait_xcnt 0x0
	ds_load_b64 v[16:17], v19
	v_mov_b32_e32 v18, v1
	s_mov_b32 s28, s52
	s_mov_b32 s29, s18
.LBB136_49:                             ;   Parent Loop BB136_4 Depth=1
                                        ;     Parent Loop BB136_23 Depth=2
                                        ;       Parent Loop BB136_26 Depth=3
                                        ;         Parent Loop BB136_47 Depth=4
                                        ; =>        This Inner Loop Header: Depth=5
	v_mov_b32_e32 v22, s28
	s_add_co_i32 s29, s29, -1
	s_add_co_i32 s28, s28, -8
	s_cmp_eq_u32 s29, 0
	ds_load_b64 v[20:21], v18
	ds_load_b64 v[22:23], v22
	v_add_nc_u32_e32 v18, 8, v18
	s_wait_dscnt 0x0
	v_pk_mul_f32 v[26:27], v[22:23], v[20:21] op_sel:[1,1] op_sel_hi:[0,1]
	s_delay_alu instid0(VALU_DEP_1) | instskip(SKIP_1) | instid1(VALU_DEP_2)
	v_pk_fma_f32 v[28:29], v[22:23], v[20:21], v[26:27] op_sel_hi:[1,0,1]
	v_pk_fma_f32 v[20:21], v[22:23], v[20:21], v[26:27] neg_lo:[0,0,1] neg_hi:[0,0,1]
	v_mov_b32_e32 v21, v29
	s_delay_alu instid0(VALU_DEP_1)
	v_pk_add_f32 v[16:17], v[16:17], v[20:21] neg_lo:[0,1] neg_hi:[0,1]
	ds_store_b64 v19, v[16:17]
	s_cbranch_scc0 .LBB136_49
; %bb.50:                               ;   in Loop: Header=BB136_47 Depth=4
	s_sub_co_i32 s30, s26, s18
	v_mov_b32_e32 v18, v17
	s_ashr_i32 s31, s30, 31
	s_delay_alu instid0(SALU_CYCLE_1)
	s_mov_b64 s[28:29], s[30:31]
	s_branch .LBB136_46
.LBB136_51:                             ;   in Loop: Header=BB136_47 Depth=4
                                        ; implicit-def: $vgpr16
                                        ; implicit-def: $vgpr18
                                        ; implicit-def: $sgpr30
                                        ; implicit-def: $sgpr28_sgpr29
	s_cbranch_execz .LBB136_46
; %bb.52:                               ;   in Loop: Header=BB136_47 Depth=4
	s_wait_xcnt 0x0
	ds_load_b64 v[16:17], v1
	s_mov_b64 s[28:29], s[26:27]
	s_mov_b32 s30, s26
	s_wait_dscnt 0x0
	v_mov_b32_e32 v18, v17
	s_branch .LBB136_46
.LBB136_53:                             ;   in Loop: Header=BB136_4 Depth=1
	s_mov_b32 s17, 0
.LBB136_54:                             ;   in Loop: Header=BB136_4 Depth=1
	s_delay_alu instid0(SALU_CYCLE_1)
	s_and_b32 vcc_lo, exec_lo, s17
	s_cbranch_vccz .LBB136_2
; %bb.55:                               ;   in Loop: Header=BB136_4 Depth=1
	v_add_nc_u64_e32 v[14:15], s[14:15], v[8:9]
	s_mov_b32 s14, 0
	s_mov_b32 s17, 0
	s_branch .LBB136_57
.LBB136_56:                             ;   in Loop: Header=BB136_57 Depth=2
	s_cmp_lt_i32 s14, s35
	s_cselect_b32 s15, -1, 0
	s_add_co_i32 s18, s17, 1
	s_cmp_lt_u32 s17, 2
	s_cselect_b32 s17, -1, 0
	s_delay_alu instid0(SALU_CYCLE_1)
	s_and_b32 s15, s15, s17
	s_mov_b32 s17, s18
	s_and_not1_b32 vcc_lo, exec_lo, s15
	s_cbranch_vccnz .LBB136_2
.LBB136_57:                             ;   Parent Loop BB136_4 Depth=1
                                        ; =>  This Loop Header: Depth=2
                                        ;       Child Loop BB136_60 Depth 3
                                        ;         Child Loop BB136_62 Depth 4
                                        ;         Child Loop BB136_66 Depth 4
	;; [unrolled: 1-line block ×3, first 2 shown]
                                        ;           Child Loop BB136_72 Depth 5
                                        ;           Child Loop BB136_78 Depth 5
                                        ;         Child Loop BB136_81 Depth 4
                                        ;           Child Loop BB136_83 Depth 5
	s_load_b32 s26, s[10:11], s17 offset:0x0 scale_offset
	s_wait_kmcnt 0x0
	s_add_co_i32 s28, s26, -1
	s_delay_alu instid0(SALU_CYCLE_1) | instskip(NEXT) | instid1(SALU_CYCLE_1)
	s_add_co_i32 s15, s28, s14
	s_cmp_ge_i32 s15, s35
	s_cbranch_scc1 .LBB136_56
; %bb.58:                               ;   in Loop: Header=BB136_57 Depth=2
	s_add_co_i32 s15, s17, -1
	s_max_i32 s29, s26, 1
	s_cmp_gt_u32 s15, 1
	s_mul_i32 s45, s14, 40
	s_cselect_b32 s30, -1, 0
	s_and_b32 s31, s29, 0x7ffffffe
	s_mul_i32 s46, s26, 40
	s_cmp_lg_u32 s29, s31
	s_cselect_b32 s42, -1, 0
	s_ashr_i32 s15, s14, 31
	s_ashr_i32 s27, s26, 31
	s_lshl_b32 s43, s14, 3
	s_lshl_b32 s44, s26, 3
	s_branch .LBB136_60
.LBB136_59:                             ;   in Loop: Header=BB136_60 Depth=3
	s_add_nc_u64 s[14:15], s[14:15], s[26:27]
	s_add_co_i32 s43, s43, s44
	s_add_co_i32 s18, s28, s14
	;; [unrolled: 1-line block ×3, first 2 shown]
	s_cmp_ge_i32 s18, s35
	s_cbranch_scc1 .LBB136_56
.LBB136_60:                             ;   Parent Loop BB136_4 Depth=1
                                        ;     Parent Loop BB136_57 Depth=2
                                        ; =>    This Loop Header: Depth=3
                                        ;         Child Loop BB136_62 Depth 4
                                        ;         Child Loop BB136_66 Depth 4
	;; [unrolled: 1-line block ×3, first 2 shown]
                                        ;           Child Loop BB136_72 Depth 5
                                        ;           Child Loop BB136_78 Depth 5
                                        ;         Child Loop BB136_81 Depth 4
                                        ;           Child Loop BB136_83 Depth 5
	s_and_not1_b32 vcc_lo, exec_lo, s30
	s_cbranch_vccnz .LBB136_64
; %bb.61:                               ;   in Loop: Header=BB136_60 Depth=3
	s_wait_xcnt 0x0
	v_mov_b32_e32 v16, v1
	s_mov_b32 s47, s14
	s_mov_b32 s48, s14
	;; [unrolled: 1-line block ×5, first 2 shown]
.LBB136_62:                             ;   Parent Loop BB136_4 Depth=1
                                        ;     Parent Loop BB136_57 Depth=2
                                        ;       Parent Loop BB136_60 Depth=3
                                        ; =>      This Inner Loop Header: Depth=4
	s_add_co_i32 s52, s49, s48
	s_add_co_i32 s54, s50, s47
	s_ashr_i32 s53, s52, 31
	s_ashr_i32 s55, s54, 31
	v_lshl_add_u64 v[18:19], s[52:53], 3, v[12:13]
	v_lshl_add_u64 v[20:21], s[54:55], 3, v[12:13]
	s_add_co_i32 s51, s51, -2
	s_add_co_i32 s50, s50, 2
	s_add_co_i32 s49, s49, 2
	s_clause 0x1
	global_load_b64 v[22:23], v[18:19], off
	global_load_b64 v[26:27], v[20:21], off
	s_wait_xcnt 0x1
	v_mov_b64_e32 v[18:19], s[24:25]
	s_wait_xcnt 0x0
	v_mov_b64_e32 v[20:21], s[22:23]
	s_mov_b32 s18, s31
	s_cmp_lg_u32 s51, 0
	s_mov_b32 s52, s42
	s_wait_loadcnt 0x0
	v_dual_mov_b32 v29, v22 :: v_dual_mov_b32 v22, v27
	v_mov_b32_e32 v28, v26
	s_delay_alu instid0(VALU_DEP_2) | instskip(SKIP_1) | instid1(VALU_DEP_2)
	v_pk_mul_f32 v[26:27], v[22:23], v[18:19]
	v_pk_mul_f32 v[22:23], v[22:23], v[20:21]
	v_pk_fma_f32 v[26:27], v[28:29], v[20:21], v[26:27] neg_lo:[0,0,1] neg_hi:[0,0,1]
	s_delay_alu instid0(VALU_DEP_2) | instskip(NEXT) | instid1(VALU_DEP_1)
	v_pk_fma_f32 v[20:21], v[28:29], v[18:19], v[22:23]
	v_dual_mov_b32 v18, v26 :: v_dual_mov_b32 v19, v20
	s_delay_alu instid0(VALU_DEP_3)
	v_mov_b32_e32 v20, v27
	ds_store_b128 v16, v[18:21]
	v_add_nc_u32_e32 v16, 16, v16
	s_cbranch_scc1 .LBB136_62
; %bb.63:                               ;   in Loop: Header=BB136_60 Depth=3
	s_and_b32 vcc_lo, exec_lo, s52
	s_cbranch_vccnz .LBB136_65
	s_branch .LBB136_67
.LBB136_64:                             ;   in Loop: Header=BB136_60 Depth=3
	s_mov_b32 s18, 0
	s_cbranch_execz .LBB136_67
.LBB136_65:                             ;   in Loop: Header=BB136_60 Depth=3
	s_add_nc_u64 s[48:49], s[14:15], s[18:19]
	v_lshl_add_u32 v18, s18, 3, v1
	s_wait_xcnt 0x0
	v_lshl_add_u64 v[16:17], s[48:49], 3, v[14:15]
	s_sub_co_i32 s18, s29, s18
.LBB136_66:                             ;   Parent Loop BB136_4 Depth=1
                                        ;     Parent Loop BB136_57 Depth=2
                                        ;       Parent Loop BB136_60 Depth=3
                                        ; =>      This Inner Loop Header: Depth=4
	global_load_b64 v[20:21], v[16:17], off offset:-4
	v_mov_b64_e32 v[22:23], s[6:7]
	v_mov_b64_e32 v[26:27], s[20:21]
	s_wait_xcnt 0x0
	v_add_nc_u64_e32 v[16:17], 8, v[16:17]
	s_add_co_i32 s18, s18, -1
	s_delay_alu instid0(SALU_CYCLE_1) | instskip(SKIP_2) | instid1(VALU_DEP_1)
	s_cmp_eq_u32 s18, 0
	s_wait_loadcnt 0x0
	v_pk_mul_f32 v[22:23], v[20:21], v[22:23] op_sel:[1,0]
	v_pk_fma_f32 v[28:29], v[20:21], v[26:27], v[22:23] op_sel_hi:[0,1,1]
	v_pk_fma_f32 v[20:21], v[20:21], v[26:27], v[22:23] neg_lo:[0,0,1] neg_hi:[0,0,1]
	s_delay_alu instid0(VALU_DEP_2)
	v_mov_b32_e32 v21, v29
	ds_store_b64 v18, v[20:21]
	v_add_nc_u32_e32 v18, 8, v18
	s_cbranch_scc0 .LBB136_66
.LBB136_67:                             ;   in Loop: Header=BB136_60 Depth=3
	s_cmp_lt_i32 s14, 1
	s_cbranch_scc1 .LBB136_79
; %bb.68:                               ;   in Loop: Header=BB136_60 Depth=3
	s_mov_b32 s18, 0
	s_mov_b32 s47, s43
	s_branch .LBB136_70
.LBB136_69:                             ;   in Loop: Header=BB136_70 Depth=4
	s_add_co_i32 s18, s18, 1
	s_add_co_i32 s47, s47, 32
	s_cmp_eq_u32 s18, s14
	s_cbranch_scc1 .LBB136_79
.LBB136_70:                             ;   Parent Loop BB136_4 Depth=1
                                        ;     Parent Loop BB136_57 Depth=2
                                        ;       Parent Loop BB136_60 Depth=3
                                        ; =>      This Loop Header: Depth=4
                                        ;           Child Loop BB136_72 Depth 5
                                        ;           Child Loop BB136_78 Depth 5
	s_wait_xcnt 0x0
	v_lshl_add_u64 v[16:17], s[18:19], 3, v[12:13]
	s_and_b32 vcc_lo, exec_lo, s30
	global_load_b64 v[16:17], v[16:17], off
	s_cbranch_vccz .LBB136_74
; %bb.71:                               ;   in Loop: Header=BB136_70 Depth=4
	s_wait_loadcnt 0x0
	v_dual_mov_b32 v20, v16 :: v_dual_mov_b32 v21, v16
	v_dual_mov_b32 v18, v17 :: v_dual_mov_b32 v22, v17
	;; [unrolled: 1-line block ×3, first 2 shown]
	s_mov_b32 s48, s31
	s_mov_b32 s49, s47
.LBB136_72:                             ;   Parent Loop BB136_4 Depth=1
                                        ;     Parent Loop BB136_57 Depth=2
                                        ;       Parent Loop BB136_60 Depth=3
                                        ;         Parent Loop BB136_70 Depth=4
                                        ; =>        This Inner Loop Header: Depth=5
	s_delay_alu instid0(SALU_CYCLE_1)
	v_mov_b32_e32 v25, s49
	s_add_co_i32 s48, s48, -2
	s_add_co_i32 s49, s49, 16
	s_cmp_lg_u32 s48, 0
	ds_load_2addr_b64 v[26:29], v25 offset1:1
	ds_load_b128 v[30:33], v19
	s_wait_dscnt 0x0
	v_dual_mov_b32 v37, v28 :: v_dual_mov_b32 v35, v32
	v_dual_mov_b32 v28, v27 :: v_dual_mov_b32 v36, v26
	;; [unrolled: 1-line block ×3, first 2 shown]
	s_delay_alu instid0(VALU_DEP_2) | instskip(SKIP_1) | instid1(VALU_DEP_2)
	v_pk_mul_f32 v[26:27], v[28:29], v[22:23]
	v_pk_mul_f32 v[28:29], v[28:29], v[20:21]
	v_pk_fma_f32 v[26:27], v[36:37], v[20:21], v[26:27] neg_lo:[0,0,1] neg_hi:[0,0,1]
	s_delay_alu instid0(VALU_DEP_2) | instskip(NEXT) | instid1(VALU_DEP_2)
	v_pk_fma_f32 v[28:29], v[36:37], v[22:23], v[28:29]
	v_pk_add_f32 v[30:31], v[34:35], v[26:27] neg_lo:[0,1] neg_hi:[0,1]
	s_delay_alu instid0(VALU_DEP_1) | instskip(NEXT) | instid1(VALU_DEP_3)
	v_mov_b32_e32 v26, v30
	v_pk_add_f32 v[28:29], v[32:33], v[28:29] neg_lo:[0,1] neg_hi:[0,1]
	s_delay_alu instid0(VALU_DEP_1)
	v_dual_mov_b32 v27, v28 :: v_dual_mov_b32 v28, v31
	ds_store_b128 v19, v[26:29]
	v_add_nc_u32_e32 v19, 16, v19
	s_cbranch_scc1 .LBB136_72
; %bb.73:                               ;   in Loop: Header=BB136_70 Depth=4
	s_mov_b32 s48, s42
	s_mov_b32 s49, s31
	s_branch .LBB136_76
.LBB136_74:                             ;   in Loop: Header=BB136_70 Depth=4
	s_wait_loadcnt 0x0
	v_mov_b32_e32 v18, v17
	s_mov_b32 s48, 0
	s_mov_b32 s49, s31
	s_cbranch_execz .LBB136_76
; %bb.75:                               ;   in Loop: Header=BB136_70 Depth=4
	s_mov_b32 s48, -1
	s_mov_b32 s49, 0
.LBB136_76:                             ;   in Loop: Header=BB136_70 Depth=4
	s_and_not1_b32 vcc_lo, exec_lo, s48
	s_cbranch_vccnz .LBB136_69
; %bb.77:                               ;   in Loop: Header=BB136_70 Depth=4
	s_wait_xcnt 0x0
	v_dual_mov_b32 v19, v17 :: v_dual_mov_b32 v17, v16
	s_sub_co_i32 s48, s29, s49
	s_lshl_b32 s49, s49, 3
.LBB136_78:                             ;   Parent Loop BB136_4 Depth=1
                                        ;     Parent Loop BB136_57 Depth=2
                                        ;       Parent Loop BB136_60 Depth=3
                                        ;         Parent Loop BB136_70 Depth=4
                                        ; =>        This Inner Loop Header: Depth=5
	s_delay_alu instid0(SALU_CYCLE_1)
	s_add_co_i32 s50, s47, s49
	s_add_co_i32 s48, s48, -1
	v_dual_mov_b32 v20, s50 :: v_dual_add_nc_u32 v25, s49, v1
	s_add_co_i32 s49, s49, 8
	s_cmp_eq_u32 s48, 0
	ds_load_b64 v[20:21], v20
	ds_load_b64 v[22:23], v25
	s_wait_dscnt 0x1
	v_pk_mul_f32 v[26:27], v[20:21], v[18:19] op_sel:[1,0] op_sel_hi:[0,1]
	s_delay_alu instid0(VALU_DEP_1) | instskip(SKIP_1) | instid1(VALU_DEP_2)
	v_pk_fma_f32 v[28:29], v[20:21], v[16:17], v[26:27]
	v_pk_fma_f32 v[20:21], v[20:21], v[16:17], v[26:27] neg_lo:[0,0,1] neg_hi:[0,0,1]
	v_mov_b32_e32 v21, v29
	s_wait_dscnt 0x0
	s_delay_alu instid0(VALU_DEP_1)
	v_pk_add_f32 v[20:21], v[22:23], v[20:21] neg_lo:[0,1] neg_hi:[0,1]
	ds_store_b64 v25, v[20:21]
	s_cbranch_scc0 .LBB136_78
	s_branch .LBB136_69
.LBB136_79:                             ;   in Loop: Header=BB136_60 Depth=3
	s_mov_b32 s18, 0
	s_mov_b32 s47, s45
	s_branch .LBB136_81
.LBB136_80:                             ;   in Loop: Header=BB136_81 Depth=4
	s_add_co_i32 s48, s18, s14
	s_add_co_i32 s18, s18, 1
	s_mul_i32 s49, s48, 40
	s_add_co_i32 s47, s47, 8
	s_wait_xcnt 0x0
	v_mov_b32_e32 v17, s49
	s_ashr_i32 s49, s48, 31
	s_cmp_eq_u32 s18, s29
	ds_load_b64 v[20:21], v17
	s_wait_dscnt 0x0
	v_pk_mul_f32 v[22:23], v[20:21], v[18:19] op_sel:[1,0] op_sel_hi:[0,0]
	s_delay_alu instid0(VALU_DEP_1) | instskip(SKIP_2) | instid1(VALU_DEP_3)
	v_pk_fma_f32 v[26:27], v[20:21], v[16:17], v[22:23] op_sel_hi:[1,0,1]
	v_pk_fma_f32 v[16:17], v[20:21], v[16:17], v[22:23] neg_lo:[0,0,1] neg_hi:[0,0,1]
	v_lshl_add_u64 v[20:21], s[48:49], 3, v[12:13]
	v_mov_b32_e32 v17, v27
	ds_store_b64 v19, v[16:17]
	global_store_b64 v[20:21], v[16:17], off
	s_cbranch_scc1 .LBB136_59
.LBB136_81:                             ;   Parent Loop BB136_4 Depth=1
                                        ;     Parent Loop BB136_57 Depth=2
                                        ;       Parent Loop BB136_60 Depth=3
                                        ; =>      This Loop Header: Depth=4
                                        ;           Child Loop BB136_83 Depth 5
	v_lshl_add_u32 v19, s18, 3, v1
	s_cmp_lg_u32 s18, 0
	s_cbranch_scc0 .LBB136_85
; %bb.82:                               ;   in Loop: Header=BB136_81 Depth=4
	s_wait_xcnt 0x0
	ds_load_b64 v[16:17], v19
	v_mov_b32_e32 v18, v1
	s_mov_b32 s48, s47
	s_mov_b32 s49, s18
.LBB136_83:                             ;   Parent Loop BB136_4 Depth=1
                                        ;     Parent Loop BB136_57 Depth=2
                                        ;       Parent Loop BB136_60 Depth=3
                                        ;         Parent Loop BB136_81 Depth=4
                                        ; =>        This Inner Loop Header: Depth=5
	v_mov_b32_e32 v22, s48
	s_add_co_i32 s49, s49, -1
	s_add_co_i32 s48, s48, 32
	s_cmp_eq_u32 s49, 0
	ds_load_b64 v[20:21], v18
	ds_load_b64 v[22:23], v22
	v_add_nc_u32_e32 v18, 8, v18
	s_wait_dscnt 0x0
	v_pk_mul_f32 v[26:27], v[22:23], v[20:21] op_sel:[1,1] op_sel_hi:[0,1]
	s_delay_alu instid0(VALU_DEP_1) | instskip(SKIP_1) | instid1(VALU_DEP_2)
	v_pk_fma_f32 v[28:29], v[22:23], v[20:21], v[26:27] op_sel_hi:[1,0,1]
	v_pk_fma_f32 v[20:21], v[22:23], v[20:21], v[26:27] neg_lo:[0,0,1] neg_hi:[0,0,1]
	v_mov_b32_e32 v21, v29
	s_delay_alu instid0(VALU_DEP_1)
	v_pk_add_f32 v[16:17], v[16:17], v[20:21] neg_lo:[0,1] neg_hi:[0,1]
	ds_store_b64 v19, v[16:17]
	s_cbranch_scc0 .LBB136_83
; %bb.84:                               ;   in Loop: Header=BB136_81 Depth=4
	v_mov_b32_e32 v18, v17
	s_branch .LBB136_80
.LBB136_85:                             ;   in Loop: Header=BB136_81 Depth=4
                                        ; implicit-def: $vgpr16
                                        ; implicit-def: $vgpr18
	s_cbranch_execz .LBB136_80
; %bb.86:                               ;   in Loop: Header=BB136_81 Depth=4
	s_wait_xcnt 0x0
	ds_load_b64 v[16:17], v1
	s_wait_dscnt 0x0
	v_mov_b32_e32 v18, v17
	s_branch .LBB136_80
.LBB136_87:
	s_endpgm
	.section	.rodata,"a",@progbits
	.p2align	6, 0x0
	.amdhsa_kernel _ZL30rocblas_trsm_small_left_deviceILi4ELi4ELb1E19rocblas_complex_numIfES1_PKS1_PS1_Ev13rocblas_fill_18rocblas_operation_17rocblas_diagonal_iiT3_T4_lilT5_lili
		.amdhsa_group_segment_fixed_size 256
		.amdhsa_private_segment_fixed_size 0
		.amdhsa_kernarg_size 360
		.amdhsa_user_sgpr_count 4
		.amdhsa_user_sgpr_dispatch_ptr 1
		.amdhsa_user_sgpr_queue_ptr 0
		.amdhsa_user_sgpr_kernarg_segment_ptr 1
		.amdhsa_user_sgpr_dispatch_id 0
		.amdhsa_user_sgpr_kernarg_preload_length 0
		.amdhsa_user_sgpr_kernarg_preload_offset 0
		.amdhsa_user_sgpr_private_segment_size 0
		.amdhsa_wavefront_size32 1
		.amdhsa_uses_dynamic_stack 0
		.amdhsa_enable_private_segment 0
		.amdhsa_system_sgpr_workgroup_id_x 1
		.amdhsa_system_sgpr_workgroup_id_y 0
		.amdhsa_system_sgpr_workgroup_id_z 1
		.amdhsa_system_sgpr_workgroup_info 0
		.amdhsa_system_vgpr_workitem_id 2
		.amdhsa_next_free_vgpr 38
		.amdhsa_next_free_sgpr 57
		.amdhsa_named_barrier_count 0
		.amdhsa_reserve_vcc 1
		.amdhsa_float_round_mode_32 0
		.amdhsa_float_round_mode_16_64 0
		.amdhsa_float_denorm_mode_32 3
		.amdhsa_float_denorm_mode_16_64 3
		.amdhsa_fp16_overflow 0
		.amdhsa_memory_ordered 1
		.amdhsa_forward_progress 1
		.amdhsa_inst_pref_size 32
		.amdhsa_round_robin_scheduling 0
		.amdhsa_exception_fp_ieee_invalid_op 0
		.amdhsa_exception_fp_denorm_src 0
		.amdhsa_exception_fp_ieee_div_zero 0
		.amdhsa_exception_fp_ieee_overflow 0
		.amdhsa_exception_fp_ieee_underflow 0
		.amdhsa_exception_fp_ieee_inexact 0
		.amdhsa_exception_int_div_zero 0
	.end_amdhsa_kernel
	.section	.text._ZL30rocblas_trsm_small_left_deviceILi4ELi4ELb1E19rocblas_complex_numIfES1_PKS1_PS1_Ev13rocblas_fill_18rocblas_operation_17rocblas_diagonal_iiT3_T4_lilT5_lili,"axG",@progbits,_ZL30rocblas_trsm_small_left_deviceILi4ELi4ELb1E19rocblas_complex_numIfES1_PKS1_PS1_Ev13rocblas_fill_18rocblas_operation_17rocblas_diagonal_iiT3_T4_lilT5_lili,comdat
.Lfunc_end136:
	.size	_ZL30rocblas_trsm_small_left_deviceILi4ELi4ELb1E19rocblas_complex_numIfES1_PKS1_PS1_Ev13rocblas_fill_18rocblas_operation_17rocblas_diagonal_iiT3_T4_lilT5_lili, .Lfunc_end136-_ZL30rocblas_trsm_small_left_deviceILi4ELi4ELb1E19rocblas_complex_numIfES1_PKS1_PS1_Ev13rocblas_fill_18rocblas_operation_17rocblas_diagonal_iiT3_T4_lilT5_lili
                                        ; -- End function
	.set _ZL30rocblas_trsm_small_left_deviceILi4ELi4ELb1E19rocblas_complex_numIfES1_PKS1_PS1_Ev13rocblas_fill_18rocblas_operation_17rocblas_diagonal_iiT3_T4_lilT5_lili.num_vgpr, 38
	.set _ZL30rocblas_trsm_small_left_deviceILi4ELi4ELb1E19rocblas_complex_numIfES1_PKS1_PS1_Ev13rocblas_fill_18rocblas_operation_17rocblas_diagonal_iiT3_T4_lilT5_lili.num_agpr, 0
	.set _ZL30rocblas_trsm_small_left_deviceILi4ELi4ELb1E19rocblas_complex_numIfES1_PKS1_PS1_Ev13rocblas_fill_18rocblas_operation_17rocblas_diagonal_iiT3_T4_lilT5_lili.numbered_sgpr, 57
	.set _ZL30rocblas_trsm_small_left_deviceILi4ELi4ELb1E19rocblas_complex_numIfES1_PKS1_PS1_Ev13rocblas_fill_18rocblas_operation_17rocblas_diagonal_iiT3_T4_lilT5_lili.num_named_barrier, 0
	.set _ZL30rocblas_trsm_small_left_deviceILi4ELi4ELb1E19rocblas_complex_numIfES1_PKS1_PS1_Ev13rocblas_fill_18rocblas_operation_17rocblas_diagonal_iiT3_T4_lilT5_lili.private_seg_size, 0
	.set _ZL30rocblas_trsm_small_left_deviceILi4ELi4ELb1E19rocblas_complex_numIfES1_PKS1_PS1_Ev13rocblas_fill_18rocblas_operation_17rocblas_diagonal_iiT3_T4_lilT5_lili.uses_vcc, 1
	.set _ZL30rocblas_trsm_small_left_deviceILi4ELi4ELb1E19rocblas_complex_numIfES1_PKS1_PS1_Ev13rocblas_fill_18rocblas_operation_17rocblas_diagonal_iiT3_T4_lilT5_lili.uses_flat_scratch, 0
	.set _ZL30rocblas_trsm_small_left_deviceILi4ELi4ELb1E19rocblas_complex_numIfES1_PKS1_PS1_Ev13rocblas_fill_18rocblas_operation_17rocblas_diagonal_iiT3_T4_lilT5_lili.has_dyn_sized_stack, 0
	.set _ZL30rocblas_trsm_small_left_deviceILi4ELi4ELb1E19rocblas_complex_numIfES1_PKS1_PS1_Ev13rocblas_fill_18rocblas_operation_17rocblas_diagonal_iiT3_T4_lilT5_lili.has_recursion, 0
	.set _ZL30rocblas_trsm_small_left_deviceILi4ELi4ELb1E19rocblas_complex_numIfES1_PKS1_PS1_Ev13rocblas_fill_18rocblas_operation_17rocblas_diagonal_iiT3_T4_lilT5_lili.has_indirect_call, 0
	.section	.AMDGPU.csdata,"",@progbits
; Kernel info:
; codeLenInByte = 3996
; TotalNumSgprs: 59
; NumVgprs: 38
; ScratchSize: 0
; MemoryBound: 0
; FloatMode: 240
; IeeeMode: 1
; LDSByteSize: 256 bytes/workgroup (compile time only)
; SGPRBlocks: 0
; VGPRBlocks: 2
; NumSGPRsForWavesPerEU: 59
; NumVGPRsForWavesPerEU: 38
; NamedBarCnt: 0
; Occupancy: 16
; WaveLimiterHint : 0
; COMPUTE_PGM_RSRC2:SCRATCH_EN: 0
; COMPUTE_PGM_RSRC2:USER_SGPR: 4
; COMPUTE_PGM_RSRC2:TRAP_HANDLER: 0
; COMPUTE_PGM_RSRC2:TGID_X_EN: 1
; COMPUTE_PGM_RSRC2:TGID_Y_EN: 0
; COMPUTE_PGM_RSRC2:TGID_Z_EN: 1
; COMPUTE_PGM_RSRC2:TIDIG_COMP_CNT: 2
	.section	.text._ZL31rocblas_trsm_small_right_deviceI19rocblas_complex_numIfES1_PKS1_PS1_Li4EEv13rocblas_fill_18rocblas_operation_17rocblas_diagonal_iiT0_T1_lilT2_lili,"axG",@progbits,_ZL31rocblas_trsm_small_right_deviceI19rocblas_complex_numIfES1_PKS1_PS1_Li4EEv13rocblas_fill_18rocblas_operation_17rocblas_diagonal_iiT0_T1_lilT2_lili,comdat
	.globl	_ZL31rocblas_trsm_small_right_deviceI19rocblas_complex_numIfES1_PKS1_PS1_Li4EEv13rocblas_fill_18rocblas_operation_17rocblas_diagonal_iiT0_T1_lilT2_lili ; -- Begin function _ZL31rocblas_trsm_small_right_deviceI19rocblas_complex_numIfES1_PKS1_PS1_Li4EEv13rocblas_fill_18rocblas_operation_17rocblas_diagonal_iiT0_T1_lilT2_lili
	.p2align	8
	.type	_ZL31rocblas_trsm_small_right_deviceI19rocblas_complex_numIfES1_PKS1_PS1_Li4EEv13rocblas_fill_18rocblas_operation_17rocblas_diagonal_iiT0_T1_lilT2_lili,@function
_ZL31rocblas_trsm_small_right_deviceI19rocblas_complex_numIfES1_PKS1_PS1_Li4EEv13rocblas_fill_18rocblas_operation_17rocblas_diagonal_iiT0_T1_lilT2_lili: ; @_ZL31rocblas_trsm_small_right_deviceI19rocblas_complex_numIfES1_PKS1_PS1_Li4EEv13rocblas_fill_18rocblas_operation_17rocblas_diagonal_iiT0_T1_lilT2_lili
; %bb.0:
	s_load_b32 s33, s[0:1], 0x60
	s_bfe_u32 s2, ttmp6, 0x40014
	s_lshr_b32 s4, ttmp7, 16
	s_add_co_i32 s2, s2, 1
	s_bfe_u32 s5, ttmp6, 0x40008
	s_mul_i32 s2, s4, s2
	s_getreg_b32 s3, hwreg(HW_REG_IB_STS2, 6, 4)
	s_add_co_i32 s5, s5, s2
	s_cmp_eq_u32 s3, 0
	s_mov_b32 s19, 0
	s_cselect_b32 s2, s4, s5
	s_wait_kmcnt 0x0
	s_cmp_ge_u32 s2, s33
	s_cbranch_scc1 .LBB137_140
; %bb.1:
	s_clause 0x6
	s_load_b96 s[20:22], s[0:1], 0x48
	s_load_b32 s24, s[0:1], 0x30
	s_load_b128 s[12:15], s[0:1], 0x0
	s_load_b96 s[16:18], s[0:1], 0x10
	s_load_b32 s23, s[0:1], 0x68
	s_load_b128 s[8:11], s[0:1], 0x20
	s_load_b128 s[4:7], s[0:1], 0x38
	v_dual_mov_b32 v15, 0 :: v_dual_lshlrev_b32 v12, 3, v0
	v_mov_b64_e32 v[22:23], 0x3f800000
	v_lshlrev_b32_e32 v14, 3, v0
	s_delay_alu instid0(VALU_DEP_3) | instskip(NEXT) | instid1(VALU_DEP_4)
	v_or_b32_e32 v26, 0x80, v12
	v_mov_b32_e32 v13, v15
	s_wait_kmcnt 0x0
	s_ashr_i32 s27, s22, 31
	s_mov_b32 s26, s22
	s_ashr_i32 s25, s24, 31
	s_cmp_eq_u64 s[26:27], 1
	s_cselect_b32 s34, -1, 0
	s_lshl_b64 s[28:29], s[20:21], 3
	s_cmp_lg_u32 s12, 0x7a
	s_load_b64 s[20:21], s[0:1], 0x58
	s_cselect_b32 s35, -1, 0
	s_cmp_lg_u32 s13, 0x71
	s_wait_xcnt 0x0
	s_cselect_b32 s1, -1, 0
	s_bfe_u32 s0, ttmp6, 0x4000c
	s_min_i32 s36, s16, 4
	s_add_co_i32 s0, s0, 1
	s_and_b32 s22, ttmp6, 15
	s_mul_i32 s0, ttmp9, s0
	s_add_co_i32 s23, s23, -1
	s_add_co_i32 s37, s36, -1
	s_add_co_i32 s22, s22, s0
	s_cmp_eq_u32 s3, 0
	s_mul_i32 s39, s37, 40
	s_cselect_b32 s30, ttmp9, s22
	s_mov_b32 s22, s17
	s_lshl_b32 s0, s30, 2
	s_delay_alu instid0(SALU_CYCLE_1)
	s_sub_co_i32 s0, s15, s0
	s_cmp_ge_u32 s30, s23
	s_mov_b32 s23, s18
	s_cselect_b32 s3, s0, 4
	s_ashr_i32 s31, s30, 31
	v_cmp_gt_i32_e32 vcc_lo, s3, v0
	s_lshl_b64 s[30:31], s[30:31], 5
	s_cmp_eq_u32 s14, 0x84
	s_add_nc_u64 s[14:15], s[6:7], s[28:29]
	s_cselect_b32 s38, -1, 0
	s_cmp_gt_i32 s16, 0
	v_cmp_gt_i32_e64 s0, s36, v0
	s_cselect_b32 s44, -1, 0
	s_cmp_lg_u32 s13, 0x6f
	s_cselect_b32 s13, -1, 0
	s_cmp_lg_u32 s12, 0x79
	s_cselect_b32 s40, -1, 0
	s_or_b32 s41, s35, s13
	s_or_b32 s42, s40, s13
	s_cmp_gt_i32 s16, 3
	s_add_nc_u64 s[12:13], s[14:15], s[30:31]
	s_cselect_b32 s43, -1, 0
	s_add_co_i32 s14, s36, -2
	s_add_co_i32 s15, s36, -3
	s_lshl_b32 s49, s14, 3
	s_sub_co_i32 s52, s39, 40
	s_lshl_b32 s3, s37, 5
	s_lshl_b32 s47, s37, 3
	;; [unrolled: 1-line block ×3, first 2 shown]
	s_sub_co_i32 s55, s52, s49
	s_lshl_b32 s66, s36, 3
	v_dual_lshlrev_b32 v1, 5, v0 :: v_dual_add_nc_u32 v27, s3, v26
	s_add_co_i32 s3, s36, -4
	s_sub_co_i32 s48, s39, s47
	s_add_co_i32 s54, s55, s51
	s_add_co_i32 s55, s55, s66
	s_and_b32 s44, vcc_lo, s44
	s_lshl_b32 s45, s14, 5
	s_lshl_b32 s46, s15, 5
	;; [unrolled: 1-line block ×3, first 2 shown]
	s_add_co_i32 s50, s48, s49
	s_add_co_i32 s53, s48, s51
	;; [unrolled: 1-line block ×3, first 2 shown]
	s_sub_co_i32 s57, s55, 32
	s_sub_co_i32 s58, s55, 64
	s_add_co_i32 s59, s39, 0xffffff88
	s_add_co_i32 s60, s36, -5
	s_sub_co_i32 s61, s55, 40
	s_add_co_i32 s62, s55, 0xffffffb0
	s_lshl_b32 s3, s3, 3
	s_cmp_gt_u32 s16, 1
	v_add_nc_u32_e32 v30, s67, v26
	s_cselect_b32 s14, -1, 0
	s_and_b32 s63, s16, 0x7ffffffe
	s_and_b32 s64, s14, s34
	s_cmp_lg_u32 s16, s63
	s_mov_b32 s14, s17
	s_cselect_b32 s65, -1, 0
	s_lshl_b64 s[10:11], s[10:11], 3
	s_mov_b32 s15, s17
	s_add_nc_u64 s[10:11], s[8:9], s[10:11]
	v_dual_add_nc_u32 v28, s45, v26 :: v_dual_add_nc_u32 v29, s46, v26
	v_add_nc_u64_e32 v[2:3], s[10:11], v[12:13]
	s_add_nc_u64 s[10:11], s[30:31], s[28:29]
	v_add_nc_u32_e32 v31, v12, v1
	s_add_nc_u64 s[10:11], s[6:7], s[10:11]
	s_mov_b32 s7, s17
	v_add_nc_u64_e32 v[16:17], s[10:11], v[12:13]
	s_lshl_b32 s17, s36, 5
	v_add_nc_u64_e32 v[18:19], 4, v[2:3]
	v_or_b32_e32 v2, s17, v12
	s_mov_b32 s8, s18
	s_mov_b32 s9, s18
	;; [unrolled: 1-line block ×3, first 2 shown]
	v_add_nc_u64_e32 v[20:21], 4, v[16:17]
	v_add_nc_u32_e32 v13, 0x60, v2
	s_lshl_b64 s[4:5], s[4:5], 3
	s_lshl_b64 s[10:11], s[24:25], 3
	;; [unrolled: 1-line block ×3, first 2 shown]
	s_wait_kmcnt 0x0
	s_lshl_b64 s[26:27], s[20:21], 3
	s_sub_co_i32 s17, s17, 32
	s_add_co_i32 s66, s66, -8
	s_add_co_i32 s67, s67, s3
	s_branch .LBB137_3
.LBB137_2:                              ;   in Loop: Header=BB137_3 Depth=1
	s_or_b32 exec_lo, exec_lo, s3
	s_add_co_i32 s2, s2, 0x10000
	s_delay_alu instid0(SALU_CYCLE_1)
	s_cmp_lt_u32 s2, s33
	s_cbranch_scc0 .LBB137_140
.LBB137_3:                              ; =>This Loop Header: Depth=1
                                        ;     Child Loop BB137_6 Depth 2
                                        ;     Child Loop BB137_15 Depth 2
	;; [unrolled: 1-line block ×4, first 2 shown]
                                        ;       Child Loop BB137_45 Depth 3
                                        ;     Child Loop BB137_73 Depth 2
                                        ;       Child Loop BB137_74 Depth 3
                                        ;     Child Loop BB137_102 Depth 2
	;; [unrolled: 2-line block ×4, first 2 shown]
	s_mov_b32 s3, s19
	s_and_saveexec_b32 s18, s0
	s_cbranch_execz .LBB137_12
; %bb.4:                                ;   in Loop: Header=BB137_3 Depth=1
	v_mad_nc_u64_u32 v[0:1], s4, s2, v[18:19]
	v_mov_b32_e32 v4, v12
	s_mov_b32 s28, s36
	s_delay_alu instid0(VALU_DEP_2)
	v_mad_u32 v1, s5, s2, v1
	s_branch .LBB137_6
.LBB137_5:                              ;   in Loop: Header=BB137_6 Depth=2
	global_load_b32 v2, v[0:1], off offset:-4
	s_wait_xcnt 0x0
	v_add_nc_u64_e32 v[0:1], s[10:11], v[0:1]
	s_add_co_i32 s28, s28, -1
	s_delay_alu instid0(SALU_CYCLE_1)
	s_cmp_eq_u32 s28, 0
	s_wait_loadcnt 0x0
	ds_store_b64 v4, v[2:3]
	v_add_nc_u32_e32 v4, 32, v4
	s_cbranch_scc1 .LBB137_10
.LBB137_6:                              ;   Parent Loop BB137_3 Depth=1
                                        ; =>  This Inner Loop Header: Depth=2
	s_and_b32 vcc_lo, exec_lo, s1
	s_mov_b32 s29, -1
                                        ; implicit-def: $vgpr3
	s_cbranch_vccz .LBB137_8
; %bb.7:                                ;   in Loop: Header=BB137_6 Depth=2
	global_load_b32 v3, v[0:1], off
	s_mov_b32 s29, 0
.LBB137_8:                              ;   in Loop: Header=BB137_6 Depth=2
	s_delay_alu instid0(SALU_CYCLE_1)
	s_and_not1_b32 vcc_lo, exec_lo, s29
	s_cbranch_vccnz .LBB137_5
; %bb.9:                                ;   in Loop: Header=BB137_6 Depth=2
	global_load_b32 v2, v[0:1], off
	s_wait_loadcnt 0x0
	v_xor_b32_e32 v3, 0x80000000, v2
	s_branch .LBB137_5
.LBB137_10:                             ;   in Loop: Header=BB137_3 Depth=1
	s_and_b32 vcc_lo, exec_lo, s38
	s_cbranch_vccz .LBB137_12
; %bb.11:                               ;   in Loop: Header=BB137_3 Depth=1
	ds_store_b64 v31, v[22:23]
.LBB137_12:                             ;   in Loop: Header=BB137_3 Depth=1
	s_or_b32 exec_lo, exec_lo, s18
	s_mul_u64 s[28:29], s[26:27], s[2:3]
	s_and_saveexec_b32 s68, s44
	s_cbranch_execz .LBB137_20
; %bb.13:                               ;   in Loop: Header=BB137_3 Depth=1
	s_and_not1_b32 vcc_lo, exec_lo, s64
	s_cbranch_vccnz .LBB137_17
; %bb.14:                               ;   in Loop: Header=BB137_3 Depth=1
	s_mul_u64 s[30:31], s[20:21], s[2:3]
	s_mov_b32 s18, 0
	s_lshl_b64 s[30:31], s[30:31], 3
	s_mov_b32 s3, s63
	s_add_nc_u64 s[30:31], s[12:13], s[30:31]
	s_delay_alu instid0(SALU_CYCLE_1)
	v_add_nc_u64_e32 v[0:1], s[30:31], v[14:15]
	s_mov_b32 s30, 1
.LBB137_15:                             ;   Parent Loop BB137_3 Depth=1
                                        ; =>  This Inner Loop Header: Depth=2
	s_mov_b32 s31, s19
	s_delay_alu instid0(VALU_DEP_1)
	v_lshl_add_u64 v[2:3], s[18:19], 3, v[0:1]
	v_lshl_add_u64 v[4:5], s[30:31], 3, v[0:1]
	v_mov_b64_e32 v[6:7], s[8:9]
	v_mov_b64_e32 v[8:9], s[14:15]
	v_lshl_add_u32 v24, s18, 5, v26
	s_clause 0x1
	global_load_b64 v[2:3], v[2:3], off
	global_load_b64 v[4:5], v[4:5], off
	v_lshl_add_u32 v25, s30, 5, v26
	s_add_co_i32 s3, s3, -2
	s_add_co_i32 s18, s18, 2
	s_add_co_i32 s30, s30, 2
	s_mov_b32 s34, s63
	s_mov_b32 s31, s65
	s_cmp_lg_u32 s3, 0
	s_wait_loadcnt 0x0
	v_dual_mov_b32 v10, v2 :: v_dual_mov_b32 v11, v4
	s_wait_xcnt 0x0
	v_mov_b32_e32 v4, v3
	s_delay_alu instid0(VALU_DEP_1) | instskip(SKIP_1) | instid1(VALU_DEP_2)
	v_pk_mul_f32 v[2:3], v[6:7], v[4:5]
	v_pk_mul_f32 v[4:5], v[8:9], v[4:5]
	v_pk_fma_f32 v[2:3], v[8:9], v[10:11], v[2:3] neg_lo:[0,0,1] neg_hi:[0,0,1]
	s_delay_alu instid0(VALU_DEP_2)
	v_pk_fma_f32 v[4:5], v[6:7], v[10:11], v[4:5]
	ds_store_b32 v24, v2
	ds_store_b32 v25, v3
	ds_store_b32 v24, v4 offset:4
	ds_store_b32 v25, v5 offset:4
	s_cbranch_scc1 .LBB137_15
; %bb.16:                               ;   in Loop: Header=BB137_3 Depth=1
	s_and_b32 vcc_lo, exec_lo, s31
	s_cbranch_vccnz .LBB137_18
	s_branch .LBB137_20
.LBB137_17:                             ;   in Loop: Header=BB137_3 Depth=1
	s_mov_b32 s34, 0
	s_cbranch_execz .LBB137_20
.LBB137_18:                             ;   in Loop: Header=BB137_3 Depth=1
	s_mov_b32 s35, s19
	v_lshl_add_u32 v2, s34, 5, v26
	s_mul_u64 s[30:31], s[24:25], s[34:35]
	s_sub_co_i32 s3, s16, s34
	s_add_nc_u64 s[30:31], s[30:31], s[28:29]
	s_delay_alu instid0(SALU_CYCLE_1)
	v_add_nc_u64_e32 v[0:1], s[30:31], v[20:21]
.LBB137_19:                             ;   Parent Loop BB137_3 Depth=1
                                        ; =>  This Inner Loop Header: Depth=2
	global_load_b64 v[4:5], v[0:1], off offset:-4
	v_mov_b64_e32 v[6:7], s[6:7]
	v_mov_b64_e32 v[8:9], s[22:23]
	s_wait_xcnt 0x0
	v_add_nc_u64_e32 v[0:1], s[24:25], v[0:1]
	s_add_co_i32 s3, s3, -1
	s_delay_alu instid0(SALU_CYCLE_1) | instskip(SKIP_2) | instid1(VALU_DEP_1)
	s_cmp_lg_u32 s3, 0
	s_wait_loadcnt 0x0
	v_pk_mul_f32 v[6:7], v[6:7], v[4:5] op_sel:[0,1]
	v_pk_fma_f32 v[10:11], v[8:9], v[4:5], v[6:7] op_sel_hi:[1,0,1]
	v_pk_fma_f32 v[4:5], v[8:9], v[4:5], v[6:7] neg_lo:[0,0,1] neg_hi:[0,0,1]
	s_delay_alu instid0(VALU_DEP_2)
	v_mov_b32_e32 v5, v11
	ds_store_b64 v2, v[4:5]
	v_add_nc_u32_e32 v2, 32, v2
	s_cbranch_scc1 .LBB137_19
.LBB137_20:                             ;   in Loop: Header=BB137_3 Depth=1
	s_or_b32 exec_lo, exec_lo, s68
	s_delay_alu instid0(SALU_CYCLE_1)
	s_and_b32 vcc_lo, exec_lo, s42
	s_mov_b32 s3, -1
	s_wait_dscnt 0x0
	; wave barrier
	s_cbranch_vccz .LBB137_109
; %bb.21:                               ;   in Loop: Header=BB137_3 Depth=1
	s_and_b32 vcc_lo, exec_lo, s41
	s_cbranch_vccz .LBB137_80
; %bb.22:                               ;   in Loop: Header=BB137_3 Depth=1
	s_and_not1_b32 vcc_lo, exec_lo, s40
	s_cbranch_vccnz .LBB137_51
; %bb.23:                               ;   in Loop: Header=BB137_3 Depth=1
	s_and_not1_b32 vcc_lo, exec_lo, s43
	s_mov_b32 s3, 0
	s_cbranch_vccnz .LBB137_41
; %bb.24:                               ;   in Loop: Header=BB137_3 Depth=1
	ds_load_b64 v[8:9], v15
	ds_load_2addr_b64 v[4:7], v26 offset1:4
	ds_load_2addr_b64 v[0:3], v26 offset0:8 offset1:12
	s_mov_b32 s3, -1
                                        ; implicit-def: $vgpr25
	s_wait_dscnt 0x2
	v_and_b32_e32 v10, 0x7fffffff, v8
	v_and_b32_e32 v11, 0x7fffffff, v9
	s_delay_alu instid0(VALU_DEP_1)
	v_cmp_ngt_f32_e32 vcc_lo, v10, v11
	s_cbranch_vccz .LBB137_26
; %bb.25:                               ;   in Loop: Header=BB137_3 Depth=1
	v_div_scale_f32 v10, null, v9, v9, v8
	v_div_scale_f32 v25, vcc_lo, v8, v9, v8
	s_mov_b32 s3, 0
	v_rcp_f32_e32 v11, v10
	v_nop
	v_xor_b32_e32 v10, 0x80000000, v10
	s_delay_alu instid0(TRANS32_DEP_1) | instid1(VALU_DEP_1)
	v_fma_f32 v24, v10, v11, 1.0
	s_delay_alu instid0(VALU_DEP_1) | instskip(NEXT) | instid1(VALU_DEP_1)
	v_fmac_f32_e32 v11, v24, v11
	v_mul_f32_e32 v24, v25, v11
	s_delay_alu instid0(VALU_DEP_1) | instskip(NEXT) | instid1(VALU_DEP_1)
	v_fma_f32 v32, v10, v24, v25
	v_fmac_f32_e32 v24, v32, v11
	s_delay_alu instid0(VALU_DEP_1) | instskip(NEXT) | instid1(VALU_DEP_1)
	v_fmac_f32_e32 v25, v10, v24
	v_div_fmas_f32 v10, v25, v11, v24
	s_delay_alu instid0(VALU_DEP_1) | instskip(NEXT) | instid1(VALU_DEP_1)
	v_div_fixup_f32 v10, v10, v9, v8
	v_fma_f32 v11, v8, v10, v9
	s_delay_alu instid0(VALU_DEP_1) | instskip(SKIP_1) | instid1(VALU_DEP_2)
	v_div_scale_f32 v24, null, v11, v11, 1.0
	v_div_scale_f32 v33, vcc_lo, 1.0, v11, 1.0
	v_rcp_f32_e32 v25, v24
	v_nop
	v_xor_b32_e32 v24, 0x80000000, v24
	s_delay_alu instid0(TRANS32_DEP_1) | instid1(VALU_DEP_1)
	v_fma_f32 v32, v24, v25, 1.0
	s_delay_alu instid0(VALU_DEP_1) | instskip(NEXT) | instid1(VALU_DEP_1)
	v_fmac_f32_e32 v25, v32, v25
	v_mul_f32_e32 v32, v33, v25
	s_delay_alu instid0(VALU_DEP_1) | instskip(NEXT) | instid1(VALU_DEP_1)
	v_fma_f32 v34, v24, v32, v33
	v_fmac_f32_e32 v32, v34, v25
	s_delay_alu instid0(VALU_DEP_1) | instskip(NEXT) | instid1(VALU_DEP_1)
	v_fmac_f32_e32 v33, v24, v32
	v_div_fmas_f32 v24, v33, v25, v32
	s_wait_dscnt 0x1
	v_dual_fma_f32 v25, v4, v10, v5 :: v_dual_fma_f32 v10, v5, v10, -v4
	s_delay_alu instid0(VALU_DEP_2) | instskip(NEXT) | instid1(VALU_DEP_1)
	v_div_fixup_f32 v11, v24, v11, 1.0
	v_dual_mul_f32 v24, v25, v11 :: v_dual_mul_f32 v25, v10, v11
.LBB137_26:                             ;   in Loop: Header=BB137_3 Depth=1
	s_and_not1_b32 vcc_lo, exec_lo, s3
	s_cbranch_vccnz .LBB137_28
; %bb.27:                               ;   in Loop: Header=BB137_3 Depth=1
	v_div_scale_f32 v10, null, v8, v8, v9
	v_div_scale_f32 v25, vcc_lo, v9, v8, v9
	s_delay_alu instid0(VALU_DEP_2)
	v_rcp_f32_e32 v11, v10
	v_nop
	v_xor_b32_e32 v10, 0x80000000, v10
	s_delay_alu instid0(TRANS32_DEP_1) | instid1(VALU_DEP_1)
	v_fma_f32 v24, v10, v11, 1.0
	s_delay_alu instid0(VALU_DEP_1) | instskip(NEXT) | instid1(VALU_DEP_1)
	v_fmac_f32_e32 v11, v24, v11
	v_mul_f32_e32 v24, v25, v11
	s_delay_alu instid0(VALU_DEP_1) | instskip(NEXT) | instid1(VALU_DEP_1)
	v_fma_f32 v32, v10, v24, v25
	v_fmac_f32_e32 v24, v32, v11
	s_delay_alu instid0(VALU_DEP_1) | instskip(NEXT) | instid1(VALU_DEP_1)
	v_fmac_f32_e32 v25, v10, v24
	v_div_fmas_f32 v10, v25, v11, v24
	s_delay_alu instid0(VALU_DEP_1) | instskip(NEXT) | instid1(VALU_DEP_1)
	v_div_fixup_f32 v10, v10, v8, v9
	v_fmac_f32_e32 v8, v9, v10
	s_delay_alu instid0(VALU_DEP_1) | instskip(SKIP_1) | instid1(VALU_DEP_2)
	v_div_scale_f32 v9, null, v8, v8, 1.0
	v_div_scale_f32 v25, vcc_lo, 1.0, v8, 1.0
	v_rcp_f32_e32 v11, v9
	v_nop
	v_xor_b32_e32 v9, 0x80000000, v9
	s_delay_alu instid0(TRANS32_DEP_1) | instid1(VALU_DEP_1)
	v_fma_f32 v24, v9, v11, 1.0
	s_delay_alu instid0(VALU_DEP_1) | instskip(NEXT) | instid1(VALU_DEP_1)
	v_fmac_f32_e32 v11, v24, v11
	v_mul_f32_e32 v24, v25, v11
	s_delay_alu instid0(VALU_DEP_1) | instskip(NEXT) | instid1(VALU_DEP_1)
	v_fma_f32 v32, v9, v24, v25
	v_fmac_f32_e32 v24, v32, v11
	s_delay_alu instid0(VALU_DEP_1) | instskip(NEXT) | instid1(VALU_DEP_1)
	v_fmac_f32_e32 v25, v9, v24
	v_div_fmas_f32 v9, v25, v11, v24
	s_wait_dscnt 0x1
	v_dual_fma_f32 v11, v5, v10, v4 :: v_dual_fma_f32 v4, -v4, v10, v5
	s_delay_alu instid0(VALU_DEP_2) | instskip(NEXT) | instid1(VALU_DEP_1)
	v_div_fixup_f32 v8, v9, v8, 1.0
	v_dual_mul_f32 v24, v11, v8 :: v_dual_mul_f32 v25, v4, v8
.LBB137_28:                             ;   in Loop: Header=BB137_3 Depth=1
	ds_load_2addr_b64 v[8:11], v15 offset0:1 offset1:5
	s_mov_b32 s3, -1
	ds_store_b64 v26, v[24:25]
	s_wait_dscnt 0x1
	v_dual_mul_f32 v4, v25, v9 :: v_dual_mul_f32 v5, v24, v9
	v_and_b32_e32 v9, 0x7fffffff, v10
	v_and_b32_e32 v32, 0x7fffffff, v11
	s_delay_alu instid0(VALU_DEP_3) | instskip(NEXT) | instid1(VALU_DEP_2)
	v_dual_fma_f32 v4, v24, v8, -v4 :: v_dual_fmac_f32 v5, v25, v8
	v_cmp_ngt_f32_e32 vcc_lo, v9, v32
                                        ; implicit-def: $vgpr9
	s_delay_alu instid0(VALU_DEP_2)
	v_dual_sub_f32 v4, v6, v4 :: v_dual_sub_f32 v5, v7, v5
	s_cbranch_vccz .LBB137_30
; %bb.29:                               ;   in Loop: Header=BB137_3 Depth=1
	v_div_scale_f32 v6, null, v11, v11, v10
	v_div_scale_f32 v9, vcc_lo, v10, v11, v10
	s_mov_b32 s3, 0
	v_rcp_f32_e32 v7, v6
	v_nop
	v_xor_b32_e32 v6, 0x80000000, v6
	s_delay_alu instid0(TRANS32_DEP_1) | instid1(VALU_DEP_1)
	v_fma_f32 v8, v6, v7, 1.0
	s_delay_alu instid0(VALU_DEP_1) | instskip(NEXT) | instid1(VALU_DEP_1)
	v_fmac_f32_e32 v7, v8, v7
	v_mul_f32_e32 v8, v9, v7
	s_delay_alu instid0(VALU_DEP_1) | instskip(NEXT) | instid1(VALU_DEP_1)
	v_fma_f32 v32, v6, v8, v9
	v_fmac_f32_e32 v8, v32, v7
	s_delay_alu instid0(VALU_DEP_1) | instskip(NEXT) | instid1(VALU_DEP_1)
	v_fmac_f32_e32 v9, v6, v8
	v_div_fmas_f32 v6, v9, v7, v8
	s_delay_alu instid0(VALU_DEP_1) | instskip(NEXT) | instid1(VALU_DEP_1)
	v_div_fixup_f32 v6, v6, v11, v10
	v_fma_f32 v7, v10, v6, v11
	s_delay_alu instid0(VALU_DEP_1) | instskip(SKIP_1) | instid1(VALU_DEP_2)
	v_div_scale_f32 v8, null, v7, v7, 1.0
	v_div_scale_f32 v33, vcc_lo, 1.0, v7, 1.0
	v_rcp_f32_e32 v9, v8
	v_nop
	v_xor_b32_e32 v8, 0x80000000, v8
	s_delay_alu instid0(TRANS32_DEP_1) | instid1(VALU_DEP_1)
	v_fma_f32 v32, v8, v9, 1.0
	s_delay_alu instid0(VALU_DEP_1) | instskip(NEXT) | instid1(VALU_DEP_1)
	v_fmac_f32_e32 v9, v32, v9
	v_mul_f32_e32 v32, v33, v9
	s_delay_alu instid0(VALU_DEP_1) | instskip(NEXT) | instid1(VALU_DEP_1)
	v_fma_f32 v34, v8, v32, v33
	v_fmac_f32_e32 v32, v34, v9
	s_delay_alu instid0(VALU_DEP_1) | instskip(NEXT) | instid1(VALU_DEP_1)
	v_fmac_f32_e32 v33, v8, v32
	v_div_fmas_f32 v8, v33, v9, v32
	v_dual_fma_f32 v9, v6, v4, v5 :: v_dual_fma_f32 v6, v6, v5, -v4
	s_delay_alu instid0(VALU_DEP_2) | instskip(NEXT) | instid1(VALU_DEP_1)
	v_div_fixup_f32 v7, v8, v7, 1.0
	v_dual_mul_f32 v8, v9, v7 :: v_dual_mul_f32 v9, v6, v7
.LBB137_30:                             ;   in Loop: Header=BB137_3 Depth=1
	s_and_not1_b32 vcc_lo, exec_lo, s3
	s_cbranch_vccnz .LBB137_32
; %bb.31:                               ;   in Loop: Header=BB137_3 Depth=1
	v_div_scale_f32 v6, null, v10, v10, v11
	v_div_scale_f32 v9, vcc_lo, v11, v10, v11
	s_delay_alu instid0(VALU_DEP_2)
	v_rcp_f32_e32 v7, v6
	v_nop
	v_xor_b32_e32 v6, 0x80000000, v6
	s_delay_alu instid0(TRANS32_DEP_1) | instid1(VALU_DEP_1)
	v_fma_f32 v8, v6, v7, 1.0
	s_delay_alu instid0(VALU_DEP_1) | instskip(NEXT) | instid1(VALU_DEP_1)
	v_fmac_f32_e32 v7, v8, v7
	v_mul_f32_e32 v8, v9, v7
	s_delay_alu instid0(VALU_DEP_1) | instskip(NEXT) | instid1(VALU_DEP_1)
	v_fma_f32 v32, v6, v8, v9
	v_fmac_f32_e32 v8, v32, v7
	s_delay_alu instid0(VALU_DEP_1) | instskip(NEXT) | instid1(VALU_DEP_1)
	v_fmac_f32_e32 v9, v6, v8
	v_div_fmas_f32 v6, v9, v7, v8
	s_delay_alu instid0(VALU_DEP_1) | instskip(NEXT) | instid1(VALU_DEP_1)
	v_div_fixup_f32 v6, v6, v10, v11
	v_fmac_f32_e32 v10, v11, v6
	s_delay_alu instid0(VALU_DEP_1) | instskip(SKIP_1) | instid1(VALU_DEP_2)
	v_div_scale_f32 v7, null, v10, v10, 1.0
	v_div_scale_f32 v11, vcc_lo, 1.0, v10, 1.0
	v_rcp_f32_e32 v8, v7
	v_nop
	v_xor_b32_e32 v7, 0x80000000, v7
	s_delay_alu instid0(TRANS32_DEP_1) | instid1(VALU_DEP_1)
	v_fma_f32 v9, v7, v8, 1.0
	s_delay_alu instid0(VALU_DEP_1) | instskip(NEXT) | instid1(VALU_DEP_1)
	v_fmac_f32_e32 v8, v9, v8
	v_mul_f32_e32 v9, v11, v8
	s_delay_alu instid0(VALU_DEP_1) | instskip(NEXT) | instid1(VALU_DEP_1)
	v_fma_f32 v32, v7, v9, v11
	v_fmac_f32_e32 v9, v32, v8
	s_delay_alu instid0(VALU_DEP_1) | instskip(NEXT) | instid1(VALU_DEP_1)
	v_fmac_f32_e32 v11, v7, v9
	v_div_fmas_f32 v7, v11, v8, v9
	v_dual_fma_f32 v8, v6, v5, v4 :: v_dual_fma_f32 v4, -v6, v4, v5
	s_delay_alu instid0(VALU_DEP_2) | instskip(NEXT) | instid1(VALU_DEP_1)
	v_div_fixup_f32 v7, v7, v10, 1.0
	v_mul_f32_e32 v8, v8, v7
	s_delay_alu instid0(VALU_DEP_3)
	v_mul_f32_e32 v9, v4, v7
.LBB137_32:                             ;   in Loop: Header=BB137_3 Depth=1
	ds_load_2addr_b64 v[32:35], v15 offset0:2 offset1:6
	ds_load_b64 v[4:5], v15 offset:80
	s_mov_b32 s3, -1
	ds_store_b64 v26, v[8:9] offset:32
	s_wait_dscnt 0x2
	v_dual_mul_f32 v6, v25, v33 :: v_dual_mul_f32 v7, v24, v33
	v_dual_mul_f32 v10, v9, v35 :: v_dual_mul_f32 v11, v8, v35
	s_wait_dscnt 0x1
	v_and_b32_e32 v33, 0x7fffffff, v4
	s_delay_alu instid0(VALU_DEP_3) | instskip(SKIP_2) | instid1(VALU_DEP_3)
	v_dual_fma_f32 v6, v24, v32, -v6 :: v_dual_fmac_f32 v7, v25, v32
	v_and_b32_e32 v32, 0x7fffffff, v5
	v_dual_fma_f32 v10, v8, v34, -v10 :: v_dual_fmac_f32 v11, v9, v34
	v_dual_sub_f32 v0, v0, v6 :: v_dual_sub_f32 v1, v1, v7
	s_delay_alu instid0(VALU_DEP_3) | instskip(NEXT) | instid1(VALU_DEP_2)
	v_cmp_ngt_f32_e32 vcc_lo, v33, v32
	v_dual_sub_f32 v0, v0, v10 :: v_dual_sub_f32 v1, v1, v11
                                        ; implicit-def: $vgpr11
	s_cbranch_vccz .LBB137_34
; %bb.33:                               ;   in Loop: Header=BB137_3 Depth=1
	v_div_scale_f32 v6, null, v5, v5, v4
	v_div_scale_f32 v11, vcc_lo, v4, v5, v4
	s_mov_b32 s3, 0
	v_rcp_f32_e32 v7, v6
	v_nop
	v_xor_b32_e32 v6, 0x80000000, v6
	s_delay_alu instid0(TRANS32_DEP_1) | instid1(VALU_DEP_1)
	v_fma_f32 v10, v6, v7, 1.0
	s_delay_alu instid0(VALU_DEP_1) | instskip(NEXT) | instid1(VALU_DEP_1)
	v_fmac_f32_e32 v7, v10, v7
	v_mul_f32_e32 v10, v11, v7
	s_delay_alu instid0(VALU_DEP_1) | instskip(NEXT) | instid1(VALU_DEP_1)
	v_fma_f32 v32, v6, v10, v11
	v_fmac_f32_e32 v10, v32, v7
	s_delay_alu instid0(VALU_DEP_1) | instskip(NEXT) | instid1(VALU_DEP_1)
	v_fmac_f32_e32 v11, v6, v10
	v_div_fmas_f32 v6, v11, v7, v10
	s_delay_alu instid0(VALU_DEP_1) | instskip(NEXT) | instid1(VALU_DEP_1)
	v_div_fixup_f32 v6, v6, v5, v4
	v_fma_f32 v7, v4, v6, v5
	s_delay_alu instid0(VALU_DEP_1) | instskip(SKIP_1) | instid1(VALU_DEP_2)
	v_div_scale_f32 v10, null, v7, v7, 1.0
	v_div_scale_f32 v33, vcc_lo, 1.0, v7, 1.0
	v_rcp_f32_e32 v11, v10
	v_nop
	v_xor_b32_e32 v10, 0x80000000, v10
	s_delay_alu instid0(TRANS32_DEP_1) | instid1(VALU_DEP_1)
	v_fma_f32 v32, v10, v11, 1.0
	s_delay_alu instid0(VALU_DEP_1) | instskip(NEXT) | instid1(VALU_DEP_1)
	v_fmac_f32_e32 v11, v32, v11
	v_mul_f32_e32 v32, v33, v11
	s_delay_alu instid0(VALU_DEP_1) | instskip(NEXT) | instid1(VALU_DEP_1)
	v_fma_f32 v34, v10, v32, v33
	v_fmac_f32_e32 v32, v34, v11
	s_delay_alu instid0(VALU_DEP_1) | instskip(NEXT) | instid1(VALU_DEP_1)
	v_fmac_f32_e32 v33, v10, v32
	v_div_fmas_f32 v10, v33, v11, v32
	v_dual_fma_f32 v11, v6, v0, v1 :: v_dual_fma_f32 v6, v6, v1, -v0
	s_delay_alu instid0(VALU_DEP_2) | instskip(NEXT) | instid1(VALU_DEP_1)
	v_div_fixup_f32 v7, v10, v7, 1.0
	v_dual_mul_f32 v10, v11, v7 :: v_dual_mul_f32 v11, v6, v7
.LBB137_34:                             ;   in Loop: Header=BB137_3 Depth=1
	s_and_not1_b32 vcc_lo, exec_lo, s3
	s_cbranch_vccnz .LBB137_36
; %bb.35:                               ;   in Loop: Header=BB137_3 Depth=1
	v_div_scale_f32 v6, null, v4, v4, v5
	v_div_scale_f32 v11, vcc_lo, v5, v4, v5
	s_delay_alu instid0(VALU_DEP_2)
	v_rcp_f32_e32 v7, v6
	v_nop
	v_xor_b32_e32 v6, 0x80000000, v6
	s_delay_alu instid0(TRANS32_DEP_1) | instid1(VALU_DEP_1)
	v_fma_f32 v10, v6, v7, 1.0
	s_delay_alu instid0(VALU_DEP_1) | instskip(NEXT) | instid1(VALU_DEP_1)
	v_fmac_f32_e32 v7, v10, v7
	v_mul_f32_e32 v10, v11, v7
	s_delay_alu instid0(VALU_DEP_1) | instskip(NEXT) | instid1(VALU_DEP_1)
	v_fma_f32 v32, v6, v10, v11
	v_fmac_f32_e32 v10, v32, v7
	s_delay_alu instid0(VALU_DEP_1) | instskip(NEXT) | instid1(VALU_DEP_1)
	v_fmac_f32_e32 v11, v6, v10
	v_div_fmas_f32 v6, v11, v7, v10
	s_delay_alu instid0(VALU_DEP_1) | instskip(NEXT) | instid1(VALU_DEP_1)
	v_div_fixup_f32 v6, v6, v4, v5
	v_fmac_f32_e32 v4, v5, v6
	s_delay_alu instid0(VALU_DEP_1) | instskip(SKIP_1) | instid1(VALU_DEP_2)
	v_div_scale_f32 v5, null, v4, v4, 1.0
	v_div_scale_f32 v11, vcc_lo, 1.0, v4, 1.0
	v_rcp_f32_e32 v7, v5
	v_nop
	v_xor_b32_e32 v5, 0x80000000, v5
	s_delay_alu instid0(TRANS32_DEP_1) | instid1(VALU_DEP_1)
	v_fma_f32 v10, v5, v7, 1.0
	s_delay_alu instid0(VALU_DEP_1) | instskip(NEXT) | instid1(VALU_DEP_1)
	v_fmac_f32_e32 v7, v10, v7
	v_mul_f32_e32 v10, v11, v7
	s_delay_alu instid0(VALU_DEP_1) | instskip(NEXT) | instid1(VALU_DEP_1)
	v_fma_f32 v32, v5, v10, v11
	v_fmac_f32_e32 v10, v32, v7
	s_delay_alu instid0(VALU_DEP_1) | instskip(NEXT) | instid1(VALU_DEP_1)
	v_fmac_f32_e32 v11, v5, v10
	v_div_fmas_f32 v5, v11, v7, v10
	v_dual_fma_f32 v7, v6, v1, v0 :: v_dual_fma_f32 v0, -v6, v0, v1
	s_delay_alu instid0(VALU_DEP_2) | instskip(NEXT) | instid1(VALU_DEP_1)
	v_div_fixup_f32 v4, v5, v4, 1.0
	v_dual_mul_f32 v10, v7, v4 :: v_dual_mul_f32 v11, v0, v4
.LBB137_36:                             ;   in Loop: Header=BB137_3 Depth=1
	ds_load_2addr_b64 v[32:35], v15 offset0:3 offset1:7
	ds_load_2addr_b64 v[4:7], v15 offset0:11 offset1:15
	v_dual_mov_b32 v0, v25 :: v_dual_mov_b32 v36, v9
	s_mov_b32 s3, -1
	ds_store_b64 v26, v[10:11] offset:64
	s_wait_dscnt 0x2
	v_pk_mul_f32 v[0:1], v[0:1], v[32:33] op_sel:[0,1] op_sel_hi:[0,0]
	v_pk_mul_f32 v[36:37], v[36:37], v[34:35] op_sel:[0,1] op_sel_hi:[0,0]
	s_delay_alu instid0(VALU_DEP_2) | instskip(SKIP_2) | instid1(VALU_DEP_4)
	v_pk_fma_f32 v[38:39], v[24:25], v[32:33], v[0:1] op_sel_hi:[0,1,1]
	v_mov_b32_e32 v38, v11
	v_pk_fma_f32 v[0:1], v[24:25], v[32:33], v[0:1] neg_lo:[0,0,1] neg_hi:[0,0,1]
	v_pk_fma_f32 v[24:25], v[8:9], v[34:35], v[36:37] op_sel_hi:[0,1,1]
	v_pk_fma_f32 v[8:9], v[8:9], v[34:35], v[36:37] neg_lo:[0,0,1] neg_hi:[0,0,1]
	v_mov_b32_e32 v1, v39
	s_wait_dscnt 0x1
	v_pk_mul_f32 v[32:33], v[38:39], v[4:5] op_sel:[0,1] op_sel_hi:[0,0]
	v_and_b32_e32 v24, 0x7fffffff, v7
	s_delay_alu instid0(VALU_DEP_3) | instskip(NEXT) | instid1(VALU_DEP_3)
	v_pk_add_f32 v[0:1], v[2:3], v[0:1] neg_lo:[0,1] neg_hi:[0,1]
	v_pk_fma_f32 v[2:3], v[10:11], v[4:5], v[32:33] op_sel_hi:[0,1,1]
	v_mov_b32_e32 v9, v25
	v_and_b32_e32 v2, 0x7fffffff, v6
	v_pk_fma_f32 v[4:5], v[10:11], v[4:5], v[32:33] neg_lo:[0,0,1] neg_hi:[0,0,1]
	s_delay_alu instid0(VALU_DEP_4) | instskip(NEXT) | instid1(VALU_DEP_4)
	v_mov_b32_e32 v5, v3
	v_pk_add_f32 v[0:1], v[0:1], v[8:9] neg_lo:[0,1] neg_hi:[0,1]
	s_delay_alu instid0(VALU_DEP_4) | instskip(NEXT) | instid1(VALU_DEP_2)
	v_cmp_ngt_f32_e32 vcc_lo, v2, v24
                                        ; implicit-def: $vgpr2_vgpr3
	v_pk_add_f32 v[0:1], v[0:1], v[4:5] neg_lo:[0,1] neg_hi:[0,1]
	s_cbranch_vccz .LBB137_38
; %bb.37:                               ;   in Loop: Header=BB137_3 Depth=1
	v_div_scale_f32 v2, null, v7, v7, v6
	v_div_scale_f32 v5, vcc_lo, v6, v7, v6
	s_mov_b32 s3, 0
	v_rcp_f32_e32 v3, v2
	v_nop
	v_xor_b32_e32 v2, 0x80000000, v2
	s_delay_alu instid0(TRANS32_DEP_1) | instid1(VALU_DEP_1)
	v_fma_f32 v4, v2, v3, 1.0
	s_delay_alu instid0(VALU_DEP_1) | instskip(NEXT) | instid1(VALU_DEP_1)
	v_fmac_f32_e32 v3, v4, v3
	v_mul_f32_e32 v4, v5, v3
	s_delay_alu instid0(VALU_DEP_1) | instskip(NEXT) | instid1(VALU_DEP_1)
	v_fma_f32 v8, v2, v4, v5
	v_fmac_f32_e32 v4, v8, v3
	s_delay_alu instid0(VALU_DEP_1) | instskip(NEXT) | instid1(VALU_DEP_1)
	v_fmac_f32_e32 v5, v2, v4
	v_div_fmas_f32 v2, v5, v3, v4
	s_delay_alu instid0(VALU_DEP_1) | instskip(NEXT) | instid1(VALU_DEP_1)
	v_div_fixup_f32 v2, v2, v7, v6
	v_fma_f32 v3, v6, v2, v7
	s_delay_alu instid0(VALU_DEP_1) | instskip(NEXT) | instid1(VALU_DEP_1)
	v_div_scale_f32 v4, null, v3, v3, 1.0
	v_rcp_f32_e32 v5, v4
	v_nop
	v_xor_b32_e32 v4, 0x80000000, v4
	s_delay_alu instid0(TRANS32_DEP_1) | instid1(VALU_DEP_1)
	v_fma_f32 v8, v4, v5, 1.0
	s_delay_alu instid0(VALU_DEP_1) | instskip(SKIP_1) | instid1(VALU_DEP_1)
	v_fmac_f32_e32 v5, v8, v5
	v_div_scale_f32 v8, vcc_lo, 1.0, v3, 1.0
	v_mul_f32_e32 v9, v8, v5
	s_delay_alu instid0(VALU_DEP_1) | instskip(NEXT) | instid1(VALU_DEP_1)
	v_fma_f32 v10, v4, v9, v8
	v_fmac_f32_e32 v9, v10, v5
	s_delay_alu instid0(VALU_DEP_1) | instskip(NEXT) | instid1(VALU_DEP_1)
	v_dual_fmac_f32 v8, v4, v9 :: v_dual_mov_b32 v4, v1
	v_div_fmas_f32 v8, v8, v5, v9
	s_delay_alu instid0(VALU_DEP_2) | instskip(NEXT) | instid1(VALU_DEP_2)
	v_pk_fma_f32 v[4:5], v[2:3], v[0:1], v[4:5]
	v_div_fixup_f32 v5, v8, v3, 1.0
	s_delay_alu instid0(VALU_DEP_1) | instskip(NEXT) | instid1(VALU_DEP_1)
	v_dual_fma_f32 v3, v2, v1, -v0 :: v_dual_mov_b32 v2, v5
	v_pk_mul_f32 v[2:3], v[4:5], v[2:3]
.LBB137_38:                             ;   in Loop: Header=BB137_3 Depth=1
	s_and_not1_b32 vcc_lo, exec_lo, s3
	s_cbranch_vccnz .LBB137_40
; %bb.39:                               ;   in Loop: Header=BB137_3 Depth=1
	v_div_scale_f32 v2, null, v6, v6, v7
	v_div_scale_f32 v5, vcc_lo, v7, v6, v7
	s_delay_alu instid0(VALU_DEP_2)
	v_rcp_f32_e32 v3, v2
	v_nop
	v_xor_b32_e32 v2, 0x80000000, v2
	s_delay_alu instid0(TRANS32_DEP_1) | instid1(VALU_DEP_1)
	v_fma_f32 v4, v2, v3, 1.0
	s_delay_alu instid0(VALU_DEP_1) | instskip(NEXT) | instid1(VALU_DEP_1)
	v_fmac_f32_e32 v3, v4, v3
	v_mul_f32_e32 v4, v5, v3
	s_delay_alu instid0(VALU_DEP_1) | instskip(NEXT) | instid1(VALU_DEP_1)
	v_fma_f32 v8, v2, v4, v5
	v_fmac_f32_e32 v4, v8, v3
	s_delay_alu instid0(VALU_DEP_1) | instskip(NEXT) | instid1(VALU_DEP_1)
	v_fmac_f32_e32 v5, v2, v4
	v_div_fmas_f32 v2, v5, v3, v4
	s_delay_alu instid0(VALU_DEP_1) | instskip(NEXT) | instid1(VALU_DEP_1)
	v_div_fixup_f32 v2, v2, v6, v7
	v_fma_f32 v3, v7, v2, v6
	s_delay_alu instid0(VALU_DEP_1) | instskip(SKIP_1) | instid1(VALU_DEP_2)
	v_div_scale_f32 v4, null, v3, v3, 1.0
	v_div_scale_f32 v7, vcc_lo, 1.0, v3, 1.0
	v_rcp_f32_e32 v5, v4
	v_nop
	v_xor_b32_e32 v4, 0x80000000, v4
	s_delay_alu instid0(TRANS32_DEP_1) | instid1(VALU_DEP_1)
	v_fma_f32 v6, v4, v5, 1.0
	s_delay_alu instid0(VALU_DEP_1) | instskip(NEXT) | instid1(VALU_DEP_1)
	v_fmac_f32_e32 v5, v6, v5
	v_mul_f32_e32 v6, v7, v5
	s_delay_alu instid0(VALU_DEP_1) | instskip(NEXT) | instid1(VALU_DEP_1)
	v_fma_f32 v8, v4, v6, v7
	v_fmac_f32_e32 v6, v8, v5
	s_delay_alu instid0(VALU_DEP_1) | instskip(NEXT) | instid1(VALU_DEP_1)
	v_fmac_f32_e32 v7, v4, v6
	v_div_fmas_f32 v6, v7, v5, v6
	v_pk_fma_f32 v[4:5], v[2:3], v[0:1], v[0:1] op_sel:[0,1,0] op_sel_hi:[0,0,1] neg_lo:[1,0,0] neg_hi:[1,0,0]
	v_pk_fma_f32 v[0:1], v[2:3], v[0:1], v[0:1] op_sel:[0,1,0] op_sel_hi:[1,0,1]
	s_delay_alu instid0(VALU_DEP_3) | instskip(NEXT) | instid1(VALU_DEP_3)
	v_div_fixup_f32 v2, v6, v3, 1.0
	v_mov_b32_e32 v1, v5
	s_delay_alu instid0(VALU_DEP_1)
	v_pk_mul_f32 v[2:3], v[0:1], v[2:3] op_sel_hi:[1,0]
.LBB137_40:                             ;   in Loop: Header=BB137_3 Depth=1
	s_mov_b32 s3, 4
	ds_store_b64 v26, v[2:3] offset:96
.LBB137_41:                             ;   in Loop: Header=BB137_3 Depth=1
	s_cmp_ge_i32 s3, s36
	s_cbranch_scc1 .LBB137_50
; %bb.42:                               ;   in Loop: Header=BB137_3 Depth=1
	s_lshl_b32 s18, s3, 3
	s_branch .LBB137_44
.LBB137_43:                             ;   in Loop: Header=BB137_44 Depth=2
	s_add_co_i32 s3, s3, 1
	s_add_co_i32 s18, s18, 8
	s_cmp_ge_i32 s3, s36
	ds_store_b64 v6, v[4:5]
	s_cbranch_scc1 .LBB137_50
.LBB137_44:                             ;   Parent Loop BB137_3 Depth=1
                                        ; =>  This Loop Header: Depth=2
                                        ;       Child Loop BB137_45 Depth 3
	s_lshl_b32 s30, s3, 5
	s_cmp_eq_u32 s3, 0
	v_dual_add_nc_u32 v6, s30, v26 :: v_dual_mov_b32 v2, v26
	s_mov_b32 s31, s18
	s_mov_b32 s34, s3
	ds_load_b64 v[0:1], v6
	s_cbranch_scc1 .LBB137_46
.LBB137_45:                             ;   Parent Loop BB137_3 Depth=1
                                        ;     Parent Loop BB137_44 Depth=2
                                        ; =>    This Inner Loop Header: Depth=3
	v_mov_b32_e32 v3, s31
	s_add_co_i32 s34, s34, -1
	s_add_co_i32 s31, s31, 32
	s_cmp_eq_u32 s34, 0
	ds_load_b64 v[4:5], v2
	ds_load_b64 v[8:9], v3
	v_add_nc_u32_e32 v2, 32, v2
	s_wait_dscnt 0x0
	v_pk_mul_f32 v[10:11], v[8:9], v[4:5] op_sel:[1,1] op_sel_hi:[0,1]
	s_delay_alu instid0(VALU_DEP_1) | instskip(SKIP_1) | instid1(VALU_DEP_2)
	v_pk_fma_f32 v[24:25], v[8:9], v[4:5], v[10:11] op_sel_hi:[1,0,1]
	v_pk_fma_f32 v[4:5], v[8:9], v[4:5], v[10:11] op_sel_hi:[1,0,1] neg_lo:[0,0,1] neg_hi:[0,0,1]
	v_mov_b32_e32 v5, v25
	s_delay_alu instid0(VALU_DEP_1)
	v_pk_add_f32 v[0:1], v[0:1], v[4:5] neg_lo:[0,1] neg_hi:[0,1]
	s_cbranch_scc0 .LBB137_45
.LBB137_46:                             ;   in Loop: Header=BB137_44 Depth=2
	s_lshl_b32 s31, s3, 3
	s_delay_alu instid0(SALU_CYCLE_1) | instskip(NEXT) | instid1(SALU_CYCLE_1)
	s_add_co_i32 s30, s31, s30
	v_mov_b32_e32 v2, s30
	s_mov_b32 s30, -1
	ds_load_b64 v[2:3], v2
	s_wait_dscnt 0x0
	v_and_b32_e32 v4, 0x7fffffff, v2
	v_and_b32_e32 v5, 0x7fffffff, v3
	s_delay_alu instid0(VALU_DEP_1)
	v_cmp_ngt_f32_e32 vcc_lo, v4, v5
                                        ; implicit-def: $vgpr4_vgpr5
	s_cbranch_vccz .LBB137_48
; %bb.47:                               ;   in Loop: Header=BB137_44 Depth=2
	v_div_scale_f32 v4, null, v3, v3, v2
	v_div_scale_f32 v8, vcc_lo, v2, v3, v2
	s_mov_b32 s30, 0
	v_rcp_f32_e32 v5, v4
	v_nop
	v_xor_b32_e32 v4, 0x80000000, v4
	s_delay_alu instid0(TRANS32_DEP_1) | instid1(VALU_DEP_1)
	v_fma_f32 v7, v4, v5, 1.0
	s_delay_alu instid0(VALU_DEP_1) | instskip(NEXT) | instid1(VALU_DEP_1)
	v_fmac_f32_e32 v5, v7, v5
	v_mul_f32_e32 v7, v8, v5
	s_delay_alu instid0(VALU_DEP_1) | instskip(NEXT) | instid1(VALU_DEP_1)
	v_fma_f32 v9, v4, v7, v8
	v_fmac_f32_e32 v7, v9, v5
	s_delay_alu instid0(VALU_DEP_1) | instskip(NEXT) | instid1(VALU_DEP_1)
	v_fmac_f32_e32 v8, v4, v7
	v_div_fmas_f32 v4, v8, v5, v7
	s_delay_alu instid0(VALU_DEP_1) | instskip(NEXT) | instid1(VALU_DEP_1)
	v_div_fixup_f32 v4, v4, v3, v2
	v_fma_f32 v7, v2, v4, v3
	s_delay_alu instid0(VALU_DEP_1) | instskip(SKIP_1) | instid1(VALU_DEP_2)
	v_div_scale_f32 v5, null, v7, v7, 1.0
	v_div_scale_f32 v10, vcc_lo, 1.0, v7, 1.0
	v_rcp_f32_e32 v8, v5
	v_nop
	v_xor_b32_e32 v5, 0x80000000, v5
	s_delay_alu instid0(TRANS32_DEP_1) | instid1(VALU_DEP_1)
	v_fma_f32 v9, v5, v8, 1.0
	s_delay_alu instid0(VALU_DEP_1) | instskip(NEXT) | instid1(VALU_DEP_1)
	v_fmac_f32_e32 v8, v9, v8
	v_mul_f32_e32 v9, v10, v8
	s_delay_alu instid0(VALU_DEP_1) | instskip(NEXT) | instid1(VALU_DEP_1)
	v_fma_f32 v11, v5, v9, v10
	v_fmac_f32_e32 v9, v11, v8
	s_delay_alu instid0(VALU_DEP_1) | instskip(NEXT) | instid1(VALU_DEP_1)
	v_fmac_f32_e32 v10, v5, v9
	v_div_fmas_f32 v10, v10, v8, v9
	v_pk_fma_f32 v[8:9], v[0:1], v[4:5], v[0:1] op_sel:[0,0,1] op_sel_hi:[1,0,0] neg_lo:[0,0,1] neg_hi:[0,0,1]
	v_pk_fma_f32 v[4:5], v[0:1], v[4:5], v[0:1] op_sel:[0,0,1] op_sel_hi:[1,0,0]
	s_delay_alu instid0(VALU_DEP_3) | instskip(NEXT) | instid1(VALU_DEP_3)
	v_div_fixup_f32 v8, v10, v7, 1.0
	v_mov_b32_e32 v5, v9
	s_delay_alu instid0(VALU_DEP_1)
	v_pk_mul_f32 v[4:5], v[4:5], v[8:9] op_sel_hi:[1,0]
.LBB137_48:                             ;   in Loop: Header=BB137_44 Depth=2
	s_and_not1_b32 vcc_lo, exec_lo, s30
	s_cbranch_vccnz .LBB137_43
; %bb.49:                               ;   in Loop: Header=BB137_44 Depth=2
	v_div_scale_f32 v4, null, v2, v2, v3
	v_div_scale_f32 v8, vcc_lo, v3, v2, v3
	s_delay_alu instid0(VALU_DEP_2)
	v_rcp_f32_e32 v5, v4
	v_nop
	v_xor_b32_e32 v4, 0x80000000, v4
	s_delay_alu instid0(TRANS32_DEP_1) | instid1(VALU_DEP_1)
	v_fma_f32 v7, v4, v5, 1.0
	s_delay_alu instid0(VALU_DEP_1) | instskip(NEXT) | instid1(VALU_DEP_1)
	v_fmac_f32_e32 v5, v7, v5
	v_mul_f32_e32 v7, v8, v5
	s_delay_alu instid0(VALU_DEP_1) | instskip(NEXT) | instid1(VALU_DEP_1)
	v_fma_f32 v9, v4, v7, v8
	v_fmac_f32_e32 v7, v9, v5
	s_delay_alu instid0(VALU_DEP_1) | instskip(NEXT) | instid1(VALU_DEP_1)
	v_fmac_f32_e32 v8, v4, v7
	v_div_fmas_f32 v4, v8, v5, v7
	s_delay_alu instid0(VALU_DEP_1) | instskip(NEXT) | instid1(VALU_DEP_1)
	v_div_fixup_f32 v4, v4, v2, v3
	v_fmac_f32_e32 v2, v3, v4
	s_delay_alu instid0(VALU_DEP_1) | instskip(SKIP_1) | instid1(VALU_DEP_2)
	v_div_scale_f32 v3, null, v2, v2, 1.0
	v_div_scale_f32 v8, vcc_lo, 1.0, v2, 1.0
	v_rcp_f32_e32 v5, v3
	v_nop
	v_xor_b32_e32 v3, 0x80000000, v3
	s_delay_alu instid0(TRANS32_DEP_1) | instid1(VALU_DEP_1)
	v_fma_f32 v7, v3, v5, 1.0
	s_delay_alu instid0(VALU_DEP_1) | instskip(NEXT) | instid1(VALU_DEP_1)
	v_fmac_f32_e32 v5, v7, v5
	v_mul_f32_e32 v7, v8, v5
	s_delay_alu instid0(VALU_DEP_1) | instskip(NEXT) | instid1(VALU_DEP_1)
	v_fma_f32 v9, v3, v7, v8
	v_fmac_f32_e32 v7, v9, v5
	s_delay_alu instid0(VALU_DEP_1) | instskip(NEXT) | instid1(VALU_DEP_1)
	v_fmac_f32_e32 v8, v3, v7
	v_div_fmas_f32 v3, v8, v5, v7
	v_pk_fma_f32 v[8:9], v[0:1], v[4:5], v[0:1] op_sel:[1,0,0] op_sel_hi:[0,0,1] neg_lo:[1,0,0] neg_hi:[1,0,0]
	v_pk_fma_f32 v[0:1], v[0:1], v[4:5], v[0:1] op_sel:[1,0,0] op_sel_hi:[0,0,1]
	s_delay_alu instid0(VALU_DEP_3) | instskip(NEXT) | instid1(VALU_DEP_3)
	v_div_fixup_f32 v2, v3, v2, 1.0
	v_mov_b32_e32 v1, v9
	s_delay_alu instid0(VALU_DEP_1)
	v_pk_mul_f32 v[4:5], v[0:1], v[2:3] op_sel_hi:[1,0]
	s_branch .LBB137_43
.LBB137_50:                             ;   in Loop: Header=BB137_3 Depth=1
	s_mov_b32 s3, 0
.LBB137_51:                             ;   in Loop: Header=BB137_3 Depth=1
	s_delay_alu instid0(SALU_CYCLE_1)
	s_and_b32 vcc_lo, exec_lo, s3
	s_cbranch_vccz .LBB137_79
; %bb.52:                               ;   in Loop: Header=BB137_3 Depth=1
	s_and_b32 vcc_lo, exec_lo, s43
	s_mov_b32 s3, s37
	s_cbranch_vccz .LBB137_70
; %bb.53:                               ;   in Loop: Header=BB137_3 Depth=1
	v_mov_b32_e32 v0, s39
	s_mov_b32 s3, -1
	ds_load_b64 v[10:11], v0
	ds_load_b64 v[8:9], v27
	ds_load_b64 v[6:7], v28
	ds_load_b64 v[4:5], v29
	ds_load_b64 v[0:1], v30
	s_wait_dscnt 0x4
	v_and_b32_e32 v2, 0x7fffffff, v10
	v_and_b32_e32 v3, 0x7fffffff, v11
	s_delay_alu instid0(VALU_DEP_1)
	v_cmp_ngt_f32_e32 vcc_lo, v2, v3
                                        ; implicit-def: $vgpr3
	s_cbranch_vccz .LBB137_55
; %bb.54:                               ;   in Loop: Header=BB137_3 Depth=1
	v_div_scale_f32 v2, null, v11, v11, v10
	v_div_scale_f32 v25, vcc_lo, v10, v11, v10
	s_mov_b32 s3, 0
	v_rcp_f32_e32 v3, v2
	v_nop
	v_xor_b32_e32 v2, 0x80000000, v2
	s_delay_alu instid0(TRANS32_DEP_1) | instid1(VALU_DEP_1)
	v_fma_f32 v24, v2, v3, 1.0
	s_delay_alu instid0(VALU_DEP_1) | instskip(NEXT) | instid1(VALU_DEP_1)
	v_fmac_f32_e32 v3, v24, v3
	v_mul_f32_e32 v24, v25, v3
	s_delay_alu instid0(VALU_DEP_1) | instskip(NEXT) | instid1(VALU_DEP_1)
	v_fma_f32 v32, v2, v24, v25
	v_fmac_f32_e32 v24, v32, v3
	s_delay_alu instid0(VALU_DEP_1) | instskip(NEXT) | instid1(VALU_DEP_1)
	v_fmac_f32_e32 v25, v2, v24
	v_div_fmas_f32 v2, v25, v3, v24
	s_delay_alu instid0(VALU_DEP_1) | instskip(NEXT) | instid1(VALU_DEP_1)
	v_div_fixup_f32 v2, v2, v11, v10
	v_fma_f32 v3, v10, v2, v11
	s_delay_alu instid0(VALU_DEP_1) | instskip(SKIP_1) | instid1(VALU_DEP_2)
	v_div_scale_f32 v24, null, v3, v3, 1.0
	v_div_scale_f32 v33, vcc_lo, 1.0, v3, 1.0
	v_rcp_f32_e32 v25, v24
	v_nop
	v_xor_b32_e32 v24, 0x80000000, v24
	s_delay_alu instid0(TRANS32_DEP_1) | instid1(VALU_DEP_1)
	v_fma_f32 v32, v24, v25, 1.0
	s_delay_alu instid0(VALU_DEP_1) | instskip(NEXT) | instid1(VALU_DEP_1)
	v_fmac_f32_e32 v25, v32, v25
	v_mul_f32_e32 v32, v33, v25
	s_delay_alu instid0(VALU_DEP_1) | instskip(NEXT) | instid1(VALU_DEP_1)
	v_fma_f32 v34, v24, v32, v33
	v_fmac_f32_e32 v32, v34, v25
	s_delay_alu instid0(VALU_DEP_1) | instskip(NEXT) | instid1(VALU_DEP_1)
	v_fmac_f32_e32 v33, v24, v32
	v_div_fmas_f32 v24, v33, v25, v32
	s_wait_dscnt 0x3
	v_fma_f32 v25, v8, v2, v9
	s_delay_alu instid0(VALU_DEP_2) | instskip(SKIP_1) | instid1(VALU_DEP_1)
	v_div_fixup_f32 v3, v24, v3, 1.0
	v_fma_f32 v24, v9, v2, -v8
	v_dual_mul_f32 v2, v25, v3 :: v_dual_mul_f32 v3, v24, v3
.LBB137_55:                             ;   in Loop: Header=BB137_3 Depth=1
	s_and_not1_b32 vcc_lo, exec_lo, s3
	s_cbranch_vccnz .LBB137_57
; %bb.56:                               ;   in Loop: Header=BB137_3 Depth=1
	v_div_scale_f32 v2, null, v10, v10, v11
	v_div_scale_f32 v25, vcc_lo, v11, v10, v11
	s_delay_alu instid0(VALU_DEP_2)
	v_rcp_f32_e32 v3, v2
	v_nop
	v_xor_b32_e32 v2, 0x80000000, v2
	s_delay_alu instid0(TRANS32_DEP_1) | instid1(VALU_DEP_1)
	v_fma_f32 v24, v2, v3, 1.0
	s_delay_alu instid0(VALU_DEP_1) | instskip(NEXT) | instid1(VALU_DEP_1)
	v_fmac_f32_e32 v3, v24, v3
	v_mul_f32_e32 v24, v25, v3
	s_delay_alu instid0(VALU_DEP_1) | instskip(NEXT) | instid1(VALU_DEP_1)
	v_fma_f32 v32, v2, v24, v25
	v_fmac_f32_e32 v24, v32, v3
	s_delay_alu instid0(VALU_DEP_1) | instskip(NEXT) | instid1(VALU_DEP_1)
	v_fmac_f32_e32 v25, v2, v24
	v_div_fmas_f32 v2, v25, v3, v24
	s_delay_alu instid0(VALU_DEP_1) | instskip(NEXT) | instid1(VALU_DEP_1)
	v_div_fixup_f32 v2, v2, v10, v11
	v_fmac_f32_e32 v10, v11, v2
	s_delay_alu instid0(VALU_DEP_1) | instskip(SKIP_1) | instid1(VALU_DEP_2)
	v_div_scale_f32 v3, null, v10, v10, 1.0
	v_div_scale_f32 v25, vcc_lo, 1.0, v10, 1.0
	v_rcp_f32_e32 v11, v3
	v_nop
	v_xor_b32_e32 v3, 0x80000000, v3
	s_delay_alu instid0(TRANS32_DEP_1) | instid1(VALU_DEP_1)
	v_fma_f32 v24, v3, v11, 1.0
	s_delay_alu instid0(VALU_DEP_1) | instskip(NEXT) | instid1(VALU_DEP_1)
	v_fmac_f32_e32 v11, v24, v11
	v_mul_f32_e32 v24, v25, v11
	s_delay_alu instid0(VALU_DEP_1) | instskip(NEXT) | instid1(VALU_DEP_1)
	v_fma_f32 v32, v3, v24, v25
	v_fmac_f32_e32 v24, v32, v11
	s_delay_alu instid0(VALU_DEP_1) | instskip(NEXT) | instid1(VALU_DEP_1)
	v_fmac_f32_e32 v25, v3, v24
	v_div_fmas_f32 v3, v25, v11, v24
	s_delay_alu instid0(VALU_DEP_1) | instskip(SKIP_2) | instid1(VALU_DEP_1)
	v_div_fixup_f32 v3, v3, v10, 1.0
	s_wait_dscnt 0x3
	v_dual_fma_f32 v11, v9, v2, v8 :: v_dual_fma_f32 v8, -v8, v2, v9
	v_dual_mul_f32 v2, v11, v3 :: v_dual_mul_f32 v3, v8, v3
.LBB137_57:                             ;   in Loop: Header=BB137_3 Depth=1
	s_wait_dscnt 0x3
	v_dual_mov_b32 v8, s50 :: v_dual_mov_b32 v9, s52
	s_mov_b32 s3, -1
	ds_load_b64 v[10:11], v8
	ds_load_b64 v[8:9], v9
	ds_store_b64 v27, v[2:3]
	s_wait_dscnt 0x2
	v_dual_mul_f32 v24, v3, v11 :: v_dual_mul_f32 v11, v2, v11
	s_wait_dscnt 0x1
	v_and_b32_e32 v25, 0x7fffffff, v8
	v_and_b32_e32 v32, 0x7fffffff, v9
	s_delay_alu instid0(VALU_DEP_3) | instskip(NEXT) | instid1(VALU_DEP_2)
	v_dual_fma_f32 v24, v2, v10, -v24 :: v_dual_fmac_f32 v11, v3, v10
	v_cmp_ngt_f32_e32 vcc_lo, v25, v32
	s_delay_alu instid0(VALU_DEP_2)
	v_dual_sub_f32 v10, v6, v24 :: v_dual_sub_f32 v11, v7, v11
                                        ; implicit-def: $vgpr7
	s_cbranch_vccz .LBB137_59
; %bb.58:                               ;   in Loop: Header=BB137_3 Depth=1
	v_div_scale_f32 v6, null, v9, v9, v8
	v_div_scale_f32 v25, vcc_lo, v8, v9, v8
	s_mov_b32 s3, 0
	v_rcp_f32_e32 v7, v6
	v_nop
	v_xor_b32_e32 v6, 0x80000000, v6
	s_delay_alu instid0(TRANS32_DEP_1) | instid1(VALU_DEP_1)
	v_fma_f32 v24, v6, v7, 1.0
	s_delay_alu instid0(VALU_DEP_1) | instskip(NEXT) | instid1(VALU_DEP_1)
	v_fmac_f32_e32 v7, v24, v7
	v_mul_f32_e32 v24, v25, v7
	s_delay_alu instid0(VALU_DEP_1) | instskip(NEXT) | instid1(VALU_DEP_1)
	v_fma_f32 v32, v6, v24, v25
	v_fmac_f32_e32 v24, v32, v7
	s_delay_alu instid0(VALU_DEP_1) | instskip(NEXT) | instid1(VALU_DEP_1)
	v_fmac_f32_e32 v25, v6, v24
	v_div_fmas_f32 v6, v25, v7, v24
	s_delay_alu instid0(VALU_DEP_1) | instskip(NEXT) | instid1(VALU_DEP_1)
	v_div_fixup_f32 v6, v6, v9, v8
	v_fma_f32 v7, v8, v6, v9
	s_delay_alu instid0(VALU_DEP_1) | instskip(SKIP_1) | instid1(VALU_DEP_2)
	v_div_scale_f32 v24, null, v7, v7, 1.0
	v_div_scale_f32 v33, vcc_lo, 1.0, v7, 1.0
	v_rcp_f32_e32 v25, v24
	v_nop
	v_xor_b32_e32 v24, 0x80000000, v24
	s_delay_alu instid0(TRANS32_DEP_1) | instid1(VALU_DEP_1)
	v_fma_f32 v32, v24, v25, 1.0
	s_delay_alu instid0(VALU_DEP_1) | instskip(NEXT) | instid1(VALU_DEP_1)
	v_fmac_f32_e32 v25, v32, v25
	v_mul_f32_e32 v32, v33, v25
	s_delay_alu instid0(VALU_DEP_1) | instskip(NEXT) | instid1(VALU_DEP_1)
	v_fma_f32 v34, v24, v32, v33
	v_fmac_f32_e32 v32, v34, v25
	s_delay_alu instid0(VALU_DEP_1) | instskip(NEXT) | instid1(VALU_DEP_1)
	v_fmac_f32_e32 v33, v24, v32
	v_div_fmas_f32 v24, v33, v25, v32
	v_fma_f32 v25, v6, v10, v11
	s_delay_alu instid0(VALU_DEP_2) | instskip(SKIP_1) | instid1(VALU_DEP_1)
	v_div_fixup_f32 v7, v24, v7, 1.0
	v_fma_f32 v24, v6, v11, -v10
	v_dual_mul_f32 v6, v25, v7 :: v_dual_mul_f32 v7, v24, v7
.LBB137_59:                             ;   in Loop: Header=BB137_3 Depth=1
	s_and_not1_b32 vcc_lo, exec_lo, s3
	s_cbranch_vccnz .LBB137_61
; %bb.60:                               ;   in Loop: Header=BB137_3 Depth=1
	v_div_scale_f32 v6, null, v8, v8, v9
	v_div_scale_f32 v25, vcc_lo, v9, v8, v9
	s_delay_alu instid0(VALU_DEP_2)
	v_rcp_f32_e32 v7, v6
	v_nop
	v_xor_b32_e32 v6, 0x80000000, v6
	s_delay_alu instid0(TRANS32_DEP_1) | instid1(VALU_DEP_1)
	v_fma_f32 v24, v6, v7, 1.0
	s_delay_alu instid0(VALU_DEP_1) | instskip(NEXT) | instid1(VALU_DEP_1)
	v_fmac_f32_e32 v7, v24, v7
	v_mul_f32_e32 v24, v25, v7
	s_delay_alu instid0(VALU_DEP_1) | instskip(NEXT) | instid1(VALU_DEP_1)
	v_fma_f32 v32, v6, v24, v25
	v_fmac_f32_e32 v24, v32, v7
	s_delay_alu instid0(VALU_DEP_1) | instskip(NEXT) | instid1(VALU_DEP_1)
	v_fmac_f32_e32 v25, v6, v24
	v_div_fmas_f32 v6, v25, v7, v24
	s_delay_alu instid0(VALU_DEP_1) | instskip(NEXT) | instid1(VALU_DEP_1)
	v_div_fixup_f32 v6, v6, v8, v9
	v_fmac_f32_e32 v8, v9, v6
	s_delay_alu instid0(VALU_DEP_1) | instskip(SKIP_1) | instid1(VALU_DEP_2)
	v_div_scale_f32 v7, null, v8, v8, 1.0
	v_div_scale_f32 v25, vcc_lo, 1.0, v8, 1.0
	v_rcp_f32_e32 v9, v7
	v_nop
	v_xor_b32_e32 v7, 0x80000000, v7
	s_delay_alu instid0(TRANS32_DEP_1) | instid1(VALU_DEP_1)
	v_fma_f32 v24, v7, v9, 1.0
	s_delay_alu instid0(VALU_DEP_1) | instskip(NEXT) | instid1(VALU_DEP_1)
	v_fmac_f32_e32 v9, v24, v9
	v_mul_f32_e32 v24, v25, v9
	s_delay_alu instid0(VALU_DEP_1) | instskip(NEXT) | instid1(VALU_DEP_1)
	v_fma_f32 v32, v7, v24, v25
	v_fmac_f32_e32 v24, v32, v9
	s_delay_alu instid0(VALU_DEP_1) | instskip(NEXT) | instid1(VALU_DEP_1)
	v_fmac_f32_e32 v25, v7, v24
	v_div_fmas_f32 v7, v25, v9, v24
	v_fma_f32 v9, v6, v11, v10
	s_delay_alu instid0(VALU_DEP_2) | instskip(NEXT) | instid1(VALU_DEP_1)
	v_div_fixup_f32 v7, v7, v8, 1.0
	v_dual_fma_f32 v8, -v6, v10, v11 :: v_dual_mul_f32 v6, v9, v7
	s_delay_alu instid0(VALU_DEP_1)
	v_mul_f32_e32 v7, v8, v7
.LBB137_61:                             ;   in Loop: Header=BB137_3 Depth=1
	v_dual_mov_b32 v8, s53 :: v_dual_mov_b32 v9, s54
	v_mov_b32_e32 v32, s56
	s_mov_b32 s3, -1
	ds_load_b64 v[10:11], v8
	ds_load_b64 v[24:25], v9
	;; [unrolled: 1-line block ×3, first 2 shown]
	ds_store_b64 v28, v[6:7]
	s_wait_dscnt 0x3
	v_dual_mul_f32 v32, v3, v11 :: v_dual_mul_f32 v11, v2, v11
	s_wait_dscnt 0x2
	v_dual_mul_f32 v33, v7, v25 :: v_dual_mul_f32 v25, v6, v25
	s_wait_dscnt 0x1
	v_and_b32_e32 v34, 0x7fffffff, v8
	v_dual_fma_f32 v32, v2, v10, -v32 :: v_dual_fmac_f32 v11, v3, v10
	s_delay_alu instid0(VALU_DEP_3) | instskip(SKIP_1) | instid1(VALU_DEP_3)
	v_fma_f32 v33, v6, v24, -v33
	v_and_b32_e32 v10, 0x7fffffff, v9
	v_dual_fmac_f32 v25, v7, v24 :: v_dual_sub_f32 v5, v5, v11
	s_delay_alu instid0(VALU_DEP_4) | instskip(NEXT) | instid1(VALU_DEP_3)
	v_sub_f32_e32 v4, v4, v32
	v_cmp_ngt_f32_e32 vcc_lo, v34, v10
                                        ; implicit-def: $vgpr11
	s_delay_alu instid0(VALU_DEP_3) | instskip(NEXT) | instid1(VALU_DEP_3)
	v_sub_f32_e32 v5, v5, v25
	v_sub_f32_e32 v4, v4, v33
	s_cbranch_vccz .LBB137_63
; %bb.62:                               ;   in Loop: Header=BB137_3 Depth=1
	v_div_scale_f32 v10, null, v9, v9, v8
	v_div_scale_f32 v25, vcc_lo, v8, v9, v8
	s_mov_b32 s3, 0
	v_rcp_f32_e32 v11, v10
	v_nop
	v_xor_b32_e32 v10, 0x80000000, v10
	s_delay_alu instid0(TRANS32_DEP_1) | instid1(VALU_DEP_1)
	v_fma_f32 v24, v10, v11, 1.0
	s_delay_alu instid0(VALU_DEP_1) | instskip(NEXT) | instid1(VALU_DEP_1)
	v_fmac_f32_e32 v11, v24, v11
	v_mul_f32_e32 v24, v25, v11
	s_delay_alu instid0(VALU_DEP_1) | instskip(NEXT) | instid1(VALU_DEP_1)
	v_fma_f32 v32, v10, v24, v25
	v_fmac_f32_e32 v24, v32, v11
	s_delay_alu instid0(VALU_DEP_1) | instskip(NEXT) | instid1(VALU_DEP_1)
	v_fmac_f32_e32 v25, v10, v24
	v_div_fmas_f32 v10, v25, v11, v24
	s_delay_alu instid0(VALU_DEP_1) | instskip(NEXT) | instid1(VALU_DEP_1)
	v_div_fixup_f32 v10, v10, v9, v8
	v_fma_f32 v11, v8, v10, v9
	s_delay_alu instid0(VALU_DEP_1) | instskip(SKIP_1) | instid1(VALU_DEP_2)
	v_div_scale_f32 v24, null, v11, v11, 1.0
	v_div_scale_f32 v33, vcc_lo, 1.0, v11, 1.0
	v_rcp_f32_e32 v25, v24
	v_nop
	v_xor_b32_e32 v24, 0x80000000, v24
	s_delay_alu instid0(TRANS32_DEP_1) | instid1(VALU_DEP_1)
	v_fma_f32 v32, v24, v25, 1.0
	s_delay_alu instid0(VALU_DEP_1) | instskip(NEXT) | instid1(VALU_DEP_1)
	v_fmac_f32_e32 v25, v32, v25
	v_mul_f32_e32 v32, v33, v25
	s_delay_alu instid0(VALU_DEP_1) | instskip(NEXT) | instid1(VALU_DEP_1)
	v_fma_f32 v34, v24, v32, v33
	v_fmac_f32_e32 v32, v34, v25
	s_delay_alu instid0(VALU_DEP_1) | instskip(NEXT) | instid1(VALU_DEP_1)
	v_fmac_f32_e32 v33, v24, v32
	v_div_fmas_f32 v24, v33, v25, v32
	v_fma_f32 v25, v10, v4, v5
	s_delay_alu instid0(VALU_DEP_2) | instskip(NEXT) | instid1(VALU_DEP_1)
	v_div_fixup_f32 v11, v24, v11, 1.0
	v_dual_fma_f32 v24, v10, v5, -v4 :: v_dual_mul_f32 v10, v25, v11
	s_delay_alu instid0(VALU_DEP_1)
	v_mul_f32_e32 v11, v24, v11
.LBB137_63:                             ;   in Loop: Header=BB137_3 Depth=1
	s_and_not1_b32 vcc_lo, exec_lo, s3
	s_cbranch_vccnz .LBB137_65
; %bb.64:                               ;   in Loop: Header=BB137_3 Depth=1
	v_div_scale_f32 v10, null, v8, v8, v9
	v_div_scale_f32 v25, vcc_lo, v9, v8, v9
	s_delay_alu instid0(VALU_DEP_2)
	v_rcp_f32_e32 v11, v10
	v_nop
	v_xor_b32_e32 v10, 0x80000000, v10
	s_delay_alu instid0(TRANS32_DEP_1) | instid1(VALU_DEP_1)
	v_fma_f32 v24, v10, v11, 1.0
	s_delay_alu instid0(VALU_DEP_1) | instskip(NEXT) | instid1(VALU_DEP_1)
	v_fmac_f32_e32 v11, v24, v11
	v_mul_f32_e32 v24, v25, v11
	s_delay_alu instid0(VALU_DEP_1) | instskip(NEXT) | instid1(VALU_DEP_1)
	v_fma_f32 v32, v10, v24, v25
	v_fmac_f32_e32 v24, v32, v11
	s_delay_alu instid0(VALU_DEP_1) | instskip(NEXT) | instid1(VALU_DEP_1)
	v_fmac_f32_e32 v25, v10, v24
	v_div_fmas_f32 v10, v25, v11, v24
	s_delay_alu instid0(VALU_DEP_1) | instskip(NEXT) | instid1(VALU_DEP_1)
	v_div_fixup_f32 v10, v10, v8, v9
	v_fmac_f32_e32 v8, v9, v10
	s_delay_alu instid0(VALU_DEP_1) | instskip(SKIP_1) | instid1(VALU_DEP_2)
	v_div_scale_f32 v9, null, v8, v8, 1.0
	v_div_scale_f32 v25, vcc_lo, 1.0, v8, 1.0
	v_rcp_f32_e32 v11, v9
	v_nop
	v_xor_b32_e32 v9, 0x80000000, v9
	s_delay_alu instid0(TRANS32_DEP_1) | instid1(VALU_DEP_1)
	v_fma_f32 v24, v9, v11, 1.0
	s_delay_alu instid0(VALU_DEP_1) | instskip(NEXT) | instid1(VALU_DEP_1)
	v_fmac_f32_e32 v11, v24, v11
	v_mul_f32_e32 v24, v25, v11
	s_delay_alu instid0(VALU_DEP_1) | instskip(NEXT) | instid1(VALU_DEP_1)
	v_fma_f32 v32, v9, v24, v25
	v_fmac_f32_e32 v24, v32, v11
	s_delay_alu instid0(VALU_DEP_1) | instskip(NEXT) | instid1(VALU_DEP_1)
	v_fmac_f32_e32 v25, v9, v24
	v_div_fmas_f32 v9, v25, v11, v24
	v_dual_fma_f32 v11, v10, v5, v4 :: v_dual_fma_f32 v4, -v10, v4, v5
	s_delay_alu instid0(VALU_DEP_2) | instskip(NEXT) | instid1(VALU_DEP_1)
	v_div_fixup_f32 v8, v9, v8, 1.0
	v_dual_mul_f32 v10, v11, v8 :: v_dual_mul_f32 v11, v4, v8
.LBB137_65:                             ;   in Loop: Header=BB137_3 Depth=1
	v_dual_mov_b32 v4, s55 :: v_dual_mov_b32 v5, s57
	s_mov_b32 s3, -1
	ds_load_b64 v[8:9], v4
	ds_load_b64 v[24:25], v5
	v_dual_mov_b32 v4, s58 :: v_dual_mov_b32 v34, v3
	ds_store_b64 v29, v[10:11]
	v_mov_b32_e32 v36, v7
	ds_load_b64 v[32:33], v4
	v_mov_b32_e32 v4, s59
	ds_load_b64 v[4:5], v4
	s_wait_dscnt 0x4
	v_pk_mul_f32 v[34:35], v[34:35], v[8:9] op_sel:[0,1] op_sel_hi:[0,0]
	s_wait_dscnt 0x3
	v_pk_mul_f32 v[36:37], v[36:37], v[24:25] op_sel:[0,1] op_sel_hi:[0,0]
	s_delay_alu instid0(VALU_DEP_2) | instskip(SKIP_2) | instid1(VALU_DEP_4)
	v_pk_fma_f32 v[38:39], v[2:3], v[8:9], v[34:35] op_sel_hi:[0,1,1]
	v_mov_b32_e32 v38, v11
	v_pk_fma_f32 v[2:3], v[2:3], v[8:9], v[34:35] neg_lo:[0,0,1] neg_hi:[0,0,1]
	v_pk_fma_f32 v[8:9], v[6:7], v[24:25], v[36:37] op_sel_hi:[0,1,1]
	v_pk_fma_f32 v[6:7], v[6:7], v[24:25], v[36:37] neg_lo:[0,0,1] neg_hi:[0,0,1]
	v_mov_b32_e32 v3, v39
	s_wait_dscnt 0x1
	v_pk_mul_f32 v[34:35], v[38:39], v[32:33] op_sel:[0,1] op_sel_hi:[0,0]
	s_wait_dscnt 0x0
	v_and_b32_e32 v24, 0x7fffffff, v5
	v_pk_add_f32 v[0:1], v[0:1], v[2:3] neg_lo:[0,1] neg_hi:[0,1]
	s_delay_alu instid0(VALU_DEP_3) | instskip(SKIP_3) | instid1(VALU_DEP_4)
	v_pk_fma_f32 v[2:3], v[10:11], v[32:33], v[34:35] op_sel_hi:[0,1,1]
	v_mov_b32_e32 v7, v9
	v_and_b32_e32 v2, 0x7fffffff, v4
	v_pk_fma_f32 v[8:9], v[10:11], v[32:33], v[34:35] neg_lo:[0,0,1] neg_hi:[0,0,1]
	v_mov_b32_e32 v9, v3
	s_delay_alu instid0(VALU_DEP_4) | instskip(NEXT) | instid1(VALU_DEP_4)
	v_pk_add_f32 v[0:1], v[0:1], v[6:7] neg_lo:[0,1] neg_hi:[0,1]
	v_cmp_ngt_f32_e32 vcc_lo, v2, v24
                                        ; implicit-def: $vgpr2_vgpr3
	s_delay_alu instid0(VALU_DEP_2)
	v_pk_add_f32 v[0:1], v[0:1], v[8:9] neg_lo:[0,1] neg_hi:[0,1]
	s_cbranch_vccz .LBB137_67
; %bb.66:                               ;   in Loop: Header=BB137_3 Depth=1
	v_div_scale_f32 v2, null, v5, v5, v4
	v_div_scale_f32 v7, vcc_lo, v4, v5, v4
	s_mov_b32 s3, 0
	v_rcp_f32_e32 v3, v2
	v_nop
	v_xor_b32_e32 v2, 0x80000000, v2
	s_delay_alu instid0(TRANS32_DEP_1) | instid1(VALU_DEP_1)
	v_fma_f32 v6, v2, v3, 1.0
	s_delay_alu instid0(VALU_DEP_1) | instskip(NEXT) | instid1(VALU_DEP_1)
	v_fmac_f32_e32 v3, v6, v3
	v_mul_f32_e32 v6, v7, v3
	s_delay_alu instid0(VALU_DEP_1) | instskip(NEXT) | instid1(VALU_DEP_1)
	v_fma_f32 v8, v2, v6, v7
	v_fmac_f32_e32 v6, v8, v3
	s_delay_alu instid0(VALU_DEP_1) | instskip(NEXT) | instid1(VALU_DEP_1)
	v_fmac_f32_e32 v7, v2, v6
	v_div_fmas_f32 v2, v7, v3, v6
	s_delay_alu instid0(VALU_DEP_1) | instskip(NEXT) | instid1(VALU_DEP_1)
	v_div_fixup_f32 v2, v2, v5, v4
	v_fma_f32 v3, v4, v2, v5
	s_delay_alu instid0(VALU_DEP_1) | instskip(NEXT) | instid1(VALU_DEP_1)
	v_div_scale_f32 v6, null, v3, v3, 1.0
	v_rcp_f32_e32 v7, v6
	v_nop
	v_xor_b32_e32 v6, 0x80000000, v6
	s_delay_alu instid0(TRANS32_DEP_1) | instid1(VALU_DEP_1)
	v_fma_f32 v8, v6, v7, 1.0
	s_delay_alu instid0(VALU_DEP_1) | instskip(SKIP_1) | instid1(VALU_DEP_1)
	v_fmac_f32_e32 v7, v8, v7
	v_div_scale_f32 v8, vcc_lo, 1.0, v3, 1.0
	v_mul_f32_e32 v9, v8, v7
	s_delay_alu instid0(VALU_DEP_1) | instskip(NEXT) | instid1(VALU_DEP_1)
	v_fma_f32 v10, v6, v9, v8
	v_fmac_f32_e32 v9, v10, v7
	s_delay_alu instid0(VALU_DEP_1) | instskip(NEXT) | instid1(VALU_DEP_1)
	v_dual_fmac_f32 v8, v6, v9 :: v_dual_mov_b32 v6, v1
	v_div_fmas_f32 v8, v8, v7, v9
	s_delay_alu instid0(VALU_DEP_2) | instskip(NEXT) | instid1(VALU_DEP_2)
	v_pk_fma_f32 v[6:7], v[2:3], v[0:1], v[6:7]
	v_div_fixup_f32 v7, v8, v3, 1.0
	s_delay_alu instid0(VALU_DEP_1) | instskip(NEXT) | instid1(VALU_DEP_1)
	v_dual_fma_f32 v3, v2, v1, -v0 :: v_dual_mov_b32 v2, v7
	v_pk_mul_f32 v[2:3], v[6:7], v[2:3]
.LBB137_67:                             ;   in Loop: Header=BB137_3 Depth=1
	s_and_not1_b32 vcc_lo, exec_lo, s3
	s_cbranch_vccnz .LBB137_69
; %bb.68:                               ;   in Loop: Header=BB137_3 Depth=1
	v_div_scale_f32 v2, null, v4, v4, v5
	v_div_scale_f32 v7, vcc_lo, v5, v4, v5
	s_delay_alu instid0(VALU_DEP_2)
	v_rcp_f32_e32 v3, v2
	v_nop
	v_xor_b32_e32 v2, 0x80000000, v2
	s_delay_alu instid0(TRANS32_DEP_1) | instid1(VALU_DEP_1)
	v_fma_f32 v6, v2, v3, 1.0
	s_delay_alu instid0(VALU_DEP_1) | instskip(NEXT) | instid1(VALU_DEP_1)
	v_fmac_f32_e32 v3, v6, v3
	v_mul_f32_e32 v6, v7, v3
	s_delay_alu instid0(VALU_DEP_1) | instskip(NEXT) | instid1(VALU_DEP_1)
	v_fma_f32 v8, v2, v6, v7
	v_fmac_f32_e32 v6, v8, v3
	s_delay_alu instid0(VALU_DEP_1) | instskip(NEXT) | instid1(VALU_DEP_1)
	v_fmac_f32_e32 v7, v2, v6
	v_div_fmas_f32 v2, v7, v3, v6
	s_delay_alu instid0(VALU_DEP_1) | instskip(NEXT) | instid1(VALU_DEP_1)
	v_div_fixup_f32 v2, v2, v4, v5
	v_fmac_f32_e32 v4, v5, v2
	s_delay_alu instid0(VALU_DEP_1) | instskip(SKIP_1) | instid1(VALU_DEP_2)
	v_div_scale_f32 v3, null, v4, v4, 1.0
	v_div_scale_f32 v7, vcc_lo, 1.0, v4, 1.0
	v_rcp_f32_e32 v5, v3
	v_nop
	v_xor_b32_e32 v3, 0x80000000, v3
	s_delay_alu instid0(TRANS32_DEP_1) | instid1(VALU_DEP_1)
	v_fma_f32 v6, v3, v5, 1.0
	s_delay_alu instid0(VALU_DEP_1) | instskip(NEXT) | instid1(VALU_DEP_1)
	v_fmac_f32_e32 v5, v6, v5
	v_mul_f32_e32 v6, v7, v5
	s_delay_alu instid0(VALU_DEP_1) | instskip(NEXT) | instid1(VALU_DEP_1)
	v_fma_f32 v8, v3, v6, v7
	v_fmac_f32_e32 v6, v8, v5
	s_delay_alu instid0(VALU_DEP_1) | instskip(NEXT) | instid1(VALU_DEP_1)
	v_fmac_f32_e32 v7, v3, v6
	v_div_fmas_f32 v3, v7, v5, v6
	s_delay_alu instid0(VALU_DEP_1) | instskip(SKIP_2) | instid1(VALU_DEP_3)
	v_pk_fma_f32 v[6:7], v[2:3], v[0:1], v[0:1] op_sel:[0,1,0] op_sel_hi:[0,0,1] neg_lo:[1,0,0] neg_hi:[1,0,0]
	v_pk_fma_f32 v[0:1], v[2:3], v[0:1], v[0:1] op_sel:[0,1,0] op_sel_hi:[1,0,1]
	v_div_fixup_f32 v2, v3, v4, 1.0
	v_mov_b32_e32 v1, v7
	s_delay_alu instid0(VALU_DEP_1)
	v_pk_mul_f32 v[2:3], v[0:1], v[2:3] op_sel_hi:[1,0]
.LBB137_69:                             ;   in Loop: Header=BB137_3 Depth=1
	s_mov_b32 s3, s60
	ds_store_b64 v30, v[2:3]
.LBB137_70:                             ;   in Loop: Header=BB137_3 Depth=1
	s_cmp_lt_i32 s3, 0
	s_cbranch_scc1 .LBB137_79
; %bb.71:                               ;   in Loop: Header=BB137_3 Depth=1
	s_lshl_b32 s18, s3, 3
	s_delay_alu instid0(SALU_CYCLE_1)
	s_add_co_i32 s18, s17, s18
	s_branch .LBB137_73
.LBB137_72:                             ;   in Loop: Header=BB137_73 Depth=2
	s_add_co_i32 s30, s3, -1
	s_add_co_i32 s18, s18, -8
	s_cmp_lt_i32 s3, 1
	s_mov_b32 s3, s30
	ds_store_b64 v6, v[4:5]
	s_cbranch_scc1 .LBB137_79
.LBB137_73:                             ;   Parent Loop BB137_3 Depth=1
                                        ; =>  This Loop Header: Depth=2
                                        ;       Child Loop BB137_74 Depth 3
	s_lshl_b32 s30, s3, 5
	s_cmp_le_i32 s37, s3
	v_dual_add_nc_u32 v6, s30, v26 :: v_dual_mov_b32 v2, v13
	s_mov_b32 s31, s18
	s_mov_b32 s34, s37
	ds_load_b64 v[0:1], v6
	s_cbranch_scc1 .LBB137_75
.LBB137_74:                             ;   Parent Loop BB137_3 Depth=1
                                        ;     Parent Loop BB137_73 Depth=2
                                        ; =>    This Inner Loop Header: Depth=3
	v_mov_b32_e32 v3, s31
	s_add_co_i32 s34, s34, -1
	s_sub_co_i32 s31, s31, 32
	s_cmp_le_i32 s34, s3
	ds_load_b64 v[4:5], v2
	ds_load_b64 v[8:9], v3
	v_subrev_nc_u32_e32 v2, 32, v2
	s_wait_dscnt 0x0
	v_pk_mul_f32 v[10:11], v[8:9], v[4:5] op_sel:[1,1] op_sel_hi:[0,1]
	s_delay_alu instid0(VALU_DEP_1) | instskip(SKIP_1) | instid1(VALU_DEP_2)
	v_pk_fma_f32 v[24:25], v[8:9], v[4:5], v[10:11] op_sel_hi:[1,0,1]
	v_pk_fma_f32 v[4:5], v[8:9], v[4:5], v[10:11] op_sel_hi:[1,0,1] neg_lo:[0,0,1] neg_hi:[0,0,1]
	v_mov_b32_e32 v5, v25
	s_delay_alu instid0(VALU_DEP_1)
	v_pk_add_f32 v[0:1], v[0:1], v[4:5] neg_lo:[0,1] neg_hi:[0,1]
	s_cbranch_scc0 .LBB137_74
.LBB137_75:                             ;   in Loop: Header=BB137_73 Depth=2
	s_lshl_b32 s31, s3, 3
	s_delay_alu instid0(SALU_CYCLE_1) | instskip(NEXT) | instid1(SALU_CYCLE_1)
	s_add_co_i32 s30, s31, s30
	v_mov_b32_e32 v2, s30
	s_mov_b32 s30, -1
	ds_load_b64 v[2:3], v2
	s_wait_dscnt 0x0
	v_and_b32_e32 v4, 0x7fffffff, v2
	v_and_b32_e32 v5, 0x7fffffff, v3
	s_delay_alu instid0(VALU_DEP_1)
	v_cmp_ngt_f32_e32 vcc_lo, v4, v5
                                        ; implicit-def: $vgpr4_vgpr5
	s_cbranch_vccz .LBB137_77
; %bb.76:                               ;   in Loop: Header=BB137_73 Depth=2
	v_div_scale_f32 v4, null, v3, v3, v2
	v_div_scale_f32 v8, vcc_lo, v2, v3, v2
	s_mov_b32 s30, 0
	v_rcp_f32_e32 v5, v4
	v_nop
	v_xor_b32_e32 v4, 0x80000000, v4
	s_delay_alu instid0(TRANS32_DEP_1) | instid1(VALU_DEP_1)
	v_fma_f32 v7, v4, v5, 1.0
	s_delay_alu instid0(VALU_DEP_1) | instskip(NEXT) | instid1(VALU_DEP_1)
	v_fmac_f32_e32 v5, v7, v5
	v_mul_f32_e32 v7, v8, v5
	s_delay_alu instid0(VALU_DEP_1) | instskip(NEXT) | instid1(VALU_DEP_1)
	v_fma_f32 v9, v4, v7, v8
	v_fmac_f32_e32 v7, v9, v5
	s_delay_alu instid0(VALU_DEP_1) | instskip(NEXT) | instid1(VALU_DEP_1)
	v_fmac_f32_e32 v8, v4, v7
	v_div_fmas_f32 v4, v8, v5, v7
	s_delay_alu instid0(VALU_DEP_1) | instskip(NEXT) | instid1(VALU_DEP_1)
	v_div_fixup_f32 v4, v4, v3, v2
	v_fma_f32 v7, v2, v4, v3
	s_delay_alu instid0(VALU_DEP_1) | instskip(SKIP_1) | instid1(VALU_DEP_2)
	v_div_scale_f32 v5, null, v7, v7, 1.0
	v_div_scale_f32 v10, vcc_lo, 1.0, v7, 1.0
	v_rcp_f32_e32 v8, v5
	v_nop
	v_xor_b32_e32 v5, 0x80000000, v5
	s_delay_alu instid0(TRANS32_DEP_1) | instid1(VALU_DEP_1)
	v_fma_f32 v9, v5, v8, 1.0
	s_delay_alu instid0(VALU_DEP_1) | instskip(NEXT) | instid1(VALU_DEP_1)
	v_fmac_f32_e32 v8, v9, v8
	v_mul_f32_e32 v9, v10, v8
	s_delay_alu instid0(VALU_DEP_1) | instskip(NEXT) | instid1(VALU_DEP_1)
	v_fma_f32 v11, v5, v9, v10
	v_fmac_f32_e32 v9, v11, v8
	s_delay_alu instid0(VALU_DEP_1) | instskip(NEXT) | instid1(VALU_DEP_1)
	v_fmac_f32_e32 v10, v5, v9
	v_div_fmas_f32 v10, v10, v8, v9
	v_pk_fma_f32 v[8:9], v[0:1], v[4:5], v[0:1] op_sel:[0,0,1] op_sel_hi:[1,0,0] neg_lo:[0,0,1] neg_hi:[0,0,1]
	v_pk_fma_f32 v[4:5], v[0:1], v[4:5], v[0:1] op_sel:[0,0,1] op_sel_hi:[1,0,0]
	s_delay_alu instid0(VALU_DEP_3) | instskip(NEXT) | instid1(VALU_DEP_3)
	v_div_fixup_f32 v8, v10, v7, 1.0
	v_mov_b32_e32 v5, v9
	s_delay_alu instid0(VALU_DEP_1)
	v_pk_mul_f32 v[4:5], v[4:5], v[8:9] op_sel_hi:[1,0]
.LBB137_77:                             ;   in Loop: Header=BB137_73 Depth=2
	s_and_not1_b32 vcc_lo, exec_lo, s30
	s_cbranch_vccnz .LBB137_72
; %bb.78:                               ;   in Loop: Header=BB137_73 Depth=2
	v_div_scale_f32 v4, null, v2, v2, v3
	v_div_scale_f32 v8, vcc_lo, v3, v2, v3
	s_delay_alu instid0(VALU_DEP_2)
	v_rcp_f32_e32 v5, v4
	v_nop
	v_xor_b32_e32 v4, 0x80000000, v4
	s_delay_alu instid0(TRANS32_DEP_1) | instid1(VALU_DEP_1)
	v_fma_f32 v7, v4, v5, 1.0
	s_delay_alu instid0(VALU_DEP_1) | instskip(NEXT) | instid1(VALU_DEP_1)
	v_fmac_f32_e32 v5, v7, v5
	v_mul_f32_e32 v7, v8, v5
	s_delay_alu instid0(VALU_DEP_1) | instskip(NEXT) | instid1(VALU_DEP_1)
	v_fma_f32 v9, v4, v7, v8
	v_fmac_f32_e32 v7, v9, v5
	s_delay_alu instid0(VALU_DEP_1) | instskip(NEXT) | instid1(VALU_DEP_1)
	v_fmac_f32_e32 v8, v4, v7
	v_div_fmas_f32 v4, v8, v5, v7
	s_delay_alu instid0(VALU_DEP_1) | instskip(NEXT) | instid1(VALU_DEP_1)
	v_div_fixup_f32 v4, v4, v2, v3
	v_fmac_f32_e32 v2, v3, v4
	s_delay_alu instid0(VALU_DEP_1) | instskip(SKIP_1) | instid1(VALU_DEP_2)
	v_div_scale_f32 v3, null, v2, v2, 1.0
	v_div_scale_f32 v8, vcc_lo, 1.0, v2, 1.0
	v_rcp_f32_e32 v5, v3
	v_nop
	v_xor_b32_e32 v3, 0x80000000, v3
	s_delay_alu instid0(TRANS32_DEP_1) | instid1(VALU_DEP_1)
	v_fma_f32 v7, v3, v5, 1.0
	s_delay_alu instid0(VALU_DEP_1) | instskip(NEXT) | instid1(VALU_DEP_1)
	v_fmac_f32_e32 v5, v7, v5
	v_mul_f32_e32 v7, v8, v5
	s_delay_alu instid0(VALU_DEP_1) | instskip(NEXT) | instid1(VALU_DEP_1)
	v_fma_f32 v9, v3, v7, v8
	v_fmac_f32_e32 v7, v9, v5
	s_delay_alu instid0(VALU_DEP_1) | instskip(NEXT) | instid1(VALU_DEP_1)
	v_fmac_f32_e32 v8, v3, v7
	v_div_fmas_f32 v3, v8, v5, v7
	v_pk_fma_f32 v[8:9], v[0:1], v[4:5], v[0:1] op_sel:[1,0,0] op_sel_hi:[0,0,1] neg_lo:[1,0,0] neg_hi:[1,0,0]
	v_pk_fma_f32 v[0:1], v[0:1], v[4:5], v[0:1] op_sel:[1,0,0] op_sel_hi:[0,0,1]
	s_delay_alu instid0(VALU_DEP_3) | instskip(NEXT) | instid1(VALU_DEP_3)
	v_div_fixup_f32 v2, v3, v2, 1.0
	v_mov_b32_e32 v1, v9
	s_delay_alu instid0(VALU_DEP_1)
	v_pk_mul_f32 v[4:5], v[0:1], v[2:3] op_sel_hi:[1,0]
	s_branch .LBB137_72
.LBB137_79:                             ;   in Loop: Header=BB137_3 Depth=1
	s_mov_b32 s3, 0
.LBB137_80:                             ;   in Loop: Header=BB137_3 Depth=1
	s_delay_alu instid0(SALU_CYCLE_1)
	s_and_not1_b32 vcc_lo, exec_lo, s3
	s_cbranch_vccnz .LBB137_108
; %bb.81:                               ;   in Loop: Header=BB137_3 Depth=1
	s_and_b32 vcc_lo, exec_lo, s43
	s_mov_b32 s3, s37
	s_cbranch_vccz .LBB137_99
; %bb.82:                               ;   in Loop: Header=BB137_3 Depth=1
	s_add_co_i32 s3, s48, s47
	s_delay_alu instid0(SALU_CYCLE_1)
	v_mov_b32_e32 v0, s3
	s_mov_b32 s3, -1
	ds_load_b64 v[2:3], v0
	ds_load_b64 v[0:1], v27
	;; [unrolled: 1-line block ×5, first 2 shown]
	s_wait_dscnt 0x4
	v_and_b32_e32 v6, 0x7fffffff, v2
	v_and_b32_e32 v7, 0x7fffffff, v3
	s_delay_alu instid0(VALU_DEP_1)
	v_cmp_ngt_f32_e32 vcc_lo, v6, v7
                                        ; implicit-def: $vgpr7
	s_cbranch_vccz .LBB137_84
; %bb.83:                               ;   in Loop: Header=BB137_3 Depth=1
	v_div_scale_f32 v6, null, v3, v3, v2
	v_div_scale_f32 v25, vcc_lo, v2, v3, v2
	s_mov_b32 s3, 0
	v_rcp_f32_e32 v7, v6
	v_nop
	v_xor_b32_e32 v6, 0x80000000, v6
	s_delay_alu instid0(TRANS32_DEP_1) | instid1(VALU_DEP_1)
	v_fma_f32 v24, v6, v7, 1.0
	s_delay_alu instid0(VALU_DEP_1) | instskip(NEXT) | instid1(VALU_DEP_1)
	v_fmac_f32_e32 v7, v24, v7
	v_mul_f32_e32 v24, v25, v7
	s_delay_alu instid0(VALU_DEP_1) | instskip(NEXT) | instid1(VALU_DEP_1)
	v_fma_f32 v32, v6, v24, v25
	v_fmac_f32_e32 v24, v32, v7
	s_delay_alu instid0(VALU_DEP_1) | instskip(NEXT) | instid1(VALU_DEP_1)
	v_fmac_f32_e32 v25, v6, v24
	v_div_fmas_f32 v6, v25, v7, v24
	s_delay_alu instid0(VALU_DEP_1) | instskip(NEXT) | instid1(VALU_DEP_1)
	v_div_fixup_f32 v6, v6, v3, v2
	v_fma_f32 v7, v2, v6, v3
	s_delay_alu instid0(VALU_DEP_1) | instskip(SKIP_1) | instid1(VALU_DEP_2)
	v_div_scale_f32 v24, null, v7, v7, 1.0
	v_div_scale_f32 v33, vcc_lo, 1.0, v7, 1.0
	v_rcp_f32_e32 v25, v24
	v_nop
	v_xor_b32_e32 v24, 0x80000000, v24
	s_delay_alu instid0(TRANS32_DEP_1) | instid1(VALU_DEP_1)
	v_fma_f32 v32, v24, v25, 1.0
	s_delay_alu instid0(VALU_DEP_1) | instskip(NEXT) | instid1(VALU_DEP_1)
	v_fmac_f32_e32 v25, v32, v25
	v_mul_f32_e32 v32, v33, v25
	s_delay_alu instid0(VALU_DEP_1) | instskip(NEXT) | instid1(VALU_DEP_1)
	v_fma_f32 v34, v24, v32, v33
	v_fmac_f32_e32 v32, v34, v25
	s_delay_alu instid0(VALU_DEP_1) | instskip(NEXT) | instid1(VALU_DEP_1)
	v_fmac_f32_e32 v33, v24, v32
	v_div_fmas_f32 v24, v33, v25, v32
	s_wait_dscnt 0x3
	v_fma_f32 v25, v0, v6, v1
	s_delay_alu instid0(VALU_DEP_2) | instskip(SKIP_1) | instid1(VALU_DEP_1)
	v_div_fixup_f32 v7, v24, v7, 1.0
	v_fma_f32 v24, v1, v6, -v0
	v_dual_mul_f32 v6, v25, v7 :: v_dual_mul_f32 v7, v24, v7
.LBB137_84:                             ;   in Loop: Header=BB137_3 Depth=1
	s_and_not1_b32 vcc_lo, exec_lo, s3
	s_cbranch_vccnz .LBB137_86
; %bb.85:                               ;   in Loop: Header=BB137_3 Depth=1
	v_div_scale_f32 v6, null, v2, v2, v3
	v_div_scale_f32 v25, vcc_lo, v3, v2, v3
	s_delay_alu instid0(VALU_DEP_2)
	v_rcp_f32_e32 v7, v6
	v_nop
	v_xor_b32_e32 v6, 0x80000000, v6
	s_delay_alu instid0(TRANS32_DEP_1) | instid1(VALU_DEP_1)
	v_fma_f32 v24, v6, v7, 1.0
	s_delay_alu instid0(VALU_DEP_1) | instskip(NEXT) | instid1(VALU_DEP_1)
	v_fmac_f32_e32 v7, v24, v7
	v_mul_f32_e32 v24, v25, v7
	s_delay_alu instid0(VALU_DEP_1) | instskip(NEXT) | instid1(VALU_DEP_1)
	v_fma_f32 v32, v6, v24, v25
	v_fmac_f32_e32 v24, v32, v7
	s_delay_alu instid0(VALU_DEP_1) | instskip(NEXT) | instid1(VALU_DEP_1)
	v_fmac_f32_e32 v25, v6, v24
	v_div_fmas_f32 v6, v25, v7, v24
	s_delay_alu instid0(VALU_DEP_1) | instskip(NEXT) | instid1(VALU_DEP_1)
	v_div_fixup_f32 v6, v6, v2, v3
	v_fmac_f32_e32 v2, v3, v6
	s_delay_alu instid0(VALU_DEP_1) | instskip(SKIP_1) | instid1(VALU_DEP_2)
	v_div_scale_f32 v3, null, v2, v2, 1.0
	v_div_scale_f32 v25, vcc_lo, 1.0, v2, 1.0
	v_rcp_f32_e32 v7, v3
	v_nop
	v_xor_b32_e32 v3, 0x80000000, v3
	s_delay_alu instid0(TRANS32_DEP_1) | instid1(VALU_DEP_1)
	v_fma_f32 v24, v3, v7, 1.0
	s_delay_alu instid0(VALU_DEP_1) | instskip(NEXT) | instid1(VALU_DEP_1)
	v_fmac_f32_e32 v7, v24, v7
	v_mul_f32_e32 v24, v25, v7
	s_delay_alu instid0(VALU_DEP_1) | instskip(NEXT) | instid1(VALU_DEP_1)
	v_fma_f32 v32, v3, v24, v25
	v_fmac_f32_e32 v24, v32, v7
	s_delay_alu instid0(VALU_DEP_1) | instskip(NEXT) | instid1(VALU_DEP_1)
	v_fmac_f32_e32 v25, v3, v24
	v_div_fmas_f32 v3, v25, v7, v24
	s_wait_dscnt 0x3
	v_dual_fma_f32 v7, v1, v6, v0 :: v_dual_fma_f32 v0, -v0, v6, v1
	s_delay_alu instid0(VALU_DEP_2) | instskip(NEXT) | instid1(VALU_DEP_1)
	v_div_fixup_f32 v2, v3, v2, 1.0
	v_dual_mul_f32 v6, v7, v2 :: v_dual_mul_f32 v7, v0, v2
.LBB137_86:                             ;   in Loop: Header=BB137_3 Depth=1
	s_add_co_i32 s3, s45, s49
	ds_store_b64 v27, v[6:7]
	s_wait_dscnt 0x4
	v_mov_b32_e32 v0, s3
	s_mov_b32 s3, -1
	ds_load_2addr_b64 v[0:3], v0 offset1:1
	s_wait_dscnt 0x0
	v_dual_mul_f32 v24, v7, v3 :: v_dual_mul_f32 v3, v6, v3
	v_and_b32_e32 v25, 0x7fffffff, v0
	v_and_b32_e32 v32, 0x7fffffff, v1
	s_delay_alu instid0(VALU_DEP_3) | instskip(NEXT) | instid1(VALU_DEP_2)
	v_dual_fma_f32 v24, v6, v2, -v24 :: v_dual_fmac_f32 v3, v7, v2
	v_cmp_ngt_f32_e32 vcc_lo, v25, v32
	s_delay_alu instid0(VALU_DEP_2)
	v_dual_sub_f32 v2, v10, v24 :: v_dual_sub_f32 v3, v11, v3
                                        ; implicit-def: $vgpr11
	s_cbranch_vccz .LBB137_88
; %bb.87:                               ;   in Loop: Header=BB137_3 Depth=1
	v_div_scale_f32 v10, null, v1, v1, v0
	v_div_scale_f32 v25, vcc_lo, v0, v1, v0
	s_mov_b32 s3, 0
	v_rcp_f32_e32 v11, v10
	v_nop
	v_xor_b32_e32 v10, 0x80000000, v10
	s_delay_alu instid0(TRANS32_DEP_1) | instid1(VALU_DEP_1)
	v_fma_f32 v24, v10, v11, 1.0
	s_delay_alu instid0(VALU_DEP_1) | instskip(NEXT) | instid1(VALU_DEP_1)
	v_fmac_f32_e32 v11, v24, v11
	v_mul_f32_e32 v24, v25, v11
	s_delay_alu instid0(VALU_DEP_1) | instskip(NEXT) | instid1(VALU_DEP_1)
	v_fma_f32 v32, v10, v24, v25
	v_fmac_f32_e32 v24, v32, v11
	s_delay_alu instid0(VALU_DEP_1) | instskip(NEXT) | instid1(VALU_DEP_1)
	v_fmac_f32_e32 v25, v10, v24
	v_div_fmas_f32 v10, v25, v11, v24
	s_delay_alu instid0(VALU_DEP_1) | instskip(NEXT) | instid1(VALU_DEP_1)
	v_div_fixup_f32 v10, v10, v1, v0
	v_fma_f32 v11, v0, v10, v1
	s_delay_alu instid0(VALU_DEP_1) | instskip(SKIP_1) | instid1(VALU_DEP_2)
	v_div_scale_f32 v24, null, v11, v11, 1.0
	v_div_scale_f32 v33, vcc_lo, 1.0, v11, 1.0
	v_rcp_f32_e32 v25, v24
	v_nop
	v_xor_b32_e32 v24, 0x80000000, v24
	s_delay_alu instid0(TRANS32_DEP_1) | instid1(VALU_DEP_1)
	v_fma_f32 v32, v24, v25, 1.0
	s_delay_alu instid0(VALU_DEP_1) | instskip(NEXT) | instid1(VALU_DEP_1)
	v_fmac_f32_e32 v25, v32, v25
	v_mul_f32_e32 v32, v33, v25
	s_delay_alu instid0(VALU_DEP_1) | instskip(NEXT) | instid1(VALU_DEP_1)
	v_fma_f32 v34, v24, v32, v33
	v_fmac_f32_e32 v32, v34, v25
	s_delay_alu instid0(VALU_DEP_1) | instskip(NEXT) | instid1(VALU_DEP_1)
	v_fmac_f32_e32 v33, v24, v32
	v_div_fmas_f32 v24, v33, v25, v32
	v_fma_f32 v25, v10, v2, v3
	s_delay_alu instid0(VALU_DEP_2) | instskip(SKIP_1) | instid1(VALU_DEP_1)
	v_div_fixup_f32 v11, v24, v11, 1.0
	v_fma_f32 v24, v10, v3, -v2
	v_dual_mul_f32 v10, v25, v11 :: v_dual_mul_f32 v11, v24, v11
.LBB137_88:                             ;   in Loop: Header=BB137_3 Depth=1
	s_and_not1_b32 vcc_lo, exec_lo, s3
	s_cbranch_vccnz .LBB137_90
; %bb.89:                               ;   in Loop: Header=BB137_3 Depth=1
	v_div_scale_f32 v10, null, v0, v0, v1
	v_div_scale_f32 v25, vcc_lo, v1, v0, v1
	s_delay_alu instid0(VALU_DEP_2)
	v_rcp_f32_e32 v11, v10
	v_nop
	v_xor_b32_e32 v10, 0x80000000, v10
	s_delay_alu instid0(TRANS32_DEP_1) | instid1(VALU_DEP_1)
	v_fma_f32 v24, v10, v11, 1.0
	s_delay_alu instid0(VALU_DEP_1) | instskip(NEXT) | instid1(VALU_DEP_1)
	v_fmac_f32_e32 v11, v24, v11
	v_mul_f32_e32 v24, v25, v11
	s_delay_alu instid0(VALU_DEP_1) | instskip(NEXT) | instid1(VALU_DEP_1)
	v_fma_f32 v32, v10, v24, v25
	v_fmac_f32_e32 v24, v32, v11
	s_delay_alu instid0(VALU_DEP_1) | instskip(NEXT) | instid1(VALU_DEP_1)
	v_fmac_f32_e32 v25, v10, v24
	v_div_fmas_f32 v10, v25, v11, v24
	s_delay_alu instid0(VALU_DEP_1) | instskip(NEXT) | instid1(VALU_DEP_1)
	v_div_fixup_f32 v10, v10, v0, v1
	v_fmac_f32_e32 v0, v1, v10
	s_delay_alu instid0(VALU_DEP_1) | instskip(SKIP_1) | instid1(VALU_DEP_2)
	v_div_scale_f32 v1, null, v0, v0, 1.0
	v_div_scale_f32 v25, vcc_lo, 1.0, v0, 1.0
	v_rcp_f32_e32 v11, v1
	v_nop
	v_xor_b32_e32 v1, 0x80000000, v1
	s_delay_alu instid0(TRANS32_DEP_1) | instid1(VALU_DEP_1)
	v_fma_f32 v24, v1, v11, 1.0
	s_delay_alu instid0(VALU_DEP_1) | instskip(NEXT) | instid1(VALU_DEP_1)
	v_fmac_f32_e32 v11, v24, v11
	v_mul_f32_e32 v24, v25, v11
	s_delay_alu instid0(VALU_DEP_1) | instskip(NEXT) | instid1(VALU_DEP_1)
	v_fma_f32 v32, v1, v24, v25
	v_fmac_f32_e32 v24, v32, v11
	s_delay_alu instid0(VALU_DEP_1) | instskip(NEXT) | instid1(VALU_DEP_1)
	v_fmac_f32_e32 v25, v1, v24
	v_div_fmas_f32 v1, v25, v11, v24
	v_fma_f32 v11, v10, v3, v2
	s_delay_alu instid0(VALU_DEP_2) | instskip(NEXT) | instid1(VALU_DEP_1)
	v_div_fixup_f32 v0, v1, v0, 1.0
	v_dual_fma_f32 v1, -v10, v2, v3 :: v_dual_mul_f32 v10, v11, v0
	s_delay_alu instid0(VALU_DEP_1)
	v_mul_f32_e32 v11, v1, v0
.LBB137_90:                             ;   in Loop: Header=BB137_3 Depth=1
	s_add_co_i32 s3, s46, s51
	s_delay_alu instid0(SALU_CYCLE_1)
	v_dual_mov_b32 v0, s61 :: v_dual_mov_b32 v1, s3
	s_mov_b32 s3, -1
	ds_load_b64 v[24:25], v0
	ds_load_2addr_b64 v[0:3], v1 offset1:1
	ds_store_b64 v28, v[10:11]
	s_wait_dscnt 0x2
	v_dual_mul_f32 v32, v7, v25 :: v_dual_mul_f32 v25, v6, v25
	s_wait_dscnt 0x1
	v_dual_mul_f32 v33, v11, v3 :: v_dual_mul_f32 v3, v10, v3
	v_and_b32_e32 v34, 0x7fffffff, v0
	s_delay_alu instid0(VALU_DEP_3) | instskip(SKIP_1) | instid1(VALU_DEP_4)
	v_dual_fma_f32 v32, v6, v24, -v32 :: v_dual_fmac_f32 v25, v7, v24
	v_and_b32_e32 v24, 0x7fffffff, v1
	v_dual_fma_f32 v33, v10, v2, -v33 :: v_dual_fmac_f32 v3, v11, v2
	s_delay_alu instid0(VALU_DEP_3) | instskip(NEXT) | instid1(VALU_DEP_3)
	v_dual_sub_f32 v2, v8, v32 :: v_dual_sub_f32 v8, v9, v25
	v_cmp_ngt_f32_e32 vcc_lo, v34, v24
	s_delay_alu instid0(VALU_DEP_2)
	v_dual_sub_f32 v2, v2, v33 :: v_dual_sub_f32 v3, v8, v3
                                        ; implicit-def: $vgpr9
	s_cbranch_vccz .LBB137_92
; %bb.91:                               ;   in Loop: Header=BB137_3 Depth=1
	v_div_scale_f32 v8, null, v1, v1, v0
	v_div_scale_f32 v25, vcc_lo, v0, v1, v0
	s_mov_b32 s3, 0
	v_rcp_f32_e32 v9, v8
	v_nop
	v_xor_b32_e32 v8, 0x80000000, v8
	s_delay_alu instid0(TRANS32_DEP_1) | instid1(VALU_DEP_1)
	v_fma_f32 v24, v8, v9, 1.0
	s_delay_alu instid0(VALU_DEP_1) | instskip(NEXT) | instid1(VALU_DEP_1)
	v_fmac_f32_e32 v9, v24, v9
	v_mul_f32_e32 v24, v25, v9
	s_delay_alu instid0(VALU_DEP_1) | instskip(NEXT) | instid1(VALU_DEP_1)
	v_fma_f32 v32, v8, v24, v25
	v_fmac_f32_e32 v24, v32, v9
	s_delay_alu instid0(VALU_DEP_1) | instskip(NEXT) | instid1(VALU_DEP_1)
	v_fmac_f32_e32 v25, v8, v24
	v_div_fmas_f32 v8, v25, v9, v24
	s_delay_alu instid0(VALU_DEP_1) | instskip(NEXT) | instid1(VALU_DEP_1)
	v_div_fixup_f32 v8, v8, v1, v0
	v_fma_f32 v9, v0, v8, v1
	s_delay_alu instid0(VALU_DEP_1) | instskip(SKIP_1) | instid1(VALU_DEP_2)
	v_div_scale_f32 v24, null, v9, v9, 1.0
	v_div_scale_f32 v33, vcc_lo, 1.0, v9, 1.0
	v_rcp_f32_e32 v25, v24
	v_nop
	v_xor_b32_e32 v24, 0x80000000, v24
	s_delay_alu instid0(TRANS32_DEP_1) | instid1(VALU_DEP_1)
	v_fma_f32 v32, v24, v25, 1.0
	s_delay_alu instid0(VALU_DEP_1) | instskip(NEXT) | instid1(VALU_DEP_1)
	v_fmac_f32_e32 v25, v32, v25
	v_mul_f32_e32 v32, v33, v25
	s_delay_alu instid0(VALU_DEP_1) | instskip(NEXT) | instid1(VALU_DEP_1)
	v_fma_f32 v34, v24, v32, v33
	v_fmac_f32_e32 v32, v34, v25
	s_delay_alu instid0(VALU_DEP_1) | instskip(NEXT) | instid1(VALU_DEP_1)
	v_fmac_f32_e32 v33, v24, v32
	v_div_fmas_f32 v24, v33, v25, v32
	v_fma_f32 v25, v8, v2, v3
	s_delay_alu instid0(VALU_DEP_2) | instskip(NEXT) | instid1(VALU_DEP_1)
	v_div_fixup_f32 v9, v24, v9, 1.0
	v_dual_fma_f32 v24, v8, v3, -v2 :: v_dual_mul_f32 v8, v25, v9
	s_delay_alu instid0(VALU_DEP_1)
	v_mul_f32_e32 v9, v24, v9
.LBB137_92:                             ;   in Loop: Header=BB137_3 Depth=1
	s_and_not1_b32 vcc_lo, exec_lo, s3
	s_cbranch_vccnz .LBB137_94
; %bb.93:                               ;   in Loop: Header=BB137_3 Depth=1
	v_div_scale_f32 v8, null, v0, v0, v1
	v_div_scale_f32 v25, vcc_lo, v1, v0, v1
	s_delay_alu instid0(VALU_DEP_2)
	v_rcp_f32_e32 v9, v8
	v_nop
	v_xor_b32_e32 v8, 0x80000000, v8
	s_delay_alu instid0(TRANS32_DEP_1) | instid1(VALU_DEP_1)
	v_fma_f32 v24, v8, v9, 1.0
	s_delay_alu instid0(VALU_DEP_1) | instskip(NEXT) | instid1(VALU_DEP_1)
	v_fmac_f32_e32 v9, v24, v9
	v_mul_f32_e32 v24, v25, v9
	s_delay_alu instid0(VALU_DEP_1) | instskip(NEXT) | instid1(VALU_DEP_1)
	v_fma_f32 v32, v8, v24, v25
	v_fmac_f32_e32 v24, v32, v9
	s_delay_alu instid0(VALU_DEP_1) | instskip(NEXT) | instid1(VALU_DEP_1)
	v_fmac_f32_e32 v25, v8, v24
	v_div_fmas_f32 v8, v25, v9, v24
	s_delay_alu instid0(VALU_DEP_1) | instskip(NEXT) | instid1(VALU_DEP_1)
	v_div_fixup_f32 v8, v8, v0, v1
	v_fmac_f32_e32 v0, v1, v8
	s_delay_alu instid0(VALU_DEP_1) | instskip(SKIP_1) | instid1(VALU_DEP_2)
	v_div_scale_f32 v1, null, v0, v0, 1.0
	v_div_scale_f32 v25, vcc_lo, 1.0, v0, 1.0
	v_rcp_f32_e32 v9, v1
	v_nop
	v_xor_b32_e32 v1, 0x80000000, v1
	s_delay_alu instid0(TRANS32_DEP_1) | instid1(VALU_DEP_1)
	v_fma_f32 v24, v1, v9, 1.0
	s_delay_alu instid0(VALU_DEP_1) | instskip(NEXT) | instid1(VALU_DEP_1)
	v_fmac_f32_e32 v9, v24, v9
	v_mul_f32_e32 v24, v25, v9
	s_delay_alu instid0(VALU_DEP_1) | instskip(NEXT) | instid1(VALU_DEP_1)
	v_fma_f32 v32, v1, v24, v25
	v_fmac_f32_e32 v24, v32, v9
	s_delay_alu instid0(VALU_DEP_1) | instskip(NEXT) | instid1(VALU_DEP_1)
	v_fmac_f32_e32 v25, v1, v24
	v_div_fmas_f32 v1, v25, v9, v24
	v_fma_f32 v9, v8, v3, v2
	s_delay_alu instid0(VALU_DEP_2) | instskip(NEXT) | instid1(VALU_DEP_1)
	v_div_fixup_f32 v0, v1, v0, 1.0
	v_dual_fma_f32 v1, -v8, v2, v3 :: v_dual_mul_f32 v8, v9, v0
	s_delay_alu instid0(VALU_DEP_1)
	v_mul_f32_e32 v9, v1, v0
.LBB137_94:                             ;   in Loop: Header=BB137_3 Depth=1
	v_dual_mov_b32 v0, s62 :: v_dual_mov_b32 v24, v7
	s_mov_b32 s3, -1
	ds_store_b64 v29, v[8:9]
	v_mov_b32_e32 v38, v11
	ds_load_2addr_b64 v[32:35], v0 offset1:1
	s_wait_dscnt 0x0
	v_dual_mov_b32 v0, s67 :: v_dual_mov_b32 v36, v35
	ds_load_2addr_b64 v[0:3], v0 offset1:1
	v_mov_b32_e32 v37, v34
	v_pk_mul_f32 v[38:39], v[38:39], v[32:33] op_sel:[0,1] op_sel_hi:[0,0]
	s_delay_alu instid0(VALU_DEP_2) | instskip(SKIP_1) | instid1(VALU_DEP_3)
	v_pk_mul_f32 v[24:25], v[24:25], v[36:37] op_sel_hi:[0,1]
	v_mov_b32_e32 v36, v9
	v_pk_fma_f32 v[44:45], v[10:11], v[32:33], v[38:39] op_sel_hi:[0,1,1]
	v_pk_fma_f32 v[10:11], v[10:11], v[32:33], v[38:39] neg_lo:[0,0,1] neg_hi:[0,0,1]
	s_delay_alu instid0(VALU_DEP_4) | instskip(SKIP_2) | instid1(VALU_DEP_2)
	v_pk_fma_f32 v[42:43], v[6:7], v[34:35], v[24:25] op_sel_hi:[0,1,1]
	v_pk_fma_f32 v[6:7], v[6:7], v[34:35], v[24:25] neg_lo:[0,0,1] neg_hi:[0,0,1]
	s_wait_dscnt 0x0
	v_dual_mov_b32 v7, v43 :: v_dual_mov_b32 v41, v2
	v_mov_b32_e32 v40, v3
	v_and_b32_e32 v32, 0x7fffffff, v1
	s_delay_alu instid0(VALU_DEP_3) | instskip(NEXT) | instid1(VALU_DEP_3)
	v_pk_add_f32 v[4:5], v[4:5], v[6:7] neg_lo:[0,1] neg_hi:[0,1]
	v_pk_mul_f32 v[24:25], v[36:37], v[40:41] op_sel_hi:[0,1]
	s_delay_alu instid0(VALU_DEP_1) | instskip(SKIP_3) | instid1(VALU_DEP_4)
	v_pk_fma_f32 v[6:7], v[8:9], v[2:3], v[24:25] op_sel_hi:[0,1,1]
	v_mov_b32_e32 v11, v45
	v_and_b32_e32 v6, 0x7fffffff, v0
	v_pk_fma_f32 v[2:3], v[8:9], v[2:3], v[24:25] neg_lo:[0,0,1] neg_hi:[0,0,1]
	v_mov_b32_e32 v3, v7
	s_delay_alu instid0(VALU_DEP_4) | instskip(NEXT) | instid1(VALU_DEP_4)
	v_pk_add_f32 v[4:5], v[4:5], v[10:11] neg_lo:[0,1] neg_hi:[0,1]
	v_cmp_ngt_f32_e32 vcc_lo, v6, v32
	s_delay_alu instid0(VALU_DEP_2)
	v_pk_add_f32 v[2:3], v[4:5], v[2:3] neg_lo:[0,1] neg_hi:[0,1]
                                        ; implicit-def: $vgpr4_vgpr5
	s_cbranch_vccz .LBB137_96
; %bb.95:                               ;   in Loop: Header=BB137_3 Depth=1
	v_div_scale_f32 v4, null, v1, v1, v0
	v_div_scale_f32 v7, vcc_lo, v0, v1, v0
	s_mov_b32 s3, 0
	v_rcp_f32_e32 v5, v4
	v_nop
	v_xor_b32_e32 v4, 0x80000000, v4
	s_delay_alu instid0(TRANS32_DEP_1) | instid1(VALU_DEP_1)
	v_fma_f32 v6, v4, v5, 1.0
	s_delay_alu instid0(VALU_DEP_1) | instskip(NEXT) | instid1(VALU_DEP_1)
	v_fmac_f32_e32 v5, v6, v5
	v_mul_f32_e32 v6, v7, v5
	s_delay_alu instid0(VALU_DEP_1) | instskip(NEXT) | instid1(VALU_DEP_1)
	v_fma_f32 v8, v4, v6, v7
	v_fmac_f32_e32 v6, v8, v5
	s_delay_alu instid0(VALU_DEP_1) | instskip(NEXT) | instid1(VALU_DEP_1)
	v_fmac_f32_e32 v7, v4, v6
	v_div_fmas_f32 v4, v7, v5, v6
	s_delay_alu instid0(VALU_DEP_1) | instskip(NEXT) | instid1(VALU_DEP_1)
	v_div_fixup_f32 v4, v4, v1, v0
	v_fma_f32 v5, v0, v4, v1
	s_delay_alu instid0(VALU_DEP_1) | instskip(NEXT) | instid1(VALU_DEP_1)
	v_div_scale_f32 v6, null, v5, v5, 1.0
	v_rcp_f32_e32 v7, v6
	v_nop
	v_xor_b32_e32 v6, 0x80000000, v6
	s_delay_alu instid0(TRANS32_DEP_1) | instid1(VALU_DEP_1)
	v_fma_f32 v8, v6, v7, 1.0
	s_delay_alu instid0(VALU_DEP_1) | instskip(SKIP_1) | instid1(VALU_DEP_1)
	v_fmac_f32_e32 v7, v8, v7
	v_div_scale_f32 v8, vcc_lo, 1.0, v5, 1.0
	v_mul_f32_e32 v9, v8, v7
	s_delay_alu instid0(VALU_DEP_1) | instskip(NEXT) | instid1(VALU_DEP_1)
	v_fma_f32 v10, v6, v9, v8
	v_fmac_f32_e32 v9, v10, v7
	s_delay_alu instid0(VALU_DEP_1) | instskip(NEXT) | instid1(VALU_DEP_1)
	v_dual_fmac_f32 v8, v6, v9 :: v_dual_mov_b32 v6, v3
	v_div_fmas_f32 v8, v8, v7, v9
	s_delay_alu instid0(VALU_DEP_2) | instskip(NEXT) | instid1(VALU_DEP_2)
	v_pk_fma_f32 v[6:7], v[4:5], v[2:3], v[6:7]
	v_div_fixup_f32 v7, v8, v5, 1.0
	s_delay_alu instid0(VALU_DEP_1) | instskip(NEXT) | instid1(VALU_DEP_1)
	v_dual_fma_f32 v5, v4, v3, -v2 :: v_dual_mov_b32 v4, v7
	v_pk_mul_f32 v[4:5], v[6:7], v[4:5]
.LBB137_96:                             ;   in Loop: Header=BB137_3 Depth=1
	s_and_not1_b32 vcc_lo, exec_lo, s3
	s_cbranch_vccnz .LBB137_98
; %bb.97:                               ;   in Loop: Header=BB137_3 Depth=1
	v_div_scale_f32 v4, null, v0, v0, v1
	v_div_scale_f32 v7, vcc_lo, v1, v0, v1
	s_delay_alu instid0(VALU_DEP_2)
	v_rcp_f32_e32 v5, v4
	v_nop
	v_xor_b32_e32 v4, 0x80000000, v4
	s_delay_alu instid0(TRANS32_DEP_1) | instid1(VALU_DEP_1)
	v_fma_f32 v6, v4, v5, 1.0
	s_delay_alu instid0(VALU_DEP_1) | instskip(NEXT) | instid1(VALU_DEP_1)
	v_fmac_f32_e32 v5, v6, v5
	v_mul_f32_e32 v6, v7, v5
	s_delay_alu instid0(VALU_DEP_1) | instskip(NEXT) | instid1(VALU_DEP_1)
	v_fma_f32 v8, v4, v6, v7
	v_fmac_f32_e32 v6, v8, v5
	s_delay_alu instid0(VALU_DEP_1) | instskip(NEXT) | instid1(VALU_DEP_1)
	v_fmac_f32_e32 v7, v4, v6
	v_div_fmas_f32 v4, v7, v5, v6
	s_delay_alu instid0(VALU_DEP_1) | instskip(NEXT) | instid1(VALU_DEP_1)
	v_div_fixup_f32 v4, v4, v0, v1
	v_fmac_f32_e32 v0, v1, v4
	s_delay_alu instid0(VALU_DEP_1) | instskip(SKIP_1) | instid1(VALU_DEP_2)
	v_div_scale_f32 v1, null, v0, v0, 1.0
	v_div_scale_f32 v7, vcc_lo, 1.0, v0, 1.0
	v_rcp_f32_e32 v5, v1
	v_nop
	v_xor_b32_e32 v1, 0x80000000, v1
	s_delay_alu instid0(TRANS32_DEP_1) | instid1(VALU_DEP_1)
	v_fma_f32 v6, v1, v5, 1.0
	s_delay_alu instid0(VALU_DEP_1) | instskip(NEXT) | instid1(VALU_DEP_1)
	v_fmac_f32_e32 v5, v6, v5
	v_mul_f32_e32 v6, v7, v5
	s_delay_alu instid0(VALU_DEP_1) | instskip(NEXT) | instid1(VALU_DEP_1)
	v_fma_f32 v8, v1, v6, v7
	v_fmac_f32_e32 v6, v8, v5
	s_delay_alu instid0(VALU_DEP_1) | instskip(NEXT) | instid1(VALU_DEP_1)
	v_fmac_f32_e32 v7, v1, v6
	v_div_fmas_f32 v1, v7, v5, v6
	v_pk_fma_f32 v[6:7], v[4:5], v[2:3], v[2:3] op_sel:[0,1,0] op_sel_hi:[0,0,1] neg_lo:[1,0,0] neg_hi:[1,0,0]
	v_pk_fma_f32 v[2:3], v[4:5], v[2:3], v[2:3] op_sel:[0,1,0] op_sel_hi:[1,0,1]
	s_delay_alu instid0(VALU_DEP_3) | instskip(NEXT) | instid1(VALU_DEP_3)
	v_div_fixup_f32 v0, v1, v0, 1.0
	v_mov_b32_e32 v3, v7
	s_delay_alu instid0(VALU_DEP_1)
	v_pk_mul_f32 v[4:5], v[2:3], v[0:1] op_sel_hi:[1,0]
.LBB137_98:                             ;   in Loop: Header=BB137_3 Depth=1
	s_mov_b32 s3, s60
	ds_store_b64 v30, v[4:5]
.LBB137_99:                             ;   in Loop: Header=BB137_3 Depth=1
	s_cmp_lt_i32 s3, 0
	s_cbranch_scc1 .LBB137_108
; %bb.100:                              ;   in Loop: Header=BB137_3 Depth=1
	s_lshl_b32 s18, s3, 5
	s_delay_alu instid0(SALU_CYCLE_1)
	s_add_co_i32 s18, s66, s18
	s_branch .LBB137_102
.LBB137_101:                            ;   in Loop: Header=BB137_102 Depth=2
	v_sub_co_u32 v0, s30, s3, 1
	s_and_b32 vcc_lo, exec_lo, s30
	s_sub_co_i32 s18, s18, 32
	ds_store_b64 v6, v[4:5]
	v_readfirstlane_b32 s3, v0
	s_cbranch_vccnz .LBB137_108
.LBB137_102:                            ;   Parent Loop BB137_3 Depth=1
                                        ; =>  This Loop Header: Depth=2
                                        ;       Child Loop BB137_103 Depth 3
	v_lshl_add_u32 v6, s3, 5, v26
	v_mov_b32_e32 v2, v13
	s_cmp_le_i32 s37, s3
	s_mov_b32 s30, s18
	s_mov_b32 s31, s37
	ds_load_b64 v[0:1], v6
	s_cbranch_scc1 .LBB137_104
.LBB137_103:                            ;   Parent Loop BB137_3 Depth=1
                                        ;     Parent Loop BB137_102 Depth=2
                                        ; =>    This Inner Loop Header: Depth=3
	v_mov_b32_e32 v3, s30
	s_add_co_i32 s31, s31, -1
	s_add_co_i32 s30, s30, -8
	s_cmp_le_u32 s31, s3
	ds_load_b64 v[4:5], v2
	ds_load_b64 v[8:9], v3
	v_subrev_nc_u32_e32 v2, 32, v2
	s_wait_dscnt 0x0
	v_pk_mul_f32 v[10:11], v[8:9], v[4:5] op_sel:[1,1] op_sel_hi:[0,1]
	s_delay_alu instid0(VALU_DEP_1) | instskip(SKIP_1) | instid1(VALU_DEP_2)
	v_pk_fma_f32 v[24:25], v[8:9], v[4:5], v[10:11] op_sel_hi:[1,0,1]
	v_pk_fma_f32 v[4:5], v[8:9], v[4:5], v[10:11] op_sel_hi:[1,0,1] neg_lo:[0,0,1] neg_hi:[0,0,1]
	v_mov_b32_e32 v5, v25
	s_delay_alu instid0(VALU_DEP_1)
	v_pk_add_f32 v[0:1], v[0:1], v[4:5] neg_lo:[0,1] neg_hi:[0,1]
	s_cbranch_scc0 .LBB137_103
.LBB137_104:                            ;   in Loop: Header=BB137_102 Depth=2
	s_mul_i32 s30, s3, 40
	s_delay_alu instid0(SALU_CYCLE_1)
	v_mov_b32_e32 v2, s30
	s_mov_b32 s30, -1
	ds_load_b64 v[2:3], v2
	s_wait_dscnt 0x0
	v_and_b32_e32 v4, 0x7fffffff, v2
	v_and_b32_e32 v5, 0x7fffffff, v3
	s_delay_alu instid0(VALU_DEP_1)
	v_cmp_ngt_f32_e32 vcc_lo, v4, v5
                                        ; implicit-def: $vgpr4_vgpr5
	s_cbranch_vccz .LBB137_106
; %bb.105:                              ;   in Loop: Header=BB137_102 Depth=2
	v_div_scale_f32 v4, null, v3, v3, v2
	v_div_scale_f32 v8, vcc_lo, v2, v3, v2
	s_mov_b32 s30, 0
	v_rcp_f32_e32 v5, v4
	v_nop
	v_xor_b32_e32 v4, 0x80000000, v4
	s_delay_alu instid0(TRANS32_DEP_1) | instid1(VALU_DEP_1)
	v_fma_f32 v7, v4, v5, 1.0
	s_delay_alu instid0(VALU_DEP_1) | instskip(NEXT) | instid1(VALU_DEP_1)
	v_fmac_f32_e32 v5, v7, v5
	v_mul_f32_e32 v7, v8, v5
	s_delay_alu instid0(VALU_DEP_1) | instskip(NEXT) | instid1(VALU_DEP_1)
	v_fma_f32 v9, v4, v7, v8
	v_fmac_f32_e32 v7, v9, v5
	s_delay_alu instid0(VALU_DEP_1) | instskip(NEXT) | instid1(VALU_DEP_1)
	v_fmac_f32_e32 v8, v4, v7
	v_div_fmas_f32 v4, v8, v5, v7
	s_delay_alu instid0(VALU_DEP_1) | instskip(NEXT) | instid1(VALU_DEP_1)
	v_div_fixup_f32 v4, v4, v3, v2
	v_fma_f32 v7, v2, v4, v3
	s_delay_alu instid0(VALU_DEP_1) | instskip(SKIP_1) | instid1(VALU_DEP_2)
	v_div_scale_f32 v5, null, v7, v7, 1.0
	v_div_scale_f32 v10, vcc_lo, 1.0, v7, 1.0
	v_rcp_f32_e32 v8, v5
	v_nop
	v_xor_b32_e32 v5, 0x80000000, v5
	s_delay_alu instid0(TRANS32_DEP_1) | instid1(VALU_DEP_1)
	v_fma_f32 v9, v5, v8, 1.0
	s_delay_alu instid0(VALU_DEP_1) | instskip(NEXT) | instid1(VALU_DEP_1)
	v_fmac_f32_e32 v8, v9, v8
	v_mul_f32_e32 v9, v10, v8
	s_delay_alu instid0(VALU_DEP_1) | instskip(NEXT) | instid1(VALU_DEP_1)
	v_fma_f32 v11, v5, v9, v10
	v_fmac_f32_e32 v9, v11, v8
	s_delay_alu instid0(VALU_DEP_1) | instskip(NEXT) | instid1(VALU_DEP_1)
	v_fmac_f32_e32 v10, v5, v9
	v_div_fmas_f32 v10, v10, v8, v9
	v_pk_fma_f32 v[8:9], v[0:1], v[4:5], v[0:1] op_sel:[0,0,1] op_sel_hi:[1,0,0] neg_lo:[0,0,1] neg_hi:[0,0,1]
	v_pk_fma_f32 v[4:5], v[0:1], v[4:5], v[0:1] op_sel:[0,0,1] op_sel_hi:[1,0,0]
	s_delay_alu instid0(VALU_DEP_3) | instskip(NEXT) | instid1(VALU_DEP_3)
	v_div_fixup_f32 v8, v10, v7, 1.0
	v_mov_b32_e32 v5, v9
	s_delay_alu instid0(VALU_DEP_1)
	v_pk_mul_f32 v[4:5], v[4:5], v[8:9] op_sel_hi:[1,0]
.LBB137_106:                            ;   in Loop: Header=BB137_102 Depth=2
	s_and_not1_b32 vcc_lo, exec_lo, s30
	s_cbranch_vccnz .LBB137_101
; %bb.107:                              ;   in Loop: Header=BB137_102 Depth=2
	v_div_scale_f32 v4, null, v2, v2, v3
	v_div_scale_f32 v8, vcc_lo, v3, v2, v3
	s_delay_alu instid0(VALU_DEP_2)
	v_rcp_f32_e32 v5, v4
	v_nop
	v_xor_b32_e32 v4, 0x80000000, v4
	s_delay_alu instid0(TRANS32_DEP_1) | instid1(VALU_DEP_1)
	v_fma_f32 v7, v4, v5, 1.0
	s_delay_alu instid0(VALU_DEP_1) | instskip(NEXT) | instid1(VALU_DEP_1)
	v_fmac_f32_e32 v5, v7, v5
	v_mul_f32_e32 v7, v8, v5
	s_delay_alu instid0(VALU_DEP_1) | instskip(NEXT) | instid1(VALU_DEP_1)
	v_fma_f32 v9, v4, v7, v8
	v_fmac_f32_e32 v7, v9, v5
	s_delay_alu instid0(VALU_DEP_1) | instskip(NEXT) | instid1(VALU_DEP_1)
	v_fmac_f32_e32 v8, v4, v7
	v_div_fmas_f32 v4, v8, v5, v7
	s_delay_alu instid0(VALU_DEP_1) | instskip(NEXT) | instid1(VALU_DEP_1)
	v_div_fixup_f32 v4, v4, v2, v3
	v_fmac_f32_e32 v2, v3, v4
	s_delay_alu instid0(VALU_DEP_1) | instskip(SKIP_1) | instid1(VALU_DEP_2)
	v_div_scale_f32 v3, null, v2, v2, 1.0
	v_div_scale_f32 v8, vcc_lo, 1.0, v2, 1.0
	v_rcp_f32_e32 v5, v3
	v_nop
	v_xor_b32_e32 v3, 0x80000000, v3
	s_delay_alu instid0(TRANS32_DEP_1) | instid1(VALU_DEP_1)
	v_fma_f32 v7, v3, v5, 1.0
	s_delay_alu instid0(VALU_DEP_1) | instskip(NEXT) | instid1(VALU_DEP_1)
	v_fmac_f32_e32 v5, v7, v5
	v_mul_f32_e32 v7, v8, v5
	s_delay_alu instid0(VALU_DEP_1) | instskip(NEXT) | instid1(VALU_DEP_1)
	v_fma_f32 v9, v3, v7, v8
	v_fmac_f32_e32 v7, v9, v5
	s_delay_alu instid0(VALU_DEP_1) | instskip(NEXT) | instid1(VALU_DEP_1)
	v_fmac_f32_e32 v8, v3, v7
	v_div_fmas_f32 v3, v8, v5, v7
	v_pk_fma_f32 v[8:9], v[0:1], v[4:5], v[0:1] op_sel:[1,0,0] op_sel_hi:[0,0,1] neg_lo:[1,0,0] neg_hi:[1,0,0]
	v_pk_fma_f32 v[0:1], v[0:1], v[4:5], v[0:1] op_sel:[1,0,0] op_sel_hi:[0,0,1]
	s_delay_alu instid0(VALU_DEP_3) | instskip(NEXT) | instid1(VALU_DEP_3)
	v_div_fixup_f32 v2, v3, v2, 1.0
	v_mov_b32_e32 v1, v9
	s_delay_alu instid0(VALU_DEP_1)
	v_pk_mul_f32 v[4:5], v[0:1], v[2:3] op_sel_hi:[1,0]
	s_branch .LBB137_101
.LBB137_108:                            ;   in Loop: Header=BB137_3 Depth=1
	s_mov_b32 s3, 0
.LBB137_109:                            ;   in Loop: Header=BB137_3 Depth=1
	s_delay_alu instid0(SALU_CYCLE_1)
	s_and_not1_b32 vcc_lo, exec_lo, s3
	s_cbranch_vccnz .LBB137_137
; %bb.110:                              ;   in Loop: Header=BB137_3 Depth=1
	s_and_not1_b32 vcc_lo, exec_lo, s43
	s_mov_b32 s3, 0
	s_cbranch_vccnz .LBB137_128
; %bb.111:                              ;   in Loop: Header=BB137_3 Depth=1
	ds_load_b64 v[8:9], v15
	ds_load_2addr_b64 v[4:7], v26 offset1:4
	ds_load_2addr_b64 v[0:3], v26 offset0:8 offset1:12
	s_mov_b32 s3, -1
                                        ; implicit-def: $vgpr25
	s_wait_dscnt 0x2
	v_and_b32_e32 v10, 0x7fffffff, v8
	v_and_b32_e32 v11, 0x7fffffff, v9
	s_delay_alu instid0(VALU_DEP_1)
	v_cmp_ngt_f32_e32 vcc_lo, v10, v11
	s_cbranch_vccz .LBB137_113
; %bb.112:                              ;   in Loop: Header=BB137_3 Depth=1
	v_div_scale_f32 v10, null, v9, v9, v8
	v_div_scale_f32 v25, vcc_lo, v8, v9, v8
	s_mov_b32 s3, 0
	v_rcp_f32_e32 v11, v10
	v_nop
	v_xor_b32_e32 v10, 0x80000000, v10
	s_delay_alu instid0(TRANS32_DEP_1) | instid1(VALU_DEP_1)
	v_fma_f32 v24, v10, v11, 1.0
	s_delay_alu instid0(VALU_DEP_1) | instskip(NEXT) | instid1(VALU_DEP_1)
	v_fmac_f32_e32 v11, v24, v11
	v_mul_f32_e32 v24, v25, v11
	s_delay_alu instid0(VALU_DEP_1) | instskip(NEXT) | instid1(VALU_DEP_1)
	v_fma_f32 v32, v10, v24, v25
	v_fmac_f32_e32 v24, v32, v11
	s_delay_alu instid0(VALU_DEP_1) | instskip(NEXT) | instid1(VALU_DEP_1)
	v_fmac_f32_e32 v25, v10, v24
	v_div_fmas_f32 v10, v25, v11, v24
	s_delay_alu instid0(VALU_DEP_1) | instskip(NEXT) | instid1(VALU_DEP_1)
	v_div_fixup_f32 v10, v10, v9, v8
	v_fma_f32 v11, v8, v10, v9
	s_delay_alu instid0(VALU_DEP_1) | instskip(SKIP_1) | instid1(VALU_DEP_2)
	v_div_scale_f32 v24, null, v11, v11, 1.0
	v_div_scale_f32 v33, vcc_lo, 1.0, v11, 1.0
	v_rcp_f32_e32 v25, v24
	v_nop
	v_xor_b32_e32 v24, 0x80000000, v24
	s_delay_alu instid0(TRANS32_DEP_1) | instid1(VALU_DEP_1)
	v_fma_f32 v32, v24, v25, 1.0
	s_delay_alu instid0(VALU_DEP_1) | instskip(NEXT) | instid1(VALU_DEP_1)
	v_fmac_f32_e32 v25, v32, v25
	v_mul_f32_e32 v32, v33, v25
	s_delay_alu instid0(VALU_DEP_1) | instskip(NEXT) | instid1(VALU_DEP_1)
	v_fma_f32 v34, v24, v32, v33
	v_fmac_f32_e32 v32, v34, v25
	s_delay_alu instid0(VALU_DEP_1) | instskip(NEXT) | instid1(VALU_DEP_1)
	v_fmac_f32_e32 v33, v24, v32
	v_div_fmas_f32 v24, v33, v25, v32
	s_wait_dscnt 0x1
	v_dual_fma_f32 v25, v4, v10, v5 :: v_dual_fma_f32 v10, v5, v10, -v4
	s_delay_alu instid0(VALU_DEP_2) | instskip(NEXT) | instid1(VALU_DEP_1)
	v_div_fixup_f32 v11, v24, v11, 1.0
	v_dual_mul_f32 v24, v25, v11 :: v_dual_mul_f32 v25, v10, v11
.LBB137_113:                            ;   in Loop: Header=BB137_3 Depth=1
	s_and_not1_b32 vcc_lo, exec_lo, s3
	s_cbranch_vccnz .LBB137_115
; %bb.114:                              ;   in Loop: Header=BB137_3 Depth=1
	v_div_scale_f32 v10, null, v8, v8, v9
	v_div_scale_f32 v25, vcc_lo, v9, v8, v9
	s_delay_alu instid0(VALU_DEP_2)
	v_rcp_f32_e32 v11, v10
	v_nop
	v_xor_b32_e32 v10, 0x80000000, v10
	s_delay_alu instid0(TRANS32_DEP_1) | instid1(VALU_DEP_1)
	v_fma_f32 v24, v10, v11, 1.0
	s_delay_alu instid0(VALU_DEP_1) | instskip(NEXT) | instid1(VALU_DEP_1)
	v_fmac_f32_e32 v11, v24, v11
	v_mul_f32_e32 v24, v25, v11
	s_delay_alu instid0(VALU_DEP_1) | instskip(NEXT) | instid1(VALU_DEP_1)
	v_fma_f32 v32, v10, v24, v25
	v_fmac_f32_e32 v24, v32, v11
	s_delay_alu instid0(VALU_DEP_1) | instskip(NEXT) | instid1(VALU_DEP_1)
	v_fmac_f32_e32 v25, v10, v24
	v_div_fmas_f32 v10, v25, v11, v24
	s_delay_alu instid0(VALU_DEP_1) | instskip(NEXT) | instid1(VALU_DEP_1)
	v_div_fixup_f32 v10, v10, v8, v9
	v_fmac_f32_e32 v8, v9, v10
	s_delay_alu instid0(VALU_DEP_1) | instskip(SKIP_1) | instid1(VALU_DEP_2)
	v_div_scale_f32 v9, null, v8, v8, 1.0
	v_div_scale_f32 v25, vcc_lo, 1.0, v8, 1.0
	v_rcp_f32_e32 v11, v9
	v_nop
	v_xor_b32_e32 v9, 0x80000000, v9
	s_delay_alu instid0(TRANS32_DEP_1) | instid1(VALU_DEP_1)
	v_fma_f32 v24, v9, v11, 1.0
	s_delay_alu instid0(VALU_DEP_1) | instskip(NEXT) | instid1(VALU_DEP_1)
	v_fmac_f32_e32 v11, v24, v11
	v_mul_f32_e32 v24, v25, v11
	s_delay_alu instid0(VALU_DEP_1) | instskip(NEXT) | instid1(VALU_DEP_1)
	v_fma_f32 v32, v9, v24, v25
	v_fmac_f32_e32 v24, v32, v11
	s_delay_alu instid0(VALU_DEP_1) | instskip(NEXT) | instid1(VALU_DEP_1)
	v_fmac_f32_e32 v25, v9, v24
	v_div_fmas_f32 v9, v25, v11, v24
	s_wait_dscnt 0x1
	v_dual_fma_f32 v11, v5, v10, v4 :: v_dual_fma_f32 v4, -v4, v10, v5
	s_delay_alu instid0(VALU_DEP_2) | instskip(NEXT) | instid1(VALU_DEP_1)
	v_div_fixup_f32 v8, v9, v8, 1.0
	v_dual_mul_f32 v24, v11, v8 :: v_dual_mul_f32 v25, v4, v8
.LBB137_115:                            ;   in Loop: Header=BB137_3 Depth=1
	ds_load_b128 v[8:11], v15 offset:32
	s_mov_b32 s3, -1
	ds_store_b64 v26, v[24:25]
	s_wait_dscnt 0x1
	v_dual_mul_f32 v4, v25, v9 :: v_dual_mul_f32 v5, v24, v9
	v_and_b32_e32 v9, 0x7fffffff, v10
	v_and_b32_e32 v32, 0x7fffffff, v11
	s_delay_alu instid0(VALU_DEP_3) | instskip(NEXT) | instid1(VALU_DEP_2)
	v_dual_fma_f32 v4, v24, v8, -v4 :: v_dual_fmac_f32 v5, v25, v8
	v_cmp_ngt_f32_e32 vcc_lo, v9, v32
                                        ; implicit-def: $vgpr9
	s_delay_alu instid0(VALU_DEP_2)
	v_dual_sub_f32 v4, v6, v4 :: v_dual_sub_f32 v5, v7, v5
	s_cbranch_vccz .LBB137_117
; %bb.116:                              ;   in Loop: Header=BB137_3 Depth=1
	v_div_scale_f32 v6, null, v11, v11, v10
	v_div_scale_f32 v9, vcc_lo, v10, v11, v10
	s_mov_b32 s3, 0
	v_rcp_f32_e32 v7, v6
	v_nop
	v_xor_b32_e32 v6, 0x80000000, v6
	s_delay_alu instid0(TRANS32_DEP_1) | instid1(VALU_DEP_1)
	v_fma_f32 v8, v6, v7, 1.0
	s_delay_alu instid0(VALU_DEP_1) | instskip(NEXT) | instid1(VALU_DEP_1)
	v_fmac_f32_e32 v7, v8, v7
	v_mul_f32_e32 v8, v9, v7
	s_delay_alu instid0(VALU_DEP_1) | instskip(NEXT) | instid1(VALU_DEP_1)
	v_fma_f32 v32, v6, v8, v9
	v_fmac_f32_e32 v8, v32, v7
	s_delay_alu instid0(VALU_DEP_1) | instskip(NEXT) | instid1(VALU_DEP_1)
	v_fmac_f32_e32 v9, v6, v8
	v_div_fmas_f32 v6, v9, v7, v8
	s_delay_alu instid0(VALU_DEP_1) | instskip(NEXT) | instid1(VALU_DEP_1)
	v_div_fixup_f32 v6, v6, v11, v10
	v_fma_f32 v7, v10, v6, v11
	s_delay_alu instid0(VALU_DEP_1) | instskip(SKIP_1) | instid1(VALU_DEP_2)
	v_div_scale_f32 v8, null, v7, v7, 1.0
	v_div_scale_f32 v33, vcc_lo, 1.0, v7, 1.0
	v_rcp_f32_e32 v9, v8
	v_nop
	v_xor_b32_e32 v8, 0x80000000, v8
	s_delay_alu instid0(TRANS32_DEP_1) | instid1(VALU_DEP_1)
	v_fma_f32 v32, v8, v9, 1.0
	s_delay_alu instid0(VALU_DEP_1) | instskip(NEXT) | instid1(VALU_DEP_1)
	v_fmac_f32_e32 v9, v32, v9
	v_mul_f32_e32 v32, v33, v9
	s_delay_alu instid0(VALU_DEP_1) | instskip(NEXT) | instid1(VALU_DEP_1)
	v_fma_f32 v34, v8, v32, v33
	v_fmac_f32_e32 v32, v34, v9
	s_delay_alu instid0(VALU_DEP_1) | instskip(NEXT) | instid1(VALU_DEP_1)
	v_fmac_f32_e32 v33, v8, v32
	v_div_fmas_f32 v8, v33, v9, v32
	v_dual_fma_f32 v9, v6, v4, v5 :: v_dual_fma_f32 v6, v6, v5, -v4
	s_delay_alu instid0(VALU_DEP_2) | instskip(NEXT) | instid1(VALU_DEP_1)
	v_div_fixup_f32 v7, v8, v7, 1.0
	v_dual_mul_f32 v8, v9, v7 :: v_dual_mul_f32 v9, v6, v7
.LBB137_117:                            ;   in Loop: Header=BB137_3 Depth=1
	s_and_not1_b32 vcc_lo, exec_lo, s3
	s_cbranch_vccnz .LBB137_119
; %bb.118:                              ;   in Loop: Header=BB137_3 Depth=1
	v_div_scale_f32 v6, null, v10, v10, v11
	v_div_scale_f32 v9, vcc_lo, v11, v10, v11
	s_delay_alu instid0(VALU_DEP_2)
	v_rcp_f32_e32 v7, v6
	v_nop
	v_xor_b32_e32 v6, 0x80000000, v6
	s_delay_alu instid0(TRANS32_DEP_1) | instid1(VALU_DEP_1)
	v_fma_f32 v8, v6, v7, 1.0
	s_delay_alu instid0(VALU_DEP_1) | instskip(NEXT) | instid1(VALU_DEP_1)
	v_fmac_f32_e32 v7, v8, v7
	v_mul_f32_e32 v8, v9, v7
	s_delay_alu instid0(VALU_DEP_1) | instskip(NEXT) | instid1(VALU_DEP_1)
	v_fma_f32 v32, v6, v8, v9
	v_fmac_f32_e32 v8, v32, v7
	s_delay_alu instid0(VALU_DEP_1) | instskip(NEXT) | instid1(VALU_DEP_1)
	v_fmac_f32_e32 v9, v6, v8
	v_div_fmas_f32 v6, v9, v7, v8
	s_delay_alu instid0(VALU_DEP_1) | instskip(NEXT) | instid1(VALU_DEP_1)
	v_div_fixup_f32 v6, v6, v10, v11
	v_fmac_f32_e32 v10, v11, v6
	s_delay_alu instid0(VALU_DEP_1) | instskip(SKIP_1) | instid1(VALU_DEP_2)
	v_div_scale_f32 v7, null, v10, v10, 1.0
	v_div_scale_f32 v11, vcc_lo, 1.0, v10, 1.0
	v_rcp_f32_e32 v8, v7
	v_nop
	v_xor_b32_e32 v7, 0x80000000, v7
	s_delay_alu instid0(TRANS32_DEP_1) | instid1(VALU_DEP_1)
	v_fma_f32 v9, v7, v8, 1.0
	s_delay_alu instid0(VALU_DEP_1) | instskip(NEXT) | instid1(VALU_DEP_1)
	v_fmac_f32_e32 v8, v9, v8
	v_mul_f32_e32 v9, v11, v8
	s_delay_alu instid0(VALU_DEP_1) | instskip(NEXT) | instid1(VALU_DEP_1)
	v_fma_f32 v32, v7, v9, v11
	v_fmac_f32_e32 v9, v32, v8
	s_delay_alu instid0(VALU_DEP_1) | instskip(NEXT) | instid1(VALU_DEP_1)
	v_fmac_f32_e32 v11, v7, v9
	v_div_fmas_f32 v7, v11, v8, v9
	v_dual_fma_f32 v8, v6, v5, v4 :: v_dual_fma_f32 v4, -v6, v4, v5
	s_delay_alu instid0(VALU_DEP_2) | instskip(NEXT) | instid1(VALU_DEP_1)
	v_div_fixup_f32 v7, v7, v10, 1.0
	v_mul_f32_e32 v8, v8, v7
	s_delay_alu instid0(VALU_DEP_3)
	v_mul_f32_e32 v9, v4, v7
.LBB137_119:                            ;   in Loop: Header=BB137_3 Depth=1
	ds_load_b128 v[32:35], v15 offset:64
	ds_load_b64 v[4:5], v15 offset:80
	s_mov_b32 s3, -1
	ds_store_b64 v26, v[8:9] offset:32
	s_wait_dscnt 0x2
	v_dual_mul_f32 v6, v25, v33 :: v_dual_mul_f32 v7, v24, v33
	v_dual_mul_f32 v10, v9, v35 :: v_dual_mul_f32 v11, v8, v35
	s_wait_dscnt 0x1
	v_and_b32_e32 v33, 0x7fffffff, v4
	s_delay_alu instid0(VALU_DEP_3) | instskip(SKIP_2) | instid1(VALU_DEP_3)
	v_dual_fma_f32 v6, v24, v32, -v6 :: v_dual_fmac_f32 v7, v25, v32
	v_and_b32_e32 v32, 0x7fffffff, v5
	v_dual_fma_f32 v10, v8, v34, -v10 :: v_dual_fmac_f32 v11, v9, v34
	v_dual_sub_f32 v0, v0, v6 :: v_dual_sub_f32 v1, v1, v7
	s_delay_alu instid0(VALU_DEP_3) | instskip(NEXT) | instid1(VALU_DEP_2)
	v_cmp_ngt_f32_e32 vcc_lo, v33, v32
	v_dual_sub_f32 v0, v0, v10 :: v_dual_sub_f32 v1, v1, v11
                                        ; implicit-def: $vgpr11
	s_cbranch_vccz .LBB137_121
; %bb.120:                              ;   in Loop: Header=BB137_3 Depth=1
	v_div_scale_f32 v6, null, v5, v5, v4
	v_div_scale_f32 v11, vcc_lo, v4, v5, v4
	s_mov_b32 s3, 0
	v_rcp_f32_e32 v7, v6
	v_nop
	v_xor_b32_e32 v6, 0x80000000, v6
	s_delay_alu instid0(TRANS32_DEP_1) | instid1(VALU_DEP_1)
	v_fma_f32 v10, v6, v7, 1.0
	s_delay_alu instid0(VALU_DEP_1) | instskip(NEXT) | instid1(VALU_DEP_1)
	v_fmac_f32_e32 v7, v10, v7
	v_mul_f32_e32 v10, v11, v7
	s_delay_alu instid0(VALU_DEP_1) | instskip(NEXT) | instid1(VALU_DEP_1)
	v_fma_f32 v32, v6, v10, v11
	v_fmac_f32_e32 v10, v32, v7
	s_delay_alu instid0(VALU_DEP_1) | instskip(NEXT) | instid1(VALU_DEP_1)
	v_fmac_f32_e32 v11, v6, v10
	v_div_fmas_f32 v6, v11, v7, v10
	s_delay_alu instid0(VALU_DEP_1) | instskip(NEXT) | instid1(VALU_DEP_1)
	v_div_fixup_f32 v6, v6, v5, v4
	v_fma_f32 v7, v4, v6, v5
	s_delay_alu instid0(VALU_DEP_1) | instskip(SKIP_1) | instid1(VALU_DEP_2)
	v_div_scale_f32 v10, null, v7, v7, 1.0
	v_div_scale_f32 v33, vcc_lo, 1.0, v7, 1.0
	v_rcp_f32_e32 v11, v10
	v_nop
	v_xor_b32_e32 v10, 0x80000000, v10
	s_delay_alu instid0(TRANS32_DEP_1) | instid1(VALU_DEP_1)
	v_fma_f32 v32, v10, v11, 1.0
	s_delay_alu instid0(VALU_DEP_1) | instskip(NEXT) | instid1(VALU_DEP_1)
	v_fmac_f32_e32 v11, v32, v11
	v_mul_f32_e32 v32, v33, v11
	s_delay_alu instid0(VALU_DEP_1) | instskip(NEXT) | instid1(VALU_DEP_1)
	v_fma_f32 v34, v10, v32, v33
	v_fmac_f32_e32 v32, v34, v11
	s_delay_alu instid0(VALU_DEP_1) | instskip(NEXT) | instid1(VALU_DEP_1)
	v_fmac_f32_e32 v33, v10, v32
	v_div_fmas_f32 v10, v33, v11, v32
	v_dual_fma_f32 v11, v6, v0, v1 :: v_dual_fma_f32 v6, v6, v1, -v0
	s_delay_alu instid0(VALU_DEP_2) | instskip(NEXT) | instid1(VALU_DEP_1)
	v_div_fixup_f32 v7, v10, v7, 1.0
	v_dual_mul_f32 v10, v11, v7 :: v_dual_mul_f32 v11, v6, v7
.LBB137_121:                            ;   in Loop: Header=BB137_3 Depth=1
	s_and_not1_b32 vcc_lo, exec_lo, s3
	s_cbranch_vccnz .LBB137_123
; %bb.122:                              ;   in Loop: Header=BB137_3 Depth=1
	v_div_scale_f32 v6, null, v4, v4, v5
	v_div_scale_f32 v11, vcc_lo, v5, v4, v5
	s_delay_alu instid0(VALU_DEP_2)
	v_rcp_f32_e32 v7, v6
	v_nop
	v_xor_b32_e32 v6, 0x80000000, v6
	s_delay_alu instid0(TRANS32_DEP_1) | instid1(VALU_DEP_1)
	v_fma_f32 v10, v6, v7, 1.0
	s_delay_alu instid0(VALU_DEP_1) | instskip(NEXT) | instid1(VALU_DEP_1)
	v_fmac_f32_e32 v7, v10, v7
	v_mul_f32_e32 v10, v11, v7
	s_delay_alu instid0(VALU_DEP_1) | instskip(NEXT) | instid1(VALU_DEP_1)
	v_fma_f32 v32, v6, v10, v11
	v_fmac_f32_e32 v10, v32, v7
	s_delay_alu instid0(VALU_DEP_1) | instskip(NEXT) | instid1(VALU_DEP_1)
	v_fmac_f32_e32 v11, v6, v10
	v_div_fmas_f32 v6, v11, v7, v10
	s_delay_alu instid0(VALU_DEP_1) | instskip(NEXT) | instid1(VALU_DEP_1)
	v_div_fixup_f32 v6, v6, v4, v5
	v_fmac_f32_e32 v4, v5, v6
	s_delay_alu instid0(VALU_DEP_1) | instskip(SKIP_1) | instid1(VALU_DEP_2)
	v_div_scale_f32 v5, null, v4, v4, 1.0
	v_div_scale_f32 v11, vcc_lo, 1.0, v4, 1.0
	v_rcp_f32_e32 v7, v5
	v_nop
	v_xor_b32_e32 v5, 0x80000000, v5
	s_delay_alu instid0(TRANS32_DEP_1) | instid1(VALU_DEP_1)
	v_fma_f32 v10, v5, v7, 1.0
	s_delay_alu instid0(VALU_DEP_1) | instskip(NEXT) | instid1(VALU_DEP_1)
	v_fmac_f32_e32 v7, v10, v7
	v_mul_f32_e32 v10, v11, v7
	s_delay_alu instid0(VALU_DEP_1) | instskip(NEXT) | instid1(VALU_DEP_1)
	v_fma_f32 v32, v5, v10, v11
	v_fmac_f32_e32 v10, v32, v7
	s_delay_alu instid0(VALU_DEP_1) | instskip(NEXT) | instid1(VALU_DEP_1)
	v_fmac_f32_e32 v11, v5, v10
	v_div_fmas_f32 v5, v11, v7, v10
	v_dual_fma_f32 v7, v6, v1, v0 :: v_dual_fma_f32 v0, -v6, v0, v1
	s_delay_alu instid0(VALU_DEP_2) | instskip(NEXT) | instid1(VALU_DEP_1)
	v_div_fixup_f32 v4, v5, v4, 1.0
	v_dual_mul_f32 v10, v7, v4 :: v_dual_mul_f32 v11, v0, v4
.LBB137_123:                            ;   in Loop: Header=BB137_3 Depth=1
	ds_load_b128 v[32:35], v15 offset:96
	ds_load_b128 v[4:7], v15 offset:112
	v_dual_mov_b32 v0, v25 :: v_dual_mov_b32 v36, v9
	s_mov_b32 s3, -1
	ds_store_b64 v26, v[10:11] offset:64
	s_wait_dscnt 0x2
	v_pk_mul_f32 v[0:1], v[0:1], v[32:33] op_sel:[0,1] op_sel_hi:[0,0]
	v_dual_mov_b32 v38, v35 :: v_dual_mov_b32 v39, v34
	s_delay_alu instid0(VALU_DEP_2) | instskip(SKIP_1) | instid1(VALU_DEP_3)
	v_pk_fma_f32 v[40:41], v[24:25], v[32:33], v[0:1] op_sel_hi:[0,1,1]
	v_pk_fma_f32 v[0:1], v[24:25], v[32:33], v[0:1] neg_lo:[0,0,1] neg_hi:[0,0,1]
	v_pk_mul_f32 v[36:37], v[36:37], v[38:39] op_sel_hi:[0,1]
	s_delay_alu instid0(VALU_DEP_3) | instskip(NEXT) | instid1(VALU_DEP_2)
	v_dual_mov_b32 v38, v11 :: v_dual_mov_b32 v1, v41
	v_pk_fma_f32 v[24:25], v[8:9], v[34:35], v[36:37] op_sel_hi:[0,1,1]
	s_wait_dscnt 0x1
	s_delay_alu instid0(VALU_DEP_2) | instskip(SKIP_3) | instid1(VALU_DEP_4)
	v_pk_mul_f32 v[32:33], v[38:39], v[4:5] op_sel:[0,1] op_sel_hi:[0,0]
	v_pk_fma_f32 v[8:9], v[8:9], v[34:35], v[36:37] neg_lo:[0,0,1] neg_hi:[0,0,1]
	v_pk_add_f32 v[0:1], v[2:3], v[0:1] neg_lo:[0,1] neg_hi:[0,1]
	v_and_b32_e32 v24, 0x7fffffff, v7
	v_pk_fma_f32 v[2:3], v[10:11], v[4:5], v[32:33] op_sel_hi:[0,1,1]
	v_mov_b32_e32 v9, v25
	v_and_b32_e32 v2, 0x7fffffff, v6
	v_pk_fma_f32 v[4:5], v[10:11], v[4:5], v[32:33] neg_lo:[0,0,1] neg_hi:[0,0,1]
	s_delay_alu instid0(VALU_DEP_4) | instskip(NEXT) | instid1(VALU_DEP_4)
	v_mov_b32_e32 v5, v3
	v_pk_add_f32 v[0:1], v[0:1], v[8:9] neg_lo:[0,1] neg_hi:[0,1]
	s_delay_alu instid0(VALU_DEP_4) | instskip(NEXT) | instid1(VALU_DEP_2)
	v_cmp_ngt_f32_e32 vcc_lo, v2, v24
                                        ; implicit-def: $vgpr2_vgpr3
	v_pk_add_f32 v[0:1], v[0:1], v[4:5] neg_lo:[0,1] neg_hi:[0,1]
	s_cbranch_vccz .LBB137_125
; %bb.124:                              ;   in Loop: Header=BB137_3 Depth=1
	v_div_scale_f32 v2, null, v7, v7, v6
	v_div_scale_f32 v5, vcc_lo, v6, v7, v6
	s_mov_b32 s3, 0
	v_rcp_f32_e32 v3, v2
	v_nop
	v_xor_b32_e32 v2, 0x80000000, v2
	s_delay_alu instid0(TRANS32_DEP_1) | instid1(VALU_DEP_1)
	v_fma_f32 v4, v2, v3, 1.0
	s_delay_alu instid0(VALU_DEP_1) | instskip(NEXT) | instid1(VALU_DEP_1)
	v_fmac_f32_e32 v3, v4, v3
	v_mul_f32_e32 v4, v5, v3
	s_delay_alu instid0(VALU_DEP_1) | instskip(NEXT) | instid1(VALU_DEP_1)
	v_fma_f32 v8, v2, v4, v5
	v_fmac_f32_e32 v4, v8, v3
	s_delay_alu instid0(VALU_DEP_1) | instskip(NEXT) | instid1(VALU_DEP_1)
	v_fmac_f32_e32 v5, v2, v4
	v_div_fmas_f32 v2, v5, v3, v4
	s_delay_alu instid0(VALU_DEP_1) | instskip(NEXT) | instid1(VALU_DEP_1)
	v_div_fixup_f32 v2, v2, v7, v6
	v_fma_f32 v3, v6, v2, v7
	s_delay_alu instid0(VALU_DEP_1) | instskip(NEXT) | instid1(VALU_DEP_1)
	v_div_scale_f32 v4, null, v3, v3, 1.0
	v_rcp_f32_e32 v5, v4
	v_nop
	v_xor_b32_e32 v4, 0x80000000, v4
	s_delay_alu instid0(TRANS32_DEP_1) | instid1(VALU_DEP_1)
	v_fma_f32 v8, v4, v5, 1.0
	s_delay_alu instid0(VALU_DEP_1) | instskip(SKIP_1) | instid1(VALU_DEP_1)
	v_fmac_f32_e32 v5, v8, v5
	v_div_scale_f32 v8, vcc_lo, 1.0, v3, 1.0
	v_mul_f32_e32 v9, v8, v5
	s_delay_alu instid0(VALU_DEP_1) | instskip(NEXT) | instid1(VALU_DEP_1)
	v_fma_f32 v10, v4, v9, v8
	v_fmac_f32_e32 v9, v10, v5
	s_delay_alu instid0(VALU_DEP_1) | instskip(NEXT) | instid1(VALU_DEP_1)
	v_dual_fmac_f32 v8, v4, v9 :: v_dual_mov_b32 v4, v1
	v_div_fmas_f32 v8, v8, v5, v9
	s_delay_alu instid0(VALU_DEP_2) | instskip(NEXT) | instid1(VALU_DEP_2)
	v_pk_fma_f32 v[4:5], v[2:3], v[0:1], v[4:5]
	v_div_fixup_f32 v5, v8, v3, 1.0
	s_delay_alu instid0(VALU_DEP_1) | instskip(NEXT) | instid1(VALU_DEP_1)
	v_dual_fma_f32 v3, v2, v1, -v0 :: v_dual_mov_b32 v2, v5
	v_pk_mul_f32 v[2:3], v[4:5], v[2:3]
.LBB137_125:                            ;   in Loop: Header=BB137_3 Depth=1
	s_and_not1_b32 vcc_lo, exec_lo, s3
	s_cbranch_vccnz .LBB137_127
; %bb.126:                              ;   in Loop: Header=BB137_3 Depth=1
	v_div_scale_f32 v2, null, v6, v6, v7
	v_div_scale_f32 v5, vcc_lo, v7, v6, v7
	s_delay_alu instid0(VALU_DEP_2)
	v_rcp_f32_e32 v3, v2
	v_nop
	v_xor_b32_e32 v2, 0x80000000, v2
	s_delay_alu instid0(TRANS32_DEP_1) | instid1(VALU_DEP_1)
	v_fma_f32 v4, v2, v3, 1.0
	s_delay_alu instid0(VALU_DEP_1) | instskip(NEXT) | instid1(VALU_DEP_1)
	v_fmac_f32_e32 v3, v4, v3
	v_mul_f32_e32 v4, v5, v3
	s_delay_alu instid0(VALU_DEP_1) | instskip(NEXT) | instid1(VALU_DEP_1)
	v_fma_f32 v8, v2, v4, v5
	v_fmac_f32_e32 v4, v8, v3
	s_delay_alu instid0(VALU_DEP_1) | instskip(NEXT) | instid1(VALU_DEP_1)
	v_fmac_f32_e32 v5, v2, v4
	v_div_fmas_f32 v2, v5, v3, v4
	s_delay_alu instid0(VALU_DEP_1) | instskip(NEXT) | instid1(VALU_DEP_1)
	v_div_fixup_f32 v2, v2, v6, v7
	v_fmac_f32_e32 v6, v7, v2
	s_delay_alu instid0(VALU_DEP_1) | instskip(SKIP_1) | instid1(VALU_DEP_2)
	v_div_scale_f32 v3, null, v6, v6, 1.0
	v_div_scale_f32 v7, vcc_lo, 1.0, v6, 1.0
	v_rcp_f32_e32 v4, v3
	v_nop
	v_xor_b32_e32 v3, 0x80000000, v3
	s_delay_alu instid0(TRANS32_DEP_1) | instid1(VALU_DEP_1)
	v_fma_f32 v5, v3, v4, 1.0
	s_delay_alu instid0(VALU_DEP_1) | instskip(NEXT) | instid1(VALU_DEP_1)
	v_fmac_f32_e32 v4, v5, v4
	v_mul_f32_e32 v5, v7, v4
	s_delay_alu instid0(VALU_DEP_1) | instskip(NEXT) | instid1(VALU_DEP_1)
	v_fma_f32 v8, v3, v5, v7
	v_fmac_f32_e32 v5, v8, v4
	s_delay_alu instid0(VALU_DEP_1) | instskip(NEXT) | instid1(VALU_DEP_1)
	v_fmac_f32_e32 v7, v3, v5
	v_div_fmas_f32 v3, v7, v4, v5
	s_delay_alu instid0(VALU_DEP_1) | instskip(SKIP_2) | instid1(VALU_DEP_3)
	v_pk_fma_f32 v[4:5], v[2:3], v[0:1], v[0:1] op_sel:[0,1,0] op_sel_hi:[0,0,1] neg_lo:[1,0,0] neg_hi:[1,0,0]
	v_pk_fma_f32 v[0:1], v[2:3], v[0:1], v[0:1] op_sel:[0,1,0] op_sel_hi:[1,0,1]
	v_div_fixup_f32 v2, v3, v6, 1.0
	v_mov_b32_e32 v1, v5
	s_delay_alu instid0(VALU_DEP_1)
	v_pk_mul_f32 v[2:3], v[0:1], v[2:3] op_sel_hi:[1,0]
.LBB137_127:                            ;   in Loop: Header=BB137_3 Depth=1
	s_mov_b32 s3, 4
	ds_store_b64 v26, v[2:3] offset:96
.LBB137_128:                            ;   in Loop: Header=BB137_3 Depth=1
	s_cmp_ge_i32 s3, s36
	s_cbranch_scc1 .LBB137_137
; %bb.129:                              ;   in Loop: Header=BB137_3 Depth=1
	s_lshl_b32 s18, s3, 5
	s_branch .LBB137_131
.LBB137_130:                            ;   in Loop: Header=BB137_131 Depth=2
	s_add_co_i32 s3, s3, 1
	s_add_co_i32 s18, s18, 32
	s_cmp_ge_i32 s3, s36
	ds_store_b64 v6, v[4:5]
	s_cbranch_scc1 .LBB137_137
.LBB137_131:                            ;   Parent Loop BB137_3 Depth=1
                                        ; =>  This Loop Header: Depth=2
                                        ;       Child Loop BB137_132 Depth 3
	v_lshl_add_u32 v6, s3, 5, v26
	v_mov_b32_e32 v2, v26
	s_cmp_eq_u32 s3, 0
	s_mov_b32 s30, s18
	s_mov_b32 s31, s3
	ds_load_b64 v[0:1], v6
	s_cbranch_scc1 .LBB137_133
.LBB137_132:                            ;   Parent Loop BB137_3 Depth=1
                                        ;     Parent Loop BB137_131 Depth=2
                                        ; =>    This Inner Loop Header: Depth=3
	v_mov_b32_e32 v3, s30
	s_add_co_i32 s31, s31, -1
	s_add_co_i32 s30, s30, 8
	s_cmp_eq_u32 s31, 0
	ds_load_b64 v[4:5], v2
	ds_load_b64 v[8:9], v3
	v_add_nc_u32_e32 v2, 32, v2
	s_wait_dscnt 0x0
	v_pk_mul_f32 v[10:11], v[8:9], v[4:5] op_sel:[1,1] op_sel_hi:[0,1]
	s_delay_alu instid0(VALU_DEP_1) | instskip(SKIP_1) | instid1(VALU_DEP_2)
	v_pk_fma_f32 v[24:25], v[8:9], v[4:5], v[10:11] op_sel_hi:[1,0,1]
	v_pk_fma_f32 v[4:5], v[8:9], v[4:5], v[10:11] op_sel_hi:[1,0,1] neg_lo:[0,0,1] neg_hi:[0,0,1]
	v_mov_b32_e32 v5, v25
	s_delay_alu instid0(VALU_DEP_1)
	v_pk_add_f32 v[0:1], v[0:1], v[4:5] neg_lo:[0,1] neg_hi:[0,1]
	s_cbranch_scc0 .LBB137_132
.LBB137_133:                            ;   in Loop: Header=BB137_131 Depth=2
	s_mul_i32 s30, s3, 40
	s_delay_alu instid0(SALU_CYCLE_1)
	v_mov_b32_e32 v2, s30
	s_mov_b32 s30, -1
	ds_load_b64 v[2:3], v2
	s_wait_dscnt 0x0
	v_and_b32_e32 v4, 0x7fffffff, v2
	v_and_b32_e32 v5, 0x7fffffff, v3
	s_delay_alu instid0(VALU_DEP_1)
	v_cmp_ngt_f32_e32 vcc_lo, v4, v5
                                        ; implicit-def: $vgpr4_vgpr5
	s_cbranch_vccz .LBB137_135
; %bb.134:                              ;   in Loop: Header=BB137_131 Depth=2
	v_div_scale_f32 v4, null, v3, v3, v2
	v_div_scale_f32 v8, vcc_lo, v2, v3, v2
	s_mov_b32 s30, 0
	v_rcp_f32_e32 v5, v4
	v_nop
	v_xor_b32_e32 v4, 0x80000000, v4
	s_delay_alu instid0(TRANS32_DEP_1) | instid1(VALU_DEP_1)
	v_fma_f32 v7, v4, v5, 1.0
	s_delay_alu instid0(VALU_DEP_1) | instskip(NEXT) | instid1(VALU_DEP_1)
	v_fmac_f32_e32 v5, v7, v5
	v_mul_f32_e32 v7, v8, v5
	s_delay_alu instid0(VALU_DEP_1) | instskip(NEXT) | instid1(VALU_DEP_1)
	v_fma_f32 v9, v4, v7, v8
	v_fmac_f32_e32 v7, v9, v5
	s_delay_alu instid0(VALU_DEP_1) | instskip(NEXT) | instid1(VALU_DEP_1)
	v_fmac_f32_e32 v8, v4, v7
	v_div_fmas_f32 v4, v8, v5, v7
	s_delay_alu instid0(VALU_DEP_1) | instskip(NEXT) | instid1(VALU_DEP_1)
	v_div_fixup_f32 v4, v4, v3, v2
	v_fma_f32 v7, v2, v4, v3
	s_delay_alu instid0(VALU_DEP_1) | instskip(SKIP_1) | instid1(VALU_DEP_2)
	v_div_scale_f32 v5, null, v7, v7, 1.0
	v_div_scale_f32 v10, vcc_lo, 1.0, v7, 1.0
	v_rcp_f32_e32 v8, v5
	v_nop
	v_xor_b32_e32 v5, 0x80000000, v5
	s_delay_alu instid0(TRANS32_DEP_1) | instid1(VALU_DEP_1)
	v_fma_f32 v9, v5, v8, 1.0
	s_delay_alu instid0(VALU_DEP_1) | instskip(NEXT) | instid1(VALU_DEP_1)
	v_fmac_f32_e32 v8, v9, v8
	v_mul_f32_e32 v9, v10, v8
	s_delay_alu instid0(VALU_DEP_1) | instskip(NEXT) | instid1(VALU_DEP_1)
	v_fma_f32 v11, v5, v9, v10
	v_fmac_f32_e32 v9, v11, v8
	s_delay_alu instid0(VALU_DEP_1) | instskip(NEXT) | instid1(VALU_DEP_1)
	v_fmac_f32_e32 v10, v5, v9
	v_div_fmas_f32 v10, v10, v8, v9
	v_pk_fma_f32 v[8:9], v[0:1], v[4:5], v[0:1] op_sel:[0,0,1] op_sel_hi:[1,0,0] neg_lo:[0,0,1] neg_hi:[0,0,1]
	v_pk_fma_f32 v[4:5], v[0:1], v[4:5], v[0:1] op_sel:[0,0,1] op_sel_hi:[1,0,0]
	s_delay_alu instid0(VALU_DEP_3) | instskip(NEXT) | instid1(VALU_DEP_3)
	v_div_fixup_f32 v8, v10, v7, 1.0
	v_mov_b32_e32 v5, v9
	s_delay_alu instid0(VALU_DEP_1)
	v_pk_mul_f32 v[4:5], v[4:5], v[8:9] op_sel_hi:[1,0]
.LBB137_135:                            ;   in Loop: Header=BB137_131 Depth=2
	s_and_not1_b32 vcc_lo, exec_lo, s30
	s_cbranch_vccnz .LBB137_130
; %bb.136:                              ;   in Loop: Header=BB137_131 Depth=2
	v_div_scale_f32 v4, null, v2, v2, v3
	v_div_scale_f32 v8, vcc_lo, v3, v2, v3
	s_delay_alu instid0(VALU_DEP_2)
	v_rcp_f32_e32 v5, v4
	v_nop
	v_xor_b32_e32 v4, 0x80000000, v4
	s_delay_alu instid0(TRANS32_DEP_1) | instid1(VALU_DEP_1)
	v_fma_f32 v7, v4, v5, 1.0
	s_delay_alu instid0(VALU_DEP_1) | instskip(NEXT) | instid1(VALU_DEP_1)
	v_fmac_f32_e32 v5, v7, v5
	v_mul_f32_e32 v7, v8, v5
	s_delay_alu instid0(VALU_DEP_1) | instskip(NEXT) | instid1(VALU_DEP_1)
	v_fma_f32 v9, v4, v7, v8
	v_fmac_f32_e32 v7, v9, v5
	s_delay_alu instid0(VALU_DEP_1) | instskip(NEXT) | instid1(VALU_DEP_1)
	v_fmac_f32_e32 v8, v4, v7
	v_div_fmas_f32 v4, v8, v5, v7
	s_delay_alu instid0(VALU_DEP_1) | instskip(NEXT) | instid1(VALU_DEP_1)
	v_div_fixup_f32 v4, v4, v2, v3
	v_fmac_f32_e32 v2, v3, v4
	s_delay_alu instid0(VALU_DEP_1) | instskip(SKIP_1) | instid1(VALU_DEP_2)
	v_div_scale_f32 v3, null, v2, v2, 1.0
	v_div_scale_f32 v8, vcc_lo, 1.0, v2, 1.0
	v_rcp_f32_e32 v5, v3
	v_nop
	v_xor_b32_e32 v3, 0x80000000, v3
	s_delay_alu instid0(TRANS32_DEP_1) | instid1(VALU_DEP_1)
	v_fma_f32 v7, v3, v5, 1.0
	s_delay_alu instid0(VALU_DEP_1) | instskip(NEXT) | instid1(VALU_DEP_1)
	v_fmac_f32_e32 v5, v7, v5
	v_mul_f32_e32 v7, v8, v5
	s_delay_alu instid0(VALU_DEP_1) | instskip(NEXT) | instid1(VALU_DEP_1)
	v_fma_f32 v9, v3, v7, v8
	v_fmac_f32_e32 v7, v9, v5
	s_delay_alu instid0(VALU_DEP_1) | instskip(NEXT) | instid1(VALU_DEP_1)
	v_fmac_f32_e32 v8, v3, v7
	v_div_fmas_f32 v3, v8, v5, v7
	v_pk_fma_f32 v[8:9], v[0:1], v[4:5], v[0:1] op_sel:[1,0,0] op_sel_hi:[0,0,1] neg_lo:[1,0,0] neg_hi:[1,0,0]
	v_pk_fma_f32 v[0:1], v[0:1], v[4:5], v[0:1] op_sel:[1,0,0] op_sel_hi:[0,0,1]
	s_delay_alu instid0(VALU_DEP_3) | instskip(NEXT) | instid1(VALU_DEP_3)
	v_div_fixup_f32 v2, v3, v2, 1.0
	v_mov_b32_e32 v1, v9
	s_delay_alu instid0(VALU_DEP_1)
	v_pk_mul_f32 v[4:5], v[0:1], v[2:3] op_sel_hi:[1,0]
	s_branch .LBB137_130
.LBB137_137:                            ;   in Loop: Header=BB137_3 Depth=1
	s_and_saveexec_b32 s3, s44
	s_cbranch_execz .LBB137_2
; %bb.138:                              ;   in Loop: Header=BB137_3 Depth=1
	v_add_nc_u64_e32 v[0:1], s[28:29], v[16:17]
	v_mov_b32_e32 v2, v26
	s_mov_b32 s18, s16
.LBB137_139:                            ;   Parent Loop BB137_3 Depth=1
                                        ; =>  This Inner Loop Header: Depth=2
	ds_load_b64 v[4:5], v2
	v_add_nc_u32_e32 v2, 32, v2
	s_add_co_i32 s18, s18, -1
	s_delay_alu instid0(SALU_CYCLE_1)
	s_cmp_lg_u32 s18, 0
	s_wait_dscnt 0x0
	global_store_b64 v[0:1], v[4:5], off
	s_wait_xcnt 0x0
	v_add_nc_u64_e32 v[0:1], s[24:25], v[0:1]
	s_cbranch_scc1 .LBB137_139
	s_branch .LBB137_2
.LBB137_140:
	s_endpgm
	.section	.rodata,"a",@progbits
	.p2align	6, 0x0
	.amdhsa_kernel _ZL31rocblas_trsm_small_right_deviceI19rocblas_complex_numIfES1_PKS1_PS1_Li4EEv13rocblas_fill_18rocblas_operation_17rocblas_diagonal_iiT0_T1_lilT2_lili
		.amdhsa_group_segment_fixed_size 256
		.amdhsa_private_segment_fixed_size 0
		.amdhsa_kernarg_size 360
		.amdhsa_user_sgpr_count 2
		.amdhsa_user_sgpr_dispatch_ptr 0
		.amdhsa_user_sgpr_queue_ptr 0
		.amdhsa_user_sgpr_kernarg_segment_ptr 1
		.amdhsa_user_sgpr_dispatch_id 0
		.amdhsa_user_sgpr_kernarg_preload_length 0
		.amdhsa_user_sgpr_kernarg_preload_offset 0
		.amdhsa_user_sgpr_private_segment_size 0
		.amdhsa_wavefront_size32 1
		.amdhsa_uses_dynamic_stack 0
		.amdhsa_enable_private_segment 0
		.amdhsa_system_sgpr_workgroup_id_x 1
		.amdhsa_system_sgpr_workgroup_id_y 0
		.amdhsa_system_sgpr_workgroup_id_z 1
		.amdhsa_system_sgpr_workgroup_info 0
		.amdhsa_system_vgpr_workitem_id 0
		.amdhsa_next_free_vgpr 46
		.amdhsa_next_free_sgpr 69
		.amdhsa_named_barrier_count 0
		.amdhsa_reserve_vcc 1
		.amdhsa_float_round_mode_32 0
		.amdhsa_float_round_mode_16_64 0
		.amdhsa_float_denorm_mode_32 3
		.amdhsa_float_denorm_mode_16_64 3
		.amdhsa_fp16_overflow 0
		.amdhsa_memory_ordered 1
		.amdhsa_forward_progress 1
		.amdhsa_inst_pref_size 113
		.amdhsa_round_robin_scheduling 0
		.amdhsa_exception_fp_ieee_invalid_op 0
		.amdhsa_exception_fp_denorm_src 0
		.amdhsa_exception_fp_ieee_div_zero 0
		.amdhsa_exception_fp_ieee_overflow 0
		.amdhsa_exception_fp_ieee_underflow 0
		.amdhsa_exception_fp_ieee_inexact 0
		.amdhsa_exception_int_div_zero 0
	.end_amdhsa_kernel
	.section	.text._ZL31rocblas_trsm_small_right_deviceI19rocblas_complex_numIfES1_PKS1_PS1_Li4EEv13rocblas_fill_18rocblas_operation_17rocblas_diagonal_iiT0_T1_lilT2_lili,"axG",@progbits,_ZL31rocblas_trsm_small_right_deviceI19rocblas_complex_numIfES1_PKS1_PS1_Li4EEv13rocblas_fill_18rocblas_operation_17rocblas_diagonal_iiT0_T1_lilT2_lili,comdat
.Lfunc_end137:
	.size	_ZL31rocblas_trsm_small_right_deviceI19rocblas_complex_numIfES1_PKS1_PS1_Li4EEv13rocblas_fill_18rocblas_operation_17rocblas_diagonal_iiT0_T1_lilT2_lili, .Lfunc_end137-_ZL31rocblas_trsm_small_right_deviceI19rocblas_complex_numIfES1_PKS1_PS1_Li4EEv13rocblas_fill_18rocblas_operation_17rocblas_diagonal_iiT0_T1_lilT2_lili
                                        ; -- End function
	.set _ZL31rocblas_trsm_small_right_deviceI19rocblas_complex_numIfES1_PKS1_PS1_Li4EEv13rocblas_fill_18rocblas_operation_17rocblas_diagonal_iiT0_T1_lilT2_lili.num_vgpr, 46
	.set _ZL31rocblas_trsm_small_right_deviceI19rocblas_complex_numIfES1_PKS1_PS1_Li4EEv13rocblas_fill_18rocblas_operation_17rocblas_diagonal_iiT0_T1_lilT2_lili.num_agpr, 0
	.set _ZL31rocblas_trsm_small_right_deviceI19rocblas_complex_numIfES1_PKS1_PS1_Li4EEv13rocblas_fill_18rocblas_operation_17rocblas_diagonal_iiT0_T1_lilT2_lili.numbered_sgpr, 69
	.set _ZL31rocblas_trsm_small_right_deviceI19rocblas_complex_numIfES1_PKS1_PS1_Li4EEv13rocblas_fill_18rocblas_operation_17rocblas_diagonal_iiT0_T1_lilT2_lili.num_named_barrier, 0
	.set _ZL31rocblas_trsm_small_right_deviceI19rocblas_complex_numIfES1_PKS1_PS1_Li4EEv13rocblas_fill_18rocblas_operation_17rocblas_diagonal_iiT0_T1_lilT2_lili.private_seg_size, 0
	.set _ZL31rocblas_trsm_small_right_deviceI19rocblas_complex_numIfES1_PKS1_PS1_Li4EEv13rocblas_fill_18rocblas_operation_17rocblas_diagonal_iiT0_T1_lilT2_lili.uses_vcc, 1
	.set _ZL31rocblas_trsm_small_right_deviceI19rocblas_complex_numIfES1_PKS1_PS1_Li4EEv13rocblas_fill_18rocblas_operation_17rocblas_diagonal_iiT0_T1_lilT2_lili.uses_flat_scratch, 0
	.set _ZL31rocblas_trsm_small_right_deviceI19rocblas_complex_numIfES1_PKS1_PS1_Li4EEv13rocblas_fill_18rocblas_operation_17rocblas_diagonal_iiT0_T1_lilT2_lili.has_dyn_sized_stack, 0
	.set _ZL31rocblas_trsm_small_right_deviceI19rocblas_complex_numIfES1_PKS1_PS1_Li4EEv13rocblas_fill_18rocblas_operation_17rocblas_diagonal_iiT0_T1_lilT2_lili.has_recursion, 0
	.set _ZL31rocblas_trsm_small_right_deviceI19rocblas_complex_numIfES1_PKS1_PS1_Li4EEv13rocblas_fill_18rocblas_operation_17rocblas_diagonal_iiT0_T1_lilT2_lili.has_indirect_call, 0
	.section	.AMDGPU.csdata,"",@progbits
; Kernel info:
; codeLenInByte = 14440
; TotalNumSgprs: 71
; NumVgprs: 46
; ScratchSize: 0
; MemoryBound: 0
; FloatMode: 240
; IeeeMode: 1
; LDSByteSize: 256 bytes/workgroup (compile time only)
; SGPRBlocks: 0
; VGPRBlocks: 2
; NumSGPRsForWavesPerEU: 71
; NumVGPRsForWavesPerEU: 46
; NamedBarCnt: 0
; Occupancy: 16
; WaveLimiterHint : 0
; COMPUTE_PGM_RSRC2:SCRATCH_EN: 0
; COMPUTE_PGM_RSRC2:USER_SGPR: 2
; COMPUTE_PGM_RSRC2:TRAP_HANDLER: 0
; COMPUTE_PGM_RSRC2:TGID_X_EN: 1
; COMPUTE_PGM_RSRC2:TGID_Y_EN: 0
; COMPUTE_PGM_RSRC2:TGID_Z_EN: 1
; COMPUTE_PGM_RSRC2:TIDIG_COMP_CNT: 0
	.section	.text._ZL38rocblas_trsm_small_left_device_sharedBILi8ELi8ELb0E19rocblas_complex_numIfES1_PKS1_PS1_Ev13rocblas_fill_18rocblas_operation_17rocblas_diagonal_iiT3_T4_lilT5_lili,"axG",@progbits,_ZL38rocblas_trsm_small_left_device_sharedBILi8ELi8ELb0E19rocblas_complex_numIfES1_PKS1_PS1_Ev13rocblas_fill_18rocblas_operation_17rocblas_diagonal_iiT3_T4_lilT5_lili,comdat
	.globl	_ZL38rocblas_trsm_small_left_device_sharedBILi8ELi8ELb0E19rocblas_complex_numIfES1_PKS1_PS1_Ev13rocblas_fill_18rocblas_operation_17rocblas_diagonal_iiT3_T4_lilT5_lili ; -- Begin function _ZL38rocblas_trsm_small_left_device_sharedBILi8ELi8ELb0E19rocblas_complex_numIfES1_PKS1_PS1_Ev13rocblas_fill_18rocblas_operation_17rocblas_diagonal_iiT3_T4_lilT5_lili
	.p2align	8
	.type	_ZL38rocblas_trsm_small_left_device_sharedBILi8ELi8ELb0E19rocblas_complex_numIfES1_PKS1_PS1_Ev13rocblas_fill_18rocblas_operation_17rocblas_diagonal_iiT3_T4_lilT5_lili,@function
_ZL38rocblas_trsm_small_left_device_sharedBILi8ELi8ELb0E19rocblas_complex_numIfES1_PKS1_PS1_Ev13rocblas_fill_18rocblas_operation_17rocblas_diagonal_iiT3_T4_lilT5_lili: ; @_ZL38rocblas_trsm_small_left_device_sharedBILi8ELi8ELb0E19rocblas_complex_numIfES1_PKS1_PS1_Ev13rocblas_fill_18rocblas_operation_17rocblas_diagonal_iiT3_T4_lilT5_lili
; %bb.0:
	s_load_b32 s15, s[2:3], 0x60
	s_bfe_u32 s4, ttmp6, 0x40014
	s_lshr_b32 s5, ttmp7, 16
	s_add_co_i32 s4, s4, 1
	s_bfe_u32 s7, ttmp6, 0x40008
	s_mul_i32 s6, s5, s4
	s_getreg_b32 s4, hwreg(HW_REG_IB_STS2, 6, 4)
	s_add_co_i32 s7, s7, s6
	s_cmp_eq_u32 s4, 0
	s_mov_b32 s17, 0
	s_cselect_b32 s16, s5, s7
	s_wait_kmcnt 0x0
	s_cmp_ge_u32 s16, s15
	s_cbranch_scc1 .LBB138_81
; %bb.1:
	s_clause 0x1
	s_load_b32 s20, s[2:3], 0x30
	s_load_b96 s[12:14], s[2:3], 0x48
	s_load_b64 s[26:27], s[0:1], 0x4
	s_clause 0x2
	s_load_b128 s[8:11], s[2:3], 0x4
	s_load_b32 s5, s[2:3], 0x68
	s_load_b64 s[18:19], s[2:3], 0x14
	v_and_b32_e32 v8, 0x3ff, v0
	v_bfe_u32 v1, v0, 10, 10
	v_bfe_u32 v7, v0, 20, 10
	s_delay_alu instid0(VALU_DEP_3) | instskip(SKIP_1) | instid1(VALU_DEP_2)
	v_dual_mov_b32 v3, 0 :: v_dual_lshlrev_b32 v2, 3, v8
	v_lshlrev_b32_e32 v12, 6, v8
	v_add_nc_u32_e32 v20, 0x200, v2
	s_delay_alu instid0(VALU_DEP_2)
	v_add_nc_u32_e32 v21, v2, v12
	s_wait_kmcnt 0x0
	s_ashr_i32 s21, s20, 31
	s_ashr_i32 s0, s14, 31
	s_lshr_b32 s26, s26, 16
	s_cmp_lg_u32 s8, 0x71
	s_mul_i32 s26, s26, s27
	s_cselect_b32 s1, -1, 0
	s_bfe_u32 s6, ttmp6, 0x4000c
	s_min_i32 s22, s10, 8
	s_add_co_i32 s6, s6, 1
	s_add_co_i32 s24, s5, -1
	s_and_b32 s5, ttmp6, 15
	s_mul_i32 s6, ttmp9, s6
	s_add_co_i32 s23, s22, -1
	s_add_co_i32 s5, s5, s6
	s_cmp_eq_u32 s4, 0
	v_mul_u32_u24_e32 v9, s27, v1
	s_cselect_b32 s25, ttmp9, s5
	s_load_b128 s[4:7], s[2:3], 0x38
	s_lshl_b32 s28, s25, 3
	v_mul_u32_u24_e32 v10, s26, v8
	s_sub_co_i32 s11, s11, s28
	s_cmp_ge_u32 s25, s24
	v_mov_b64_e32 v[0:1], 0xbf80000000000000
	s_cselect_b32 s30, s11, 8
	s_ashr_i32 s29, s28, 31
	s_cmp_lg_u32 s9, 0x84
	v_add3_u32 v9, v10, v9, v7
	s_cselect_b32 s24, -1, 0
	s_cmp_gt_i32 s10, 0
	v_cmp_gt_i32_e32 vcc_lo, s30, v8
	s_cselect_b32 s31, -1, 0
	s_cmp_lg_u32 s8, 0x6f
	v_mov_b64_e32 v[10:11], 0x3f800000
	s_cselect_b32 s25, -1, 0
	s_lshl_b64 s[28:29], s[28:29], 3
	s_lshl_b64 s[8:9], s[12:13], 3
	v_or_b32_e32 v6, s28, v2
	s_wait_kmcnt 0x0
	s_add_nc_u64 s[6:7], s[6:7], s[8:9]
	s_clause 0x1
	s_load_b128 s[8:11], s[2:3], 0x20
	s_load_b64 s[12:13], s[2:3], 0x58
	s_wait_xcnt 0x0
	s_mov_b32 s2, s19
	s_mov_b32 s3, s18
	v_mad_nc_u64_u32 v[4:5], v6, s14, s[6:7]
	s_lshl_b64 s[4:5], s[4:5], 3
	s_delay_alu instid0(VALU_DEP_1)
	v_mad_u32 v5, s29, s14, v5
	s_and_b32 s14, vcc_lo, s31
	s_wait_kmcnt 0x0
	s_lshl_b64 s[6:7], s[10:11], 3
	s_lshl_b64 s[10:11], s[12:13], 3
	s_add_nc_u64 s[6:7], s[8:9], s[6:7]
	s_get_pc_i64 s[8:9]
	s_add_nc_u64 s[8:9], s[8:9], __const._ZL38rocblas_trsm_small_left_device_sharedBILi8ELi8ELb0E19rocblas_complex_numIfES1_PKS1_PS1_Ev13rocblas_fill_18rocblas_operation_17rocblas_diagonal_iiT3_T4_lilT5_lili.step_sizes@rel64+4
	s_delay_alu instid0(VALU_DEP_1)
	v_mad_u32 v5, v6, s0, v5
	v_add_nc_u64_e32 v[6:7], s[6:7], v[2:3]
	v_cmp_gt_i32_e64 s0, s22, v8
	v_lshl_add_u32 v3, v9, 6, 0x400
	s_lshl_b64 s[6:7], s[20:21], 3
	s_lshl_b32 s20, s22, 6
	s_delay_alu instid0(SALU_CYCLE_1)
	s_sub_co_i32 s20, s20, 64
	v_add_nc_u64_e32 v[6:7], 4, v[6:7]
	v_add_nc_u64_e32 v[8:9], 4, v[4:5]
	s_branch .LBB138_3
.LBB138_2:                              ;   in Loop: Header=BB138_3 Depth=1
	s_or_b32 exec_lo, exec_lo, s21
	s_add_co_i32 s16, s16, 0x10000
	s_delay_alu instid0(SALU_CYCLE_1)
	s_cmp_lt_u32 s16, s15
	s_cbranch_scc0 .LBB138_81
.LBB138_3:                              ; =>This Loop Header: Depth=1
                                        ;     Child Loop BB138_6 Depth 2
                                        ;     Child Loop BB138_20 Depth 2
                                        ;     Child Loop BB138_24 Depth 2
                                        ;       Child Loop BB138_27 Depth 3
                                        ;         Child Loop BB138_28 Depth 4
                                        ;         Child Loop BB138_32 Depth 4
                                        ;           Child Loop BB138_34 Depth 5
                                        ;           Child Loop BB138_40 Depth 5
                                        ;         Child Loop BB138_43 Depth 4
                                        ;           Child Loop BB138_45 Depth 5
                                        ;     Child Loop BB138_53 Depth 2
                                        ;       Child Loop BB138_56 Depth 3
                                        ;         Child Loop BB138_57 Depth 4
                                        ;         Child Loop BB138_61 Depth 4
                                        ;           Child Loop BB138_63 Depth 5
                                        ;           Child Loop BB138_69 Depth 5
                                        ;         Child Loop BB138_72 Depth 4
                                        ;           Child Loop BB138_74 Depth 5
                                        ;     Child Loop BB138_80 Depth 2
	s_and_saveexec_b32 s12, s0
	s_cbranch_execz .LBB138_18
; %bb.4:                                ;   in Loop: Header=BB138_3 Depth=1
	s_delay_alu instid0(VALU_DEP_2) | instskip(SKIP_2) | instid1(VALU_DEP_2)
	v_mad_nc_u64_u32 v[12:13], s4, s16, v[6:7]
	v_mov_b32_e32 v16, v2
	s_mov_b32 s13, s22
	v_mad_u32 v13, s5, s16, v13
	s_branch .LBB138_6
.LBB138_5:                              ;   in Loop: Header=BB138_6 Depth=2
	global_load_b32 v14, v[12:13], off offset:-4
	s_wait_xcnt 0x0
	v_add_nc_u64_e32 v[12:13], s[6:7], v[12:13]
	s_add_co_i32 s13, s13, -1
	s_delay_alu instid0(SALU_CYCLE_1)
	s_cmp_eq_u32 s13, 0
	s_wait_loadcnt 0x0
	ds_store_b64 v16, v[14:15]
	v_add_nc_u32_e32 v16, 64, v16
	s_cbranch_scc1 .LBB138_10
.LBB138_6:                              ;   Parent Loop BB138_3 Depth=1
                                        ; =>  This Inner Loop Header: Depth=2
	s_and_b32 vcc_lo, exec_lo, s1
	s_mov_b32 s21, -1
                                        ; implicit-def: $vgpr15
	s_cbranch_vccz .LBB138_8
; %bb.7:                                ;   in Loop: Header=BB138_6 Depth=2
	global_load_b32 v15, v[12:13], off
	s_mov_b32 s21, 0
.LBB138_8:                              ;   in Loop: Header=BB138_6 Depth=2
	s_delay_alu instid0(SALU_CYCLE_1)
	s_and_not1_b32 vcc_lo, exec_lo, s21
	s_cbranch_vccnz .LBB138_5
; %bb.9:                                ;   in Loop: Header=BB138_6 Depth=2
	global_load_b32 v14, v[12:13], off
	s_wait_loadcnt 0x0
	v_xor_b32_e32 v15, 0x80000000, v14
	s_branch .LBB138_5
.LBB138_10:                             ;   in Loop: Header=BB138_3 Depth=1
	s_and_b32 vcc_lo, exec_lo, s24
	s_mov_b32 s13, -1
	s_cbranch_vccz .LBB138_16
; %bb.11:                               ;   in Loop: Header=BB138_3 Depth=1
	ds_load_b64 v[12:13], v21
                                        ; implicit-def: $vgpr14_vgpr15
	s_wait_dscnt 0x0
	v_cmp_ngt_f32_e64 s13, |v12|, |v13|
	s_and_saveexec_b32 s21, s13
	s_delay_alu instid0(SALU_CYCLE_1)
	s_xor_b32 s13, exec_lo, s21
	s_cbranch_execz .LBB138_13
; %bb.12:                               ;   in Loop: Header=BB138_3 Depth=1
	v_div_scale_f32 v14, null, v13, v13, v12
	v_div_scale_f32 v17, vcc_lo, v12, v13, v12
	s_delay_alu instid0(VALU_DEP_2) | instskip(SKIP_1) | instid1(TRANS32_DEP_1)
	v_rcp_f32_e32 v15, v14
	v_nop
	v_fma_f32 v16, -v14, v15, 1.0
	s_delay_alu instid0(VALU_DEP_1) | instskip(NEXT) | instid1(VALU_DEP_1)
	v_fmac_f32_e32 v15, v16, v15
	v_mul_f32_e32 v16, v17, v15
	s_delay_alu instid0(VALU_DEP_1) | instskip(NEXT) | instid1(VALU_DEP_1)
	v_fma_f32 v18, -v14, v16, v17
	v_fmac_f32_e32 v16, v18, v15
	s_delay_alu instid0(VALU_DEP_1) | instskip(NEXT) | instid1(VALU_DEP_1)
	v_fma_f32 v14, -v14, v16, v17
	v_div_fmas_f32 v14, v14, v15, v16
	s_delay_alu instid0(VALU_DEP_1) | instskip(NEXT) | instid1(VALU_DEP_1)
	v_div_fixup_f32 v14, v14, v13, v12
	v_fmac_f32_e32 v13, v12, v14
	s_delay_alu instid0(VALU_DEP_1) | instskip(SKIP_1) | instid1(VALU_DEP_2)
	v_div_scale_f32 v12, null, v13, v13, 1.0
	v_div_scale_f32 v17, vcc_lo, 1.0, v13, 1.0
	v_rcp_f32_e32 v15, v12
	v_nop
	s_delay_alu instid0(TRANS32_DEP_1) | instskip(NEXT) | instid1(VALU_DEP_1)
	v_fma_f32 v16, -v12, v15, 1.0
	v_fmac_f32_e32 v15, v16, v15
	s_delay_alu instid0(VALU_DEP_1) | instskip(NEXT) | instid1(VALU_DEP_1)
	v_mul_f32_e32 v16, v17, v15
	v_fma_f32 v18, -v12, v16, v17
	s_delay_alu instid0(VALU_DEP_1) | instskip(NEXT) | instid1(VALU_DEP_1)
	v_fmac_f32_e32 v16, v18, v15
	v_fma_f32 v12, -v12, v16, v17
	s_delay_alu instid0(VALU_DEP_1) | instskip(SKIP_1) | instid1(VALU_DEP_2)
	v_div_fmas_f32 v12, v12, v15, v16
	v_mul_f32_e32 v15, 0, v14
	v_div_fixup_f32 v12, v12, v13, 1.0
	s_delay_alu instid0(VALU_DEP_2) | instskip(NEXT) | instid1(VALU_DEP_1)
	v_pk_add_f32 v[14:15], v[14:15], v[0:1]
	v_pk_mul_f32 v[14:15], v[14:15], v[12:13] op_sel_hi:[1,0]
                                        ; implicit-def: $vgpr12_vgpr13
.LBB138_13:                             ;   in Loop: Header=BB138_3 Depth=1
	s_and_not1_saveexec_b32 s13, s13
	s_cbranch_execz .LBB138_15
; %bb.14:                               ;   in Loop: Header=BB138_3 Depth=1
	v_div_scale_f32 v14, null, v12, v12, v13
	v_div_scale_f32 v17, vcc_lo, v13, v12, v13
	s_delay_alu instid0(VALU_DEP_2) | instskip(SKIP_1) | instid1(TRANS32_DEP_1)
	v_rcp_f32_e32 v15, v14
	v_nop
	v_fma_f32 v16, -v14, v15, 1.0
	s_delay_alu instid0(VALU_DEP_1) | instskip(NEXT) | instid1(VALU_DEP_1)
	v_fmac_f32_e32 v15, v16, v15
	v_mul_f32_e32 v16, v17, v15
	s_delay_alu instid0(VALU_DEP_1) | instskip(NEXT) | instid1(VALU_DEP_1)
	v_fma_f32 v18, -v14, v16, v17
	v_fmac_f32_e32 v16, v18, v15
	s_delay_alu instid0(VALU_DEP_1) | instskip(NEXT) | instid1(VALU_DEP_1)
	v_fma_f32 v14, -v14, v16, v17
	v_div_fmas_f32 v14, v14, v15, v16
	s_delay_alu instid0(VALU_DEP_1) | instskip(NEXT) | instid1(VALU_DEP_1)
	v_div_fixup_f32 v15, v14, v12, v13
	v_fmac_f32_e32 v12, v13, v15
	s_delay_alu instid0(VALU_DEP_1) | instskip(SKIP_1) | instid1(VALU_DEP_2)
	v_div_scale_f32 v13, null, v12, v12, 1.0
	v_div_scale_f32 v17, vcc_lo, 1.0, v12, 1.0
	v_rcp_f32_e32 v14, v13
	v_nop
	s_delay_alu instid0(TRANS32_DEP_1) | instskip(NEXT) | instid1(VALU_DEP_1)
	v_fma_f32 v16, -v13, v14, 1.0
	v_fmac_f32_e32 v14, v16, v14
	s_delay_alu instid0(VALU_DEP_1) | instskip(NEXT) | instid1(VALU_DEP_1)
	v_mul_f32_e32 v16, v17, v14
	v_fma_f32 v18, -v13, v16, v17
	s_delay_alu instid0(VALU_DEP_1) | instskip(NEXT) | instid1(VALU_DEP_1)
	v_fmac_f32_e32 v16, v18, v14
	v_dual_fma_f32 v13, -v13, v16, v17 :: v_dual_mul_f32 v17, 0, v15
	v_sub_f32_e32 v15, 0, v15
	s_delay_alu instid0(VALU_DEP_2) | instskip(NEXT) | instid1(VALU_DEP_3)
	v_div_fmas_f32 v13, v13, v14, v16
	v_add_f32_e32 v14, 1.0, v17
	s_delay_alu instid0(VALU_DEP_2) | instskip(NEXT) | instid1(VALU_DEP_1)
	v_div_fixup_f32 v12, v13, v12, 1.0
	v_pk_mul_f32 v[14:15], v[14:15], v[12:13] op_sel_hi:[1,0]
.LBB138_15:                             ;   in Loop: Header=BB138_3 Depth=1
	s_or_b32 exec_lo, exec_lo, s13
	s_mov_b32 s13, 0
	ds_store_b64 v21, v[14:15]
.LBB138_16:                             ;   in Loop: Header=BB138_3 Depth=1
	s_and_b32 vcc_lo, exec_lo, s13
	s_cbranch_vccz .LBB138_18
; %bb.17:                               ;   in Loop: Header=BB138_3 Depth=1
	ds_store_b64 v21, v[10:11]
.LBB138_18:                             ;   in Loop: Header=BB138_3 Depth=1
	s_or_b32 exec_lo, exec_lo, s12
	s_mul_u64 s[12:13], s[10:11], s[16:17]
	s_and_saveexec_b32 s21, s14
	s_cbranch_execz .LBB138_21
; %bb.19:                               ;   in Loop: Header=BB138_3 Depth=1
	v_add_nc_u64_e32 v[12:13], s[12:13], v[8:9]
	v_mov_b32_e32 v14, v20
	s_mov_b32 s26, s22
.LBB138_20:                             ;   Parent Loop BB138_3 Depth=1
                                        ; =>  This Inner Loop Header: Depth=2
	global_load_b64 v[16:17], v[12:13], off offset:-4
	v_mov_b64_e32 v[18:19], s[2:3]
	v_mov_b64_e32 v[22:23], s[18:19]
	s_wait_xcnt 0x0
	v_add_nc_u64_e32 v[12:13], 8, v[12:13]
	s_add_co_i32 s26, s26, -1
	s_delay_alu instid0(SALU_CYCLE_1) | instskip(SKIP_2) | instid1(VALU_DEP_1)
	s_cmp_lg_u32 s26, 0
	s_wait_loadcnt 0x0
	v_pk_mul_f32 v[18:19], v[18:19], v[16:17] op_sel:[0,1]
	v_pk_fma_f32 v[24:25], v[22:23], v[16:17], v[18:19] op_sel_hi:[1,0,1]
	v_pk_fma_f32 v[16:17], v[22:23], v[16:17], v[18:19] neg_lo:[0,0,1] neg_hi:[0,0,1]
	s_delay_alu instid0(VALU_DEP_2)
	v_mov_b32_e32 v17, v25
	ds_store_b64 v14, v[16:17]
	v_add_nc_u32_e32 v14, 64, v14
	s_cbranch_scc1 .LBB138_20
.LBB138_21:                             ;   in Loop: Header=BB138_3 Depth=1
	s_or_b32 exec_lo, exec_lo, s21
	s_delay_alu instid0(SALU_CYCLE_1)
	s_and_not1_b32 vcc_lo, exec_lo, s25
	s_mov_b32 s21, -1
	s_wait_dscnt 0x0
	; wave barrier
	s_cbranch_vccnz .LBB138_50
; %bb.22:                               ;   in Loop: Header=BB138_3 Depth=1
	s_mov_b32 s26, 0
	s_mov_b32 s21, 0
	s_branch .LBB138_24
.LBB138_23:                             ;   in Loop: Header=BB138_24 Depth=2
	s_cmp_lt_i32 s21, s22
	s_cselect_b32 s27, -1, 0
	s_add_co_i32 s28, s26, 1
	s_cmp_lt_u32 s26, 2
	s_wait_xcnt 0x0
	s_cselect_b32 s26, -1, 0
	s_delay_alu instid0(SALU_CYCLE_1) | instskip(NEXT) | instid1(SALU_CYCLE_1)
	s_and_b32 s26, s27, s26
	s_and_b32 vcc_lo, exec_lo, s26
	s_mov_b32 s26, s28
	s_cbranch_vccz .LBB138_49
.LBB138_24:                             ;   Parent Loop BB138_3 Depth=1
                                        ; =>  This Loop Header: Depth=2
                                        ;       Child Loop BB138_27 Depth 3
                                        ;         Child Loop BB138_28 Depth 4
                                        ;         Child Loop BB138_32 Depth 4
                                        ;           Child Loop BB138_34 Depth 5
                                        ;           Child Loop BB138_40 Depth 5
                                        ;         Child Loop BB138_43 Depth 4
                                        ;           Child Loop BB138_45 Depth 5
	s_load_b32 s27, s[8:9], s26 offset:0x0 scale_offset
	s_wait_kmcnt 0x0
	s_add_co_i32 s28, s27, -1
	s_delay_alu instid0(SALU_CYCLE_1) | instskip(NEXT) | instid1(SALU_CYCLE_1)
	s_add_co_i32 s29, s28, s21
	s_cmp_ge_i32 s29, s22
	s_cbranch_scc1 .LBB138_23
; %bb.25:                               ;   in Loop: Header=BB138_24 Depth=2
	s_max_i32 s29, s27, 1
	s_cmp_lg_u32 s26, 2
	v_lshl_add_u32 v22, s21, 6, v20
	s_cselect_b32 s30, -1, 0
	s_and_b32 s31, s29, 0x7ffffffe
	s_mul_i32 s35, s21, 0x48
	s_cmp_lg_u32 s29, s31
	s_mul_i32 s36, s27, 0x48
	s_cselect_b32 s33, -1, 0
	s_lshl_b32 s34, s27, 6
	s_branch .LBB138_27
.LBB138_26:                             ;   in Loop: Header=BB138_27 Depth=3
	s_add_co_i32 s21, s21, s27
	v_add_nc_u32_e32 v22, s34, v22
	s_add_co_i32 s37, s28, s21
	s_add_co_i32 s35, s35, s36
	s_cmp_ge_i32 s37, s22
	s_cbranch_scc1 .LBB138_23
.LBB138_27:                             ;   Parent Loop BB138_3 Depth=1
                                        ;     Parent Loop BB138_24 Depth=2
                                        ; =>    This Loop Header: Depth=3
                                        ;         Child Loop BB138_28 Depth 4
                                        ;         Child Loop BB138_32 Depth 4
                                        ;           Child Loop BB138_34 Depth 5
                                        ;           Child Loop BB138_40 Depth 5
                                        ;         Child Loop BB138_43 Depth 4
                                        ;           Child Loop BB138_45 Depth 5
	v_dual_mov_b32 v12, v3 :: v_dual_mov_b32 v13, v22
	s_mov_b32 s37, s29
.LBB138_28:                             ;   Parent Loop BB138_3 Depth=1
                                        ;     Parent Loop BB138_24 Depth=2
                                        ;       Parent Loop BB138_27 Depth=3
                                        ; =>      This Inner Loop Header: Depth=4
	ds_load_b64 v[14:15], v13
	v_add_nc_u32_e32 v13, 64, v13
	s_add_co_i32 s37, s37, -1
	s_delay_alu instid0(SALU_CYCLE_1)
	s_cmp_eq_u32 s37, 0
	s_wait_dscnt 0x0
	ds_store_b64 v12, v[14:15]
	v_add_nc_u32_e32 v12, 8, v12
	s_cbranch_scc0 .LBB138_28
; %bb.29:                               ;   in Loop: Header=BB138_27 Depth=3
	s_cmp_lt_i32 s21, 1
	s_cbranch_scc1 .LBB138_41
; %bb.30:                               ;   in Loop: Header=BB138_27 Depth=3
	s_mov_b32 s37, s21
	s_mov_b32 s38, 0
	;; [unrolled: 1-line block ×3, first 2 shown]
	s_branch .LBB138_32
.LBB138_31:                             ;   in Loop: Header=BB138_32 Depth=4
	s_add_co_i32 s39, s39, 1
	s_add_co_i32 s38, s38, 8
	s_cmp_eq_u32 s39, s21
	s_cbranch_scc1 .LBB138_41
.LBB138_32:                             ;   Parent Loop BB138_3 Depth=1
                                        ;     Parent Loop BB138_24 Depth=2
                                        ;       Parent Loop BB138_27 Depth=3
                                        ; =>      This Loop Header: Depth=4
                                        ;           Child Loop BB138_34 Depth 5
                                        ;           Child Loop BB138_40 Depth 5
	v_lshl_add_u32 v12, s39, 6, v20
	s_and_b32 vcc_lo, exec_lo, s30
	ds_load_b64 v[12:13], v12
	s_cbranch_vccz .LBB138_36
; %bb.33:                               ;   in Loop: Header=BB138_32 Depth=4
	s_wait_dscnt 0x0
	v_dual_mov_b32 v16, v12 :: v_dual_mov_b32 v17, v12
	v_dual_mov_b32 v14, v13 :: v_dual_mov_b32 v18, v13
	;; [unrolled: 1-line block ×3, first 2 shown]
	s_lshl_b32 s40, s39, 3
	s_mov_b32 s41, 1
	s_mov_b32 s42, 0
	;; [unrolled: 1-line block ×3, first 2 shown]
.LBB138_34:                             ;   Parent Loop BB138_3 Depth=1
                                        ;     Parent Loop BB138_24 Depth=2
                                        ;       Parent Loop BB138_27 Depth=3
                                        ;         Parent Loop BB138_32 Depth=4
                                        ; =>        This Inner Loop Header: Depth=5
	s_add_co_i32 s44, s42, s21
	s_add_co_i32 s45, s41, s37
	s_lshl_b32 s44, s44, 6
	s_lshl_b32 s45, s45, 6
	s_add_co_i32 s44, s40, s44
	s_add_co_i32 s45, s40, s45
	s_delay_alu instid0(SALU_CYCLE_1)
	v_dual_mov_b32 v23, s44 :: v_dual_mov_b32 v24, s45
	s_add_co_i32 s43, s43, -2
	s_add_co_i32 s42, s42, 2
	s_add_co_i32 s41, s41, 2
	ds_load_b64 v[28:29], v23
	ds_load_b64 v[30:31], v24
	ds_load_b128 v[24:27], v15
	s_cmp_lg_u32 s43, 0
	s_wait_dscnt 0x1
	v_dual_mov_b32 v34, v28 :: v_dual_mov_b32 v35, v30
	s_wait_dscnt 0x0
	v_dual_mov_b32 v30, v29 :: v_dual_mov_b32 v32, v24
	v_dual_mov_b32 v33, v26 :: v_dual_mov_b32 v26, v25
	s_delay_alu instid0(VALU_DEP_2) | instskip(SKIP_1) | instid1(VALU_DEP_2)
	v_pk_mul_f32 v[28:29], v[30:31], v[18:19]
	v_pk_mul_f32 v[30:31], v[30:31], v[16:17]
	v_pk_fma_f32 v[24:25], v[34:35], v[16:17], v[28:29] neg_lo:[0,0,1] neg_hi:[0,0,1]
	s_delay_alu instid0(VALU_DEP_2) | instskip(NEXT) | instid1(VALU_DEP_2)
	v_pk_fma_f32 v[28:29], v[34:35], v[18:19], v[30:31]
	v_pk_add_f32 v[30:31], v[32:33], v[24:25] neg_lo:[0,1] neg_hi:[0,1]
	s_delay_alu instid0(VALU_DEP_2) | instskip(NEXT) | instid1(VALU_DEP_1)
	v_pk_add_f32 v[26:27], v[26:27], v[28:29] neg_lo:[0,1] neg_hi:[0,1]
	v_dual_mov_b32 v24, v30 :: v_dual_mov_b32 v25, v26
	s_delay_alu instid0(VALU_DEP_3)
	v_mov_b32_e32 v26, v31
	ds_store_b128 v15, v[24:27]
	v_add_nc_u32_e32 v15, 16, v15
	s_cbranch_scc1 .LBB138_34
; %bb.35:                               ;   in Loop: Header=BB138_32 Depth=4
	s_mov_b32 s40, s33
	s_mov_b32 s41, s31
	s_branch .LBB138_38
.LBB138_36:                             ;   in Loop: Header=BB138_32 Depth=4
	s_wait_dscnt 0x0
	v_mov_b32_e32 v14, v13
	s_mov_b32 s40, 0
	s_mov_b32 s41, s31
	s_cbranch_execz .LBB138_38
; %bb.37:                               ;   in Loop: Header=BB138_32 Depth=4
	s_mov_b32 s40, -1
	s_mov_b32 s41, 0
.LBB138_38:                             ;   in Loop: Header=BB138_32 Depth=4
	s_and_not1_b32 vcc_lo, exec_lo, s40
	s_cbranch_vccnz .LBB138_31
; %bb.39:                               ;   in Loop: Header=BB138_32 Depth=4
	s_add_co_i32 s40, s21, s41
	v_dual_mov_b32 v15, v13 :: v_dual_mov_b32 v13, v12
	v_lshl_add_u32 v16, s41, 3, v3
	s_lshl_b32 s42, s40, 6
	s_sub_co_i32 s40, s29, s41
	s_add_co_i32 s41, s38, s42
.LBB138_40:                             ;   Parent Loop BB138_3 Depth=1
                                        ;     Parent Loop BB138_24 Depth=2
                                        ;       Parent Loop BB138_27 Depth=3
                                        ;         Parent Loop BB138_32 Depth=4
                                        ; =>        This Inner Loop Header: Depth=5
	s_delay_alu instid0(SALU_CYCLE_1)
	v_mov_b32_e32 v17, s41
	s_add_co_i32 s40, s40, -1
	s_add_co_i32 s41, s41, 64
	s_cmp_eq_u32 s40, 0
	ds_load_b64 v[18:19], v17
	ds_load_b64 v[24:25], v16
	s_wait_dscnt 0x1
	v_pk_mul_f32 v[26:27], v[18:19], v[14:15] op_sel:[1,0] op_sel_hi:[0,1]
	s_delay_alu instid0(VALU_DEP_1) | instskip(SKIP_1) | instid1(VALU_DEP_2)
	v_pk_fma_f32 v[28:29], v[18:19], v[12:13], v[26:27]
	v_pk_fma_f32 v[18:19], v[18:19], v[12:13], v[26:27] neg_lo:[0,0,1] neg_hi:[0,0,1]
	v_mov_b32_e32 v19, v29
	s_wait_dscnt 0x0
	s_delay_alu instid0(VALU_DEP_1)
	v_pk_add_f32 v[18:19], v[24:25], v[18:19] neg_lo:[0,1] neg_hi:[0,1]
	ds_store_b64 v16, v[18:19]
	v_add_nc_u32_e32 v16, 8, v16
	s_cbranch_scc0 .LBB138_40
	s_branch .LBB138_31
.LBB138_41:                             ;   in Loop: Header=BB138_27 Depth=3
	s_lshl_b32 s37, s21, 6
	s_mov_b32 s38, 0
	s_mov_b32 s39, s35
	s_branch .LBB138_43
.LBB138_42:                             ;   in Loop: Header=BB138_43 Depth=4
	s_mulk_i32 s41, 0x48
	s_add_co_i32 s38, s38, 1
	v_mov_b32_e32 v13, s41
	s_add_co_i32 s39, s39, 64
	s_cmp_eq_u32 s38, s29
	ds_load_b64 v[16:17], v13
	s_wait_dscnt 0x0
	v_pk_mul_f32 v[18:19], v[16:17], v[14:15] op_sel:[1,0] op_sel_hi:[0,0]
	v_add_nc_u32_e32 v14, s40, v20
	s_delay_alu instid0(VALU_DEP_2) | instskip(SKIP_1) | instid1(VALU_DEP_2)
	v_pk_fma_f32 v[24:25], v[16:17], v[12:13], v[18:19] op_sel_hi:[1,0,1]
	v_pk_fma_f32 v[12:13], v[16:17], v[12:13], v[18:19] neg_lo:[0,0,1] neg_hi:[0,0,1]
	v_mov_b32_e32 v13, v25
	ds_store_b64 v15, v[12:13]
	ds_store_b64 v14, v[12:13]
	s_cbranch_scc1 .LBB138_26
.LBB138_43:                             ;   Parent Loop BB138_3 Depth=1
                                        ;     Parent Loop BB138_24 Depth=2
                                        ;       Parent Loop BB138_27 Depth=3
                                        ; =>      This Loop Header: Depth=4
                                        ;           Child Loop BB138_45 Depth 5
	v_lshl_add_u32 v15, s38, 3, v3
	s_cmp_lg_u32 s38, 0
	s_cbranch_scc0 .LBB138_47
; %bb.44:                               ;   in Loop: Header=BB138_43 Depth=4
	ds_load_b64 v[12:13], v15
	v_mov_b32_e32 v14, v3
	s_mov_b32 s40, s39
	s_mov_b32 s41, s38
.LBB138_45:                             ;   Parent Loop BB138_3 Depth=1
                                        ;     Parent Loop BB138_24 Depth=2
                                        ;       Parent Loop BB138_27 Depth=3
                                        ;         Parent Loop BB138_43 Depth=4
                                        ; =>        This Inner Loop Header: Depth=5
	v_mov_b32_e32 v18, s40
	s_add_co_i32 s41, s41, -1
	s_add_co_i32 s40, s40, 8
	s_cmp_eq_u32 s41, 0
	ds_load_b64 v[16:17], v14
	ds_load_b64 v[18:19], v18
	v_add_nc_u32_e32 v14, 8, v14
	s_wait_dscnt 0x0
	v_pk_mul_f32 v[24:25], v[18:19], v[16:17] op_sel:[1,1] op_sel_hi:[0,1]
	s_delay_alu instid0(VALU_DEP_1) | instskip(SKIP_1) | instid1(VALU_DEP_2)
	v_pk_fma_f32 v[26:27], v[18:19], v[16:17], v[24:25] op_sel_hi:[1,0,1]
	v_pk_fma_f32 v[16:17], v[18:19], v[16:17], v[24:25] neg_lo:[0,0,1] neg_hi:[0,0,1]
	v_mov_b32_e32 v17, v27
	s_delay_alu instid0(VALU_DEP_1)
	v_pk_add_f32 v[12:13], v[12:13], v[16:17] neg_lo:[0,1] neg_hi:[0,1]
	ds_store_b64 v15, v[12:13]
	s_cbranch_scc0 .LBB138_45
; %bb.46:                               ;   in Loop: Header=BB138_43 Depth=4
	v_mov_b32_e32 v14, v13
	s_add_co_i32 s41, s38, s21
	s_delay_alu instid0(SALU_CYCLE_1)
	s_lshl_b32 s40, s41, 6
	s_branch .LBB138_42
.LBB138_47:                             ;   in Loop: Header=BB138_43 Depth=4
                                        ; implicit-def: $vgpr12
                                        ; implicit-def: $vgpr14
                                        ; implicit-def: $sgpr41
                                        ; implicit-def: $sgpr40
	s_cbranch_execz .LBB138_42
; %bb.48:                               ;   in Loop: Header=BB138_43 Depth=4
	ds_load_b64 v[12:13], v3
	s_mov_b32 s40, s37
	s_mov_b32 s41, s21
	s_wait_dscnt 0x0
	v_mov_b32_e32 v14, v13
	s_branch .LBB138_42
.LBB138_49:                             ;   in Loop: Header=BB138_3 Depth=1
	s_mov_b32 s21, 0
.LBB138_50:                             ;   in Loop: Header=BB138_3 Depth=1
	s_delay_alu instid0(SALU_CYCLE_1)
	s_and_b32 vcc_lo, exec_lo, s21
	s_cbranch_vccz .LBB138_78
; %bb.51:                               ;   in Loop: Header=BB138_3 Depth=1
	s_mov_b32 s26, 0
	s_mov_b32 s21, s23
	s_branch .LBB138_53
.LBB138_52:                             ;   in Loop: Header=BB138_53 Depth=2
	s_cmp_gt_i32 s21, -1
	s_cselect_b32 s27, -1, 0
	s_add_co_i32 s28, s26, 1
	s_cmp_lt_u32 s26, 2
	s_wait_xcnt 0x0
	s_cselect_b32 s26, -1, 0
	s_delay_alu instid0(SALU_CYCLE_1) | instskip(NEXT) | instid1(SALU_CYCLE_1)
	s_and_b32 s26, s27, s26
	s_and_not1_b32 vcc_lo, exec_lo, s26
	s_mov_b32 s26, s28
	s_cbranch_vccnz .LBB138_78
.LBB138_53:                             ;   Parent Loop BB138_3 Depth=1
                                        ; =>  This Loop Header: Depth=2
                                        ;       Child Loop BB138_56 Depth 3
                                        ;         Child Loop BB138_57 Depth 4
                                        ;         Child Loop BB138_61 Depth 4
                                        ;           Child Loop BB138_63 Depth 5
                                        ;           Child Loop BB138_69 Depth 5
                                        ;         Child Loop BB138_72 Depth 4
                                        ;           Child Loop BB138_74 Depth 5
	s_load_b32 s27, s[8:9], s26 offset:0x0 scale_offset
	s_wait_kmcnt 0x0
	s_add_co_i32 s28, s27, -1
	s_delay_alu instid0(SALU_CYCLE_1)
	s_cmp_lt_i32 s21, s28
	s_cbranch_scc1 .LBB138_52
; %bb.54:                               ;   in Loop: Header=BB138_53 Depth=2
	s_max_i32 s29, s27, 1
	s_cmp_lg_u32 s26, 2
	v_lshl_add_u32 v22, s21, 6, v20
	s_cselect_b32 s30, -1, 0
	s_and_b32 s31, s29, 0x7ffffffe
	s_mul_i32 s37, s21, 0x48
	s_cmp_lg_u32 s29, s31
	s_mul_i32 s38, s27, 0xffffffb8
	s_cselect_b32 s33, -1, 0
	s_lshl_b32 s34, s27, 6
	s_lshl_b32 s35, s21, 3
	;; [unrolled: 1-line block ×3, first 2 shown]
	s_sub_co_i32 s34, 0, s34
	s_add_co_i32 s35, s20, s35
	s_sub_co_i32 s36, 0, s36
	s_branch .LBB138_56
.LBB138_55:                             ;   in Loop: Header=BB138_56 Depth=3
	v_add_nc_u32_e32 v22, s34, v22
	s_sub_co_i32 s21, s21, s27
	s_add_co_i32 s35, s35, s36
	s_add_co_i32 s37, s37, s38
	s_cmp_lt_i32 s21, s28
	s_cbranch_scc1 .LBB138_52
.LBB138_56:                             ;   Parent Loop BB138_3 Depth=1
                                        ;     Parent Loop BB138_53 Depth=2
                                        ; =>    This Loop Header: Depth=3
                                        ;         Child Loop BB138_57 Depth 4
                                        ;         Child Loop BB138_61 Depth 4
                                        ;           Child Loop BB138_63 Depth 5
                                        ;           Child Loop BB138_69 Depth 5
                                        ;         Child Loop BB138_72 Depth 4
                                        ;           Child Loop BB138_74 Depth 5
	v_dual_mov_b32 v12, v3 :: v_dual_mov_b32 v13, v22
	s_mov_b32 s39, s29
.LBB138_57:                             ;   Parent Loop BB138_3 Depth=1
                                        ;     Parent Loop BB138_53 Depth=2
                                        ;       Parent Loop BB138_56 Depth=3
                                        ; =>      This Inner Loop Header: Depth=4
	ds_load_b64 v[14:15], v13
	v_subrev_nc_u32_e32 v13, 64, v13
	s_add_co_i32 s39, s39, -1
	s_delay_alu instid0(SALU_CYCLE_1)
	s_cmp_eq_u32 s39, 0
	s_wait_dscnt 0x0
	ds_store_b64 v12, v[14:15]
	v_add_nc_u32_e32 v12, 8, v12
	s_cbranch_scc0 .LBB138_57
; %bb.58:                               ;   in Loop: Header=BB138_56 Depth=3
	s_cmp_le_i32 s23, s21
	s_cbranch_scc1 .LBB138_70
; %bb.59:                               ;   in Loop: Header=BB138_56 Depth=3
	s_mov_b32 s39, s21
	s_mov_b32 s40, s35
	;; [unrolled: 1-line block ×3, first 2 shown]
	s_branch .LBB138_61
.LBB138_60:                             ;   in Loop: Header=BB138_61 Depth=4
	s_add_co_i32 s41, s41, -1
	s_sub_co_i32 s40, s40, 64
	s_cmp_le_i32 s41, s21
	s_cbranch_scc1 .LBB138_70
.LBB138_61:                             ;   Parent Loop BB138_3 Depth=1
                                        ;     Parent Loop BB138_53 Depth=2
                                        ;       Parent Loop BB138_56 Depth=3
                                        ; =>      This Loop Header: Depth=4
                                        ;           Child Loop BB138_63 Depth 5
                                        ;           Child Loop BB138_69 Depth 5
	v_lshl_add_u32 v12, s41, 6, v20
	s_and_b32 vcc_lo, exec_lo, s30
	ds_load_b64 v[12:13], v12
	s_cbranch_vccz .LBB138_65
; %bb.62:                               ;   in Loop: Header=BB138_61 Depth=4
	s_wait_dscnt 0x0
	v_dual_mov_b32 v16, v12 :: v_dual_mov_b32 v17, v12
	v_dual_mov_b32 v14, v13 :: v_dual_mov_b32 v18, v13
	;; [unrolled: 1-line block ×3, first 2 shown]
	s_lshl_b32 s42, s41, 3
	s_mov_b32 s43, 1
	s_lshl_b32 s42, s42, 3
	s_mov_b32 s44, 0
	s_mov_b32 s45, s31
.LBB138_63:                             ;   Parent Loop BB138_3 Depth=1
                                        ;     Parent Loop BB138_53 Depth=2
                                        ;       Parent Loop BB138_56 Depth=3
                                        ;         Parent Loop BB138_61 Depth=4
                                        ; =>        This Inner Loop Header: Depth=5
	s_sub_co_i32 s46, s21, s44
	s_sub_co_i32 s47, s39, s43
	s_lshl_b32 s46, s46, 3
	s_lshl_b32 s47, s47, 3
	s_add_co_i32 s46, s42, s46
	s_add_co_i32 s47, s42, s47
	s_delay_alu instid0(SALU_CYCLE_1)
	v_dual_mov_b32 v23, s46 :: v_dual_mov_b32 v24, s47
	s_add_co_i32 s45, s45, -2
	s_add_co_i32 s44, s44, 2
	s_add_co_i32 s43, s43, 2
	ds_load_b64 v[28:29], v23
	ds_load_b64 v[30:31], v24
	ds_load_b128 v[24:27], v15
	s_cmp_lg_u32 s45, 0
	s_wait_dscnt 0x1
	v_dual_mov_b32 v34, v28 :: v_dual_mov_b32 v35, v30
	s_wait_dscnt 0x0
	v_dual_mov_b32 v30, v29 :: v_dual_mov_b32 v32, v24
	v_dual_mov_b32 v33, v26 :: v_dual_mov_b32 v26, v25
	s_delay_alu instid0(VALU_DEP_2) | instskip(SKIP_1) | instid1(VALU_DEP_2)
	v_pk_mul_f32 v[28:29], v[30:31], v[18:19]
	v_pk_mul_f32 v[30:31], v[30:31], v[16:17]
	v_pk_fma_f32 v[24:25], v[34:35], v[16:17], v[28:29] neg_lo:[0,0,1] neg_hi:[0,0,1]
	s_delay_alu instid0(VALU_DEP_2) | instskip(NEXT) | instid1(VALU_DEP_2)
	v_pk_fma_f32 v[28:29], v[34:35], v[18:19], v[30:31]
	v_pk_add_f32 v[30:31], v[32:33], v[24:25] neg_lo:[0,1] neg_hi:[0,1]
	s_delay_alu instid0(VALU_DEP_2) | instskip(NEXT) | instid1(VALU_DEP_1)
	v_pk_add_f32 v[26:27], v[26:27], v[28:29] neg_lo:[0,1] neg_hi:[0,1]
	v_dual_mov_b32 v24, v30 :: v_dual_mov_b32 v25, v26
	s_delay_alu instid0(VALU_DEP_3)
	v_mov_b32_e32 v26, v31
	ds_store_b128 v15, v[24:27]
	v_add_nc_u32_e32 v15, 16, v15
	s_cbranch_scc1 .LBB138_63
; %bb.64:                               ;   in Loop: Header=BB138_61 Depth=4
	s_mov_b32 s42, s33
	s_mov_b32 s43, s31
	s_branch .LBB138_67
.LBB138_65:                             ;   in Loop: Header=BB138_61 Depth=4
	s_wait_dscnt 0x0
	v_mov_b32_e32 v14, v13
	s_mov_b32 s42, 0
	s_mov_b32 s43, s31
	s_cbranch_execz .LBB138_67
; %bb.66:                               ;   in Loop: Header=BB138_61 Depth=4
	s_mov_b32 s42, -1
	s_mov_b32 s43, 0
.LBB138_67:                             ;   in Loop: Header=BB138_61 Depth=4
	s_and_not1_b32 vcc_lo, exec_lo, s42
	s_cbranch_vccnz .LBB138_60
; %bb.68:                               ;   in Loop: Header=BB138_61 Depth=4
	s_lshl_b32 s44, s43, 3
	v_dual_mov_b32 v15, v13 :: v_dual_mov_b32 v13, v12
	v_add_nc_u32_e32 v16, s44, v3
	s_sub_co_i32 s42, s29, s43
	s_sub_co_i32 s43, s40, s44
.LBB138_69:                             ;   Parent Loop BB138_3 Depth=1
                                        ;     Parent Loop BB138_53 Depth=2
                                        ;       Parent Loop BB138_56 Depth=3
                                        ;         Parent Loop BB138_61 Depth=4
                                        ; =>        This Inner Loop Header: Depth=5
	s_delay_alu instid0(SALU_CYCLE_1)
	v_mov_b32_e32 v17, s43
	s_add_co_i32 s42, s42, -1
	s_add_co_i32 s43, s43, -8
	s_cmp_eq_u32 s42, 0
	ds_load_b64 v[18:19], v17
	ds_load_b64 v[24:25], v16
	s_wait_dscnt 0x1
	v_pk_mul_f32 v[26:27], v[18:19], v[14:15] op_sel:[1,0] op_sel_hi:[0,1]
	s_delay_alu instid0(VALU_DEP_1) | instskip(SKIP_1) | instid1(VALU_DEP_2)
	v_pk_fma_f32 v[28:29], v[18:19], v[12:13], v[26:27]
	v_pk_fma_f32 v[18:19], v[18:19], v[12:13], v[26:27] neg_lo:[0,0,1] neg_hi:[0,0,1]
	v_mov_b32_e32 v19, v29
	s_wait_dscnt 0x0
	s_delay_alu instid0(VALU_DEP_1)
	v_pk_add_f32 v[18:19], v[24:25], v[18:19] neg_lo:[0,1] neg_hi:[0,1]
	ds_store_b64 v16, v[18:19]
	v_add_nc_u32_e32 v16, 8, v16
	s_cbranch_scc0 .LBB138_69
	s_branch .LBB138_60
.LBB138_70:                             ;   in Loop: Header=BB138_56 Depth=3
	s_mov_b32 s39, 0
	s_mov_b32 s40, s37
	s_branch .LBB138_72
.LBB138_71:                             ;   in Loop: Header=BB138_72 Depth=4
	s_mul_i32 s42, s41, 0x48
	s_add_co_i32 s39, s39, 1
	v_mov_b32_e32 v13, s42
	s_add_co_i32 s40, s40, -8
	s_cmp_eq_u32 s39, s29
	ds_load_b64 v[16:17], v13
	s_wait_dscnt 0x0
	v_pk_mul_f32 v[18:19], v[16:17], v[14:15] op_sel:[1,0] op_sel_hi:[0,0]
	v_lshl_add_u32 v14, s41, 6, v20
	s_delay_alu instid0(VALU_DEP_2) | instskip(SKIP_1) | instid1(VALU_DEP_2)
	v_pk_fma_f32 v[24:25], v[16:17], v[12:13], v[18:19] op_sel_hi:[1,0,1]
	v_pk_fma_f32 v[12:13], v[16:17], v[12:13], v[18:19] neg_lo:[0,0,1] neg_hi:[0,0,1]
	v_mov_b32_e32 v13, v25
	ds_store_b64 v15, v[12:13]
	ds_store_b64 v14, v[12:13]
	s_cbranch_scc1 .LBB138_55
.LBB138_72:                             ;   Parent Loop BB138_3 Depth=1
                                        ;     Parent Loop BB138_53 Depth=2
                                        ;       Parent Loop BB138_56 Depth=3
                                        ; =>      This Loop Header: Depth=4
                                        ;           Child Loop BB138_74 Depth 5
	v_lshl_add_u32 v15, s39, 3, v3
	s_cmp_lg_u32 s39, 0
	s_cbranch_scc0 .LBB138_76
; %bb.73:                               ;   in Loop: Header=BB138_72 Depth=4
	ds_load_b64 v[12:13], v15
	v_mov_b32_e32 v14, v3
	s_mov_b32 s41, s40
	s_mov_b32 s42, s39
.LBB138_74:                             ;   Parent Loop BB138_3 Depth=1
                                        ;     Parent Loop BB138_53 Depth=2
                                        ;       Parent Loop BB138_56 Depth=3
                                        ;         Parent Loop BB138_72 Depth=4
                                        ; =>        This Inner Loop Header: Depth=5
	v_mov_b32_e32 v18, s41
	s_add_co_i32 s42, s42, -1
	s_sub_co_i32 s41, s41, 64
	s_cmp_eq_u32 s42, 0
	ds_load_b64 v[16:17], v14
	ds_load_b64 v[18:19], v18
	v_add_nc_u32_e32 v14, 8, v14
	s_wait_dscnt 0x0
	v_pk_mul_f32 v[24:25], v[18:19], v[16:17] op_sel:[1,1] op_sel_hi:[0,1]
	s_delay_alu instid0(VALU_DEP_1) | instskip(SKIP_1) | instid1(VALU_DEP_2)
	v_pk_fma_f32 v[26:27], v[18:19], v[16:17], v[24:25] op_sel_hi:[1,0,1]
	v_pk_fma_f32 v[16:17], v[18:19], v[16:17], v[24:25] neg_lo:[0,0,1] neg_hi:[0,0,1]
	v_mov_b32_e32 v17, v27
	s_delay_alu instid0(VALU_DEP_1)
	v_pk_add_f32 v[12:13], v[12:13], v[16:17] neg_lo:[0,1] neg_hi:[0,1]
	ds_store_b64 v15, v[12:13]
	s_cbranch_scc0 .LBB138_74
; %bb.75:                               ;   in Loop: Header=BB138_72 Depth=4
	v_mov_b32_e32 v14, v13
	s_sub_co_i32 s41, s21, s39
	s_branch .LBB138_71
.LBB138_76:                             ;   in Loop: Header=BB138_72 Depth=4
                                        ; implicit-def: $vgpr12
                                        ; implicit-def: $vgpr14
                                        ; implicit-def: $sgpr41
	s_cbranch_execz .LBB138_71
; %bb.77:                               ;   in Loop: Header=BB138_72 Depth=4
	ds_load_b64 v[12:13], v3
	s_mov_b32 s41, s21
	s_wait_dscnt 0x0
	v_mov_b32_e32 v14, v13
	s_branch .LBB138_71
.LBB138_78:                             ;   in Loop: Header=BB138_3 Depth=1
	s_wait_dscnt 0x0
	; wave barrier
	s_and_saveexec_b32 s21, s14
	s_cbranch_execz .LBB138_2
; %bb.79:                               ;   in Loop: Header=BB138_3 Depth=1
	v_add_nc_u64_e32 v[12:13], s[12:13], v[4:5]
	v_mov_b32_e32 v14, v20
	s_mov_b32 s12, s22
.LBB138_80:                             ;   Parent Loop BB138_3 Depth=1
                                        ; =>  This Inner Loop Header: Depth=2
	ds_load_b64 v[16:17], v14
	v_add_nc_u32_e32 v14, 64, v14
	s_add_co_i32 s12, s12, -1
	s_delay_alu instid0(SALU_CYCLE_1)
	s_cmp_lg_u32 s12, 0
	s_wait_dscnt 0x0
	global_store_b64 v[12:13], v[16:17], off
	s_wait_xcnt 0x0
	v_add_nc_u64_e32 v[12:13], 8, v[12:13]
	s_cbranch_scc1 .LBB138_80
	s_branch .LBB138_2
.LBB138_81:
	s_endpgm
	.section	.rodata,"a",@progbits
	.p2align	6, 0x0
	.amdhsa_kernel _ZL38rocblas_trsm_small_left_device_sharedBILi8ELi8ELb0E19rocblas_complex_numIfES1_PKS1_PS1_Ev13rocblas_fill_18rocblas_operation_17rocblas_diagonal_iiT3_T4_lilT5_lili
		.amdhsa_group_segment_fixed_size 1536
		.amdhsa_private_segment_fixed_size 0
		.amdhsa_kernarg_size 360
		.amdhsa_user_sgpr_count 4
		.amdhsa_user_sgpr_dispatch_ptr 1
		.amdhsa_user_sgpr_queue_ptr 0
		.amdhsa_user_sgpr_kernarg_segment_ptr 1
		.amdhsa_user_sgpr_dispatch_id 0
		.amdhsa_user_sgpr_kernarg_preload_length 0
		.amdhsa_user_sgpr_kernarg_preload_offset 0
		.amdhsa_user_sgpr_private_segment_size 0
		.amdhsa_wavefront_size32 1
		.amdhsa_uses_dynamic_stack 0
		.amdhsa_enable_private_segment 0
		.amdhsa_system_sgpr_workgroup_id_x 1
		.amdhsa_system_sgpr_workgroup_id_y 0
		.amdhsa_system_sgpr_workgroup_id_z 1
		.amdhsa_system_sgpr_workgroup_info 0
		.amdhsa_system_vgpr_workitem_id 2
		.amdhsa_next_free_vgpr 36
		.amdhsa_next_free_sgpr 48
		.amdhsa_named_barrier_count 0
		.amdhsa_reserve_vcc 1
		.amdhsa_float_round_mode_32 0
		.amdhsa_float_round_mode_16_64 0
		.amdhsa_float_denorm_mode_32 3
		.amdhsa_float_denorm_mode_16_64 3
		.amdhsa_fp16_overflow 0
		.amdhsa_memory_ordered 1
		.amdhsa_forward_progress 1
		.amdhsa_inst_pref_size 28
		.amdhsa_round_robin_scheduling 0
		.amdhsa_exception_fp_ieee_invalid_op 0
		.amdhsa_exception_fp_denorm_src 0
		.amdhsa_exception_fp_ieee_div_zero 0
		.amdhsa_exception_fp_ieee_overflow 0
		.amdhsa_exception_fp_ieee_underflow 0
		.amdhsa_exception_fp_ieee_inexact 0
		.amdhsa_exception_int_div_zero 0
	.end_amdhsa_kernel
	.section	.text._ZL38rocblas_trsm_small_left_device_sharedBILi8ELi8ELb0E19rocblas_complex_numIfES1_PKS1_PS1_Ev13rocblas_fill_18rocblas_operation_17rocblas_diagonal_iiT3_T4_lilT5_lili,"axG",@progbits,_ZL38rocblas_trsm_small_left_device_sharedBILi8ELi8ELb0E19rocblas_complex_numIfES1_PKS1_PS1_Ev13rocblas_fill_18rocblas_operation_17rocblas_diagonal_iiT3_T4_lilT5_lili,comdat
.Lfunc_end138:
	.size	_ZL38rocblas_trsm_small_left_device_sharedBILi8ELi8ELb0E19rocblas_complex_numIfES1_PKS1_PS1_Ev13rocblas_fill_18rocblas_operation_17rocblas_diagonal_iiT3_T4_lilT5_lili, .Lfunc_end138-_ZL38rocblas_trsm_small_left_device_sharedBILi8ELi8ELb0E19rocblas_complex_numIfES1_PKS1_PS1_Ev13rocblas_fill_18rocblas_operation_17rocblas_diagonal_iiT3_T4_lilT5_lili
                                        ; -- End function
	.set _ZL38rocblas_trsm_small_left_device_sharedBILi8ELi8ELb0E19rocblas_complex_numIfES1_PKS1_PS1_Ev13rocblas_fill_18rocblas_operation_17rocblas_diagonal_iiT3_T4_lilT5_lili.num_vgpr, 36
	.set _ZL38rocblas_trsm_small_left_device_sharedBILi8ELi8ELb0E19rocblas_complex_numIfES1_PKS1_PS1_Ev13rocblas_fill_18rocblas_operation_17rocblas_diagonal_iiT3_T4_lilT5_lili.num_agpr, 0
	.set _ZL38rocblas_trsm_small_left_device_sharedBILi8ELi8ELb0E19rocblas_complex_numIfES1_PKS1_PS1_Ev13rocblas_fill_18rocblas_operation_17rocblas_diagonal_iiT3_T4_lilT5_lili.numbered_sgpr, 48
	.set _ZL38rocblas_trsm_small_left_device_sharedBILi8ELi8ELb0E19rocblas_complex_numIfES1_PKS1_PS1_Ev13rocblas_fill_18rocblas_operation_17rocblas_diagonal_iiT3_T4_lilT5_lili.num_named_barrier, 0
	.set _ZL38rocblas_trsm_small_left_device_sharedBILi8ELi8ELb0E19rocblas_complex_numIfES1_PKS1_PS1_Ev13rocblas_fill_18rocblas_operation_17rocblas_diagonal_iiT3_T4_lilT5_lili.private_seg_size, 0
	.set _ZL38rocblas_trsm_small_left_device_sharedBILi8ELi8ELb0E19rocblas_complex_numIfES1_PKS1_PS1_Ev13rocblas_fill_18rocblas_operation_17rocblas_diagonal_iiT3_T4_lilT5_lili.uses_vcc, 1
	.set _ZL38rocblas_trsm_small_left_device_sharedBILi8ELi8ELb0E19rocblas_complex_numIfES1_PKS1_PS1_Ev13rocblas_fill_18rocblas_operation_17rocblas_diagonal_iiT3_T4_lilT5_lili.uses_flat_scratch, 0
	.set _ZL38rocblas_trsm_small_left_device_sharedBILi8ELi8ELb0E19rocblas_complex_numIfES1_PKS1_PS1_Ev13rocblas_fill_18rocblas_operation_17rocblas_diagonal_iiT3_T4_lilT5_lili.has_dyn_sized_stack, 0
	.set _ZL38rocblas_trsm_small_left_device_sharedBILi8ELi8ELb0E19rocblas_complex_numIfES1_PKS1_PS1_Ev13rocblas_fill_18rocblas_operation_17rocblas_diagonal_iiT3_T4_lilT5_lili.has_recursion, 0
	.set _ZL38rocblas_trsm_small_left_device_sharedBILi8ELi8ELb0E19rocblas_complex_numIfES1_PKS1_PS1_Ev13rocblas_fill_18rocblas_operation_17rocblas_diagonal_iiT3_T4_lilT5_lili.has_indirect_call, 0
	.section	.AMDGPU.csdata,"",@progbits
; Kernel info:
; codeLenInByte = 3548
; TotalNumSgprs: 50
; NumVgprs: 36
; ScratchSize: 0
; MemoryBound: 0
; FloatMode: 240
; IeeeMode: 1
; LDSByteSize: 1536 bytes/workgroup (compile time only)
; SGPRBlocks: 0
; VGPRBlocks: 2
; NumSGPRsForWavesPerEU: 50
; NumVGPRsForWavesPerEU: 36
; NamedBarCnt: 0
; Occupancy: 16
; WaveLimiterHint : 0
; COMPUTE_PGM_RSRC2:SCRATCH_EN: 0
; COMPUTE_PGM_RSRC2:USER_SGPR: 4
; COMPUTE_PGM_RSRC2:TRAP_HANDLER: 0
; COMPUTE_PGM_RSRC2:TGID_X_EN: 1
; COMPUTE_PGM_RSRC2:TGID_Y_EN: 0
; COMPUTE_PGM_RSRC2:TGID_Z_EN: 1
; COMPUTE_PGM_RSRC2:TIDIG_COMP_CNT: 2
	.section	.text._ZL30rocblas_trsm_small_left_deviceILi8ELi8ELb0E19rocblas_complex_numIfES1_PKS1_PS1_Ev13rocblas_fill_18rocblas_operation_17rocblas_diagonal_iiT3_T4_lilT5_lili,"axG",@progbits,_ZL30rocblas_trsm_small_left_deviceILi8ELi8ELb0E19rocblas_complex_numIfES1_PKS1_PS1_Ev13rocblas_fill_18rocblas_operation_17rocblas_diagonal_iiT3_T4_lilT5_lili,comdat
	.globl	_ZL30rocblas_trsm_small_left_deviceILi8ELi8ELb0E19rocblas_complex_numIfES1_PKS1_PS1_Ev13rocblas_fill_18rocblas_operation_17rocblas_diagonal_iiT3_T4_lilT5_lili ; -- Begin function _ZL30rocblas_trsm_small_left_deviceILi8ELi8ELb0E19rocblas_complex_numIfES1_PKS1_PS1_Ev13rocblas_fill_18rocblas_operation_17rocblas_diagonal_iiT3_T4_lilT5_lili
	.p2align	8
	.type	_ZL30rocblas_trsm_small_left_deviceILi8ELi8ELb0E19rocblas_complex_numIfES1_PKS1_PS1_Ev13rocblas_fill_18rocblas_operation_17rocblas_diagonal_iiT3_T4_lilT5_lili,@function
_ZL30rocblas_trsm_small_left_deviceILi8ELi8ELb0E19rocblas_complex_numIfES1_PKS1_PS1_Ev13rocblas_fill_18rocblas_operation_17rocblas_diagonal_iiT3_T4_lilT5_lili: ; @_ZL30rocblas_trsm_small_left_deviceILi8ELi8ELb0E19rocblas_complex_numIfES1_PKS1_PS1_Ev13rocblas_fill_18rocblas_operation_17rocblas_diagonal_iiT3_T4_lilT5_lili
; %bb.0:
	s_load_b32 s33, s[2:3], 0x60
	s_bfe_u32 s4, ttmp6, 0x40014
	s_lshr_b32 s5, ttmp7, 16
	s_add_co_i32 s4, s4, 1
	s_bfe_u32 s6, ttmp6, 0x40008
	s_mul_i32 s4, s5, s4
	s_getreg_b32 s11, hwreg(HW_REG_IB_STS2, 6, 4)
	s_add_co_i32 s6, s6, s4
	s_cmp_eq_u32 s11, 0
	s_mov_b32 s19, 0
	s_cselect_b32 s16, s5, s6
	s_wait_kmcnt 0x0
	s_cmp_ge_u32 s16, s33
	s_cbranch_scc1 .LBB139_87
; %bb.1:
	s_clause 0x1
	s_load_b32 s26, s[2:3], 0x30
	s_load_b96 s[8:10], s[2:3], 0x48
	s_load_b64 s[28:29], s[0:1], 0x4
	s_clause 0x2
	s_load_b128 s[4:7], s[2:3], 0x4
	s_load_b32 s12, s[2:3], 0x68
	s_load_b64 s[20:21], s[2:3], 0x14
	v_and_b32_e32 v8, 0x3ff, v0
	v_bfe_u32 v6, v0, 10, 10
	v_bfe_u32 v7, v0, 20, 10
	v_mov_b64_e32 v[10:11], 0x3f800000
	s_mov_b32 s40, 0
	v_dual_mov_b32 v1, 0 :: v_dual_lshlrev_b32 v12, 6, v8
	v_lshlrev_b32_e32 v0, 3, v8
	s_delay_alu instid0(VALU_DEP_1)
	v_add_nc_u32_e32 v24, v0, v12
	s_wait_kmcnt 0x0
	s_ashr_i32 s27, s26, 31
	s_ashr_i32 s1, s10, 31
	s_lshr_b32 s17, s28, 16
	s_cmp_lg_u32 s4, 0x71
	s_mul_i32 s17, s17, s29
	s_cselect_b32 s34, -1, 0
	s_bfe_u32 s0, ttmp6, 0x4000c
	s_min_i32 s35, s6, 8
	s_add_co_i32 s0, s0, 1
	s_and_b32 s6, ttmp6, 15
	s_mul_i32 s0, ttmp9, s0
	s_lshl_b64 s[30:31], s[8:9], 3
	s_add_co_i32 s18, s12, -1
	s_add_co_i32 s36, s35, -1
	s_add_co_i32 s6, s6, s0
	s_cmp_eq_u32 s11, 0
	s_mov_b32 s0, s10
	s_cselect_b32 s28, ttmp9, s6
	s_clause 0x1
	s_load_b128 s[12:15], s[2:3], 0x20
	s_load_b128 s[8:11], s[2:3], 0x38
	s_lshl_b32 s37, s28, 3
	s_wait_xcnt 0x0
	s_load_b64 s[2:3], s[2:3], 0x58
	v_or_b32_e32 v2, s37, v8
	v_mul_u32_u24_e32 v9, s17, v8
	v_mul_u32_u24_e32 v6, s29, v6
	s_mov_b32 s22, s20
	s_mov_b32 s23, s20
	v_ashrrev_i32_e32 v3, 31, v2
	s_mov_b32 s24, s21
	v_add3_u32 v9, v9, v6, v7
	s_mov_b32 s25, s21
	s_mov_b32 s6, s21
	v_mul_u64_e32 v[4:5], s[0:1], v[2:3]
	s_sub_co_i32 s0, s7, s37
	s_cmp_ge_u32 s28, s18
	v_mov_b64_e32 v[2:3], 0xbf80000000000000
	s_cselect_b32 s17, s0, 8
	s_cmp_lg_u32 s5, 0x84
	s_mov_b32 s7, s20
	s_cselect_b32 s37, -1, 0
	s_cmp_lg_u32 s4, 0x6f
	s_wait_kmcnt 0x0
	s_add_nc_u64 s[4:5], s[10:11], s[30:31]
	s_cselect_b32 s38, -1, 0
	s_lshl_b64 s[0:1], s[14:15], 3
	s_lshl_b32 s14, s35, 6
	s_add_nc_u64 s[10:11], s[12:13], s[0:1]
	v_cmp_gt_i32_e64 s0, s35, v8
	v_add_nc_u64_e32 v[6:7], s[10:11], v[0:1]
	v_lshl_add_u32 v1, v9, 6, 0x200
	v_cmp_gt_i32_e64 s1, s17, v8
	s_lshl_b64 s[12:13], s[2:3], 3
	s_sub_co_i32 s39, s14, 64
	s_get_pc_i64 s[10:11]
	s_add_nc_u64 s[10:11], s[10:11], __const._ZL30rocblas_trsm_small_left_deviceILi8ELi8ELb0E19rocblas_complex_numIfES1_PKS1_PS1_Ev13rocblas_fill_18rocblas_operation_17rocblas_diagonal_iiT3_T4_lilT5_lili.step_sizes@rel64+4
	v_add_nc_u64_e32 v[6:7], 4, v[6:7]
	v_lshl_add_u64 v[4:5], v[4:5], 3, s[4:5]
	s_lshl_b64 s[4:5], s[8:9], 3
	s_lshl_b64 s[8:9], s[26:27], 3
	s_delay_alu instid0(VALU_DEP_1)
	v_add_nc_u64_e32 v[8:9], 4, v[4:5]
	s_branch .LBB139_4
.LBB139_2:                              ;   in Loop: Header=BB139_4 Depth=1
	s_add_co_i32 s16, s16, 0x10000
	s_delay_alu instid0(SALU_CYCLE_1) | instskip(SKIP_1) | instid1(SALU_CYCLE_1)
	s_cmp_ge_u32 s16, s33
	s_cselect_b32 s14, -1, 0
	s_or_not1_b32 s14, s14, exec_lo
.LBB139_3:                              ;   in Loop: Header=BB139_4 Depth=1
	s_wait_xcnt 0x0
	s_or_b32 exec_lo, exec_lo, s41
	s_delay_alu instid0(SALU_CYCLE_1) | instskip(NEXT) | instid1(SALU_CYCLE_1)
	s_and_b32 s14, exec_lo, s14
	s_or_b32 s40, s14, s40
	s_delay_alu instid0(SALU_CYCLE_1)
	s_and_not1_b32 exec_lo, exec_lo, s40
	s_cbranch_execz .LBB139_87
.LBB139_4:                              ; =>This Loop Header: Depth=1
                                        ;     Child Loop BB139_7 Depth 2
                                        ;     Child Loop BB139_23 Depth 2
                                        ;       Child Loop BB139_26 Depth 3
                                        ;         Child Loop BB139_28 Depth 4
                                        ;         Child Loop BB139_32 Depth 4
	;; [unrolled: 1-line block ×3, first 2 shown]
                                        ;           Child Loop BB139_38 Depth 5
                                        ;           Child Loop BB139_44 Depth 5
                                        ;         Child Loop BB139_47 Depth 4
                                        ;           Child Loop BB139_49 Depth 5
                                        ;     Child Loop BB139_57 Depth 2
                                        ;       Child Loop BB139_60 Depth 3
                                        ;         Child Loop BB139_62 Depth 4
                                        ;         Child Loop BB139_66 Depth 4
	;; [unrolled: 1-line block ×3, first 2 shown]
                                        ;           Child Loop BB139_72 Depth 5
                                        ;           Child Loop BB139_78 Depth 5
                                        ;         Child Loop BB139_81 Depth 4
                                        ;           Child Loop BB139_83 Depth 5
	s_mov_b32 s17, s19
	s_and_saveexec_b32 s14, s0
	s_cbranch_execz .LBB139_19
; %bb.5:                                ;   in Loop: Header=BB139_4 Depth=1
	v_mad_nc_u64_u32 v[12:13], s4, s16, v[6:7]
	v_mov_b32_e32 v16, v0
	s_mov_b32 s15, s35
	s_delay_alu instid0(VALU_DEP_2)
	v_mad_u32 v13, s5, s16, v13
	s_branch .LBB139_7
.LBB139_6:                              ;   in Loop: Header=BB139_7 Depth=2
	global_load_b32 v14, v[12:13], off offset:-4
	s_wait_xcnt 0x0
	v_add_nc_u64_e32 v[12:13], s[8:9], v[12:13]
	s_add_co_i32 s15, s15, -1
	s_delay_alu instid0(SALU_CYCLE_1)
	s_cmp_eq_u32 s15, 0
	s_wait_loadcnt 0x0
	ds_store_b64 v16, v[14:15]
	v_add_nc_u32_e32 v16, 64, v16
	s_cbranch_scc1 .LBB139_11
.LBB139_7:                              ;   Parent Loop BB139_4 Depth=1
                                        ; =>  This Inner Loop Header: Depth=2
	s_and_b32 vcc_lo, exec_lo, s34
	s_mov_b32 s18, -1
                                        ; implicit-def: $vgpr15
	s_cbranch_vccz .LBB139_9
; %bb.8:                                ;   in Loop: Header=BB139_7 Depth=2
	global_load_b32 v15, v[12:13], off
	s_mov_b32 s18, 0
.LBB139_9:                              ;   in Loop: Header=BB139_7 Depth=2
	s_delay_alu instid0(SALU_CYCLE_1)
	s_and_not1_b32 vcc_lo, exec_lo, s18
	s_cbranch_vccnz .LBB139_6
; %bb.10:                               ;   in Loop: Header=BB139_7 Depth=2
	global_load_b32 v14, v[12:13], off
	s_wait_loadcnt 0x0
	v_xor_b32_e32 v15, 0x80000000, v14
	s_branch .LBB139_6
.LBB139_11:                             ;   in Loop: Header=BB139_4 Depth=1
	s_and_b32 vcc_lo, exec_lo, s37
	s_mov_b32 s15, -1
	s_cbranch_vccz .LBB139_17
; %bb.12:                               ;   in Loop: Header=BB139_4 Depth=1
	ds_load_b64 v[12:13], v24
                                        ; implicit-def: $vgpr14_vgpr15
	s_wait_dscnt 0x0
	v_cmp_ngt_f32_e64 s15, |v12|, |v13|
	s_and_saveexec_b32 s18, s15
	s_delay_alu instid0(SALU_CYCLE_1)
	s_xor_b32 s15, exec_lo, s18
	s_cbranch_execz .LBB139_14
; %bb.13:                               ;   in Loop: Header=BB139_4 Depth=1
	v_div_scale_f32 v14, null, v13, v13, v12
	v_div_scale_f32 v17, vcc_lo, v12, v13, v12
	s_delay_alu instid0(VALU_DEP_2) | instskip(SKIP_1) | instid1(TRANS32_DEP_1)
	v_rcp_f32_e32 v15, v14
	v_nop
	v_fma_f32 v16, -v14, v15, 1.0
	s_delay_alu instid0(VALU_DEP_1) | instskip(NEXT) | instid1(VALU_DEP_1)
	v_fmac_f32_e32 v15, v16, v15
	v_mul_f32_e32 v16, v17, v15
	s_delay_alu instid0(VALU_DEP_1) | instskip(NEXT) | instid1(VALU_DEP_1)
	v_fma_f32 v18, -v14, v16, v17
	v_fmac_f32_e32 v16, v18, v15
	s_delay_alu instid0(VALU_DEP_1) | instskip(NEXT) | instid1(VALU_DEP_1)
	v_fma_f32 v14, -v14, v16, v17
	v_div_fmas_f32 v14, v14, v15, v16
	s_delay_alu instid0(VALU_DEP_1) | instskip(NEXT) | instid1(VALU_DEP_1)
	v_div_fixup_f32 v14, v14, v13, v12
	v_fmac_f32_e32 v13, v12, v14
	s_delay_alu instid0(VALU_DEP_1) | instskip(SKIP_1) | instid1(VALU_DEP_2)
	v_div_scale_f32 v12, null, v13, v13, 1.0
	v_div_scale_f32 v17, vcc_lo, 1.0, v13, 1.0
	v_rcp_f32_e32 v15, v12
	v_nop
	s_delay_alu instid0(TRANS32_DEP_1) | instskip(NEXT) | instid1(VALU_DEP_1)
	v_fma_f32 v16, -v12, v15, 1.0
	v_fmac_f32_e32 v15, v16, v15
	s_delay_alu instid0(VALU_DEP_1) | instskip(NEXT) | instid1(VALU_DEP_1)
	v_mul_f32_e32 v16, v17, v15
	v_fma_f32 v18, -v12, v16, v17
	s_delay_alu instid0(VALU_DEP_1) | instskip(NEXT) | instid1(VALU_DEP_1)
	v_fmac_f32_e32 v16, v18, v15
	v_fma_f32 v12, -v12, v16, v17
	s_delay_alu instid0(VALU_DEP_1) | instskip(SKIP_1) | instid1(VALU_DEP_2)
	v_div_fmas_f32 v12, v12, v15, v16
	v_mul_f32_e32 v15, 0, v14
	v_div_fixup_f32 v12, v12, v13, 1.0
	s_delay_alu instid0(VALU_DEP_2) | instskip(NEXT) | instid1(VALU_DEP_1)
	v_pk_add_f32 v[14:15], v[14:15], v[2:3]
	v_pk_mul_f32 v[14:15], v[14:15], v[12:13] op_sel_hi:[1,0]
                                        ; implicit-def: $vgpr12_vgpr13
.LBB139_14:                             ;   in Loop: Header=BB139_4 Depth=1
	s_and_not1_saveexec_b32 s15, s15
	s_cbranch_execz .LBB139_16
; %bb.15:                               ;   in Loop: Header=BB139_4 Depth=1
	v_div_scale_f32 v14, null, v12, v12, v13
	v_div_scale_f32 v17, vcc_lo, v13, v12, v13
	s_delay_alu instid0(VALU_DEP_2) | instskip(SKIP_1) | instid1(TRANS32_DEP_1)
	v_rcp_f32_e32 v15, v14
	v_nop
	v_fma_f32 v16, -v14, v15, 1.0
	s_delay_alu instid0(VALU_DEP_1) | instskip(NEXT) | instid1(VALU_DEP_1)
	v_fmac_f32_e32 v15, v16, v15
	v_mul_f32_e32 v16, v17, v15
	s_delay_alu instid0(VALU_DEP_1) | instskip(NEXT) | instid1(VALU_DEP_1)
	v_fma_f32 v18, -v14, v16, v17
	v_fmac_f32_e32 v16, v18, v15
	s_delay_alu instid0(VALU_DEP_1) | instskip(NEXT) | instid1(VALU_DEP_1)
	v_fma_f32 v14, -v14, v16, v17
	v_div_fmas_f32 v14, v14, v15, v16
	s_delay_alu instid0(VALU_DEP_1) | instskip(NEXT) | instid1(VALU_DEP_1)
	v_div_fixup_f32 v15, v14, v12, v13
	v_fmac_f32_e32 v12, v13, v15
	s_delay_alu instid0(VALU_DEP_1) | instskip(SKIP_1) | instid1(VALU_DEP_2)
	v_div_scale_f32 v13, null, v12, v12, 1.0
	v_div_scale_f32 v17, vcc_lo, 1.0, v12, 1.0
	v_rcp_f32_e32 v14, v13
	v_nop
	s_delay_alu instid0(TRANS32_DEP_1) | instskip(NEXT) | instid1(VALU_DEP_1)
	v_fma_f32 v16, -v13, v14, 1.0
	v_fmac_f32_e32 v14, v16, v14
	s_delay_alu instid0(VALU_DEP_1) | instskip(NEXT) | instid1(VALU_DEP_1)
	v_mul_f32_e32 v16, v17, v14
	v_fma_f32 v18, -v13, v16, v17
	s_delay_alu instid0(VALU_DEP_1) | instskip(NEXT) | instid1(VALU_DEP_1)
	v_fmac_f32_e32 v16, v18, v14
	v_dual_fma_f32 v13, -v13, v16, v17 :: v_dual_mul_f32 v17, 0, v15
	v_sub_f32_e32 v15, 0, v15
	s_delay_alu instid0(VALU_DEP_2) | instskip(NEXT) | instid1(VALU_DEP_3)
	v_div_fmas_f32 v13, v13, v14, v16
	v_add_f32_e32 v14, 1.0, v17
	s_delay_alu instid0(VALU_DEP_2) | instskip(NEXT) | instid1(VALU_DEP_1)
	v_div_fixup_f32 v12, v13, v12, 1.0
	v_pk_mul_f32 v[14:15], v[14:15], v[12:13] op_sel_hi:[1,0]
.LBB139_16:                             ;   in Loop: Header=BB139_4 Depth=1
	s_or_b32 exec_lo, exec_lo, s15
	s_mov_b32 s15, 0
	ds_store_b64 v24, v[14:15]
.LBB139_17:                             ;   in Loop: Header=BB139_4 Depth=1
	s_and_b32 vcc_lo, exec_lo, s15
	s_cbranch_vccz .LBB139_19
; %bb.18:                               ;   in Loop: Header=BB139_4 Depth=1
	ds_store_b64 v24, v[10:11]
.LBB139_19:                             ;   in Loop: Header=BB139_4 Depth=1
	s_or_b32 exec_lo, exec_lo, s14
	s_mov_b32 s14, -1
	s_wait_dscnt 0x0
	; wave barrier
	s_and_saveexec_b32 s41, s1
	s_cbranch_execz .LBB139_3
; %bb.20:                               ;   in Loop: Header=BB139_4 Depth=1
	s_mul_u64 s[14:15], s[2:3], s[16:17]
	s_and_not1_b32 vcc_lo, exec_lo, s38
	v_lshl_add_u64 v[12:13], s[14:15], 3, v[4:5]
	s_mul_u64 s[14:15], s[12:13], s[16:17]
	s_mov_b32 s17, -1
	s_cbranch_vccnz .LBB139_54
; %bb.21:                               ;   in Loop: Header=BB139_4 Depth=1
	v_add_nc_u64_e32 v[14:15], s[14:15], v[8:9]
	s_mov_b32 s17, 0
	s_mov_b32 s26, 0
	s_branch .LBB139_23
.LBB139_22:                             ;   in Loop: Header=BB139_23 Depth=2
	s_cmp_lt_i32 s26, s35
	s_cselect_b32 s18, -1, 0
	s_add_co_i32 s27, s17, 1
	s_cmp_lt_u32 s17, 2
	s_wait_xcnt 0x0
	s_cselect_b32 s17, -1, 0
	s_delay_alu instid0(SALU_CYCLE_1) | instskip(NEXT) | instid1(SALU_CYCLE_1)
	s_and_b32 s17, s18, s17
	s_and_b32 vcc_lo, exec_lo, s17
	s_mov_b32 s17, s27
	s_cbranch_vccz .LBB139_53
.LBB139_23:                             ;   Parent Loop BB139_4 Depth=1
                                        ; =>  This Loop Header: Depth=2
                                        ;       Child Loop BB139_26 Depth 3
                                        ;         Child Loop BB139_28 Depth 4
                                        ;         Child Loop BB139_32 Depth 4
	;; [unrolled: 1-line block ×3, first 2 shown]
                                        ;           Child Loop BB139_38 Depth 5
                                        ;           Child Loop BB139_44 Depth 5
                                        ;         Child Loop BB139_47 Depth 4
                                        ;           Child Loop BB139_49 Depth 5
	s_load_b32 s28, s[10:11], s17 offset:0x0 scale_offset
	s_wait_kmcnt 0x0
	s_add_co_i32 s42, s28, -1
	s_delay_alu instid0(SALU_CYCLE_1) | instskip(NEXT) | instid1(SALU_CYCLE_1)
	s_add_co_i32 s18, s42, s26
	s_cmp_ge_i32 s18, s35
	s_cbranch_scc1 .LBB139_22
; %bb.24:                               ;   in Loop: Header=BB139_23 Depth=2
	s_max_i32 s43, s28, 1
	s_cmp_lg_u32 s17, 2
	s_mul_i32 s47, s26, 0x48
	s_cselect_b32 s44, -1, 0
	s_and_b32 s45, s43, 0x7ffffffe
	s_mul_i32 s48, s28, 0x48
	s_cmp_lg_u32 s43, s45
	s_cselect_b32 s46, -1, 0
	s_ashr_i32 s27, s26, 31
	s_ashr_i32 s29, s28, 31
	s_branch .LBB139_26
.LBB139_25:                             ;   in Loop: Header=BB139_26 Depth=3
	s_add_nc_u64 s[26:27], s[26:27], s[28:29]
	s_add_co_i32 s47, s47, s48
	s_add_co_i32 s18, s42, s26
	s_delay_alu instid0(SALU_CYCLE_1)
	s_cmp_ge_i32 s18, s35
	s_cbranch_scc1 .LBB139_22
.LBB139_26:                             ;   Parent Loop BB139_4 Depth=1
                                        ;     Parent Loop BB139_23 Depth=2
                                        ; =>    This Loop Header: Depth=3
                                        ;         Child Loop BB139_28 Depth 4
                                        ;         Child Loop BB139_32 Depth 4
	;; [unrolled: 1-line block ×3, first 2 shown]
                                        ;           Child Loop BB139_38 Depth 5
                                        ;           Child Loop BB139_44 Depth 5
                                        ;         Child Loop BB139_47 Depth 4
                                        ;           Child Loop BB139_49 Depth 5
	s_and_not1_b32 vcc_lo, exec_lo, s44
	s_cbranch_vccnz .LBB139_30
; %bb.27:                               ;   in Loop: Header=BB139_26 Depth=3
	s_wait_xcnt 0x0
	v_mov_b32_e32 v16, v1
	s_mov_b32 s30, s26
	s_mov_b32 s31, s26
	;; [unrolled: 1-line block ×5, first 2 shown]
.LBB139_28:                             ;   Parent Loop BB139_4 Depth=1
                                        ;     Parent Loop BB139_23 Depth=2
                                        ;       Parent Loop BB139_26 Depth=3
                                        ; =>      This Inner Loop Header: Depth=4
	s_add_co_i32 s52, s49, s31
	s_add_co_i32 s54, s50, s30
	s_ashr_i32 s53, s52, 31
	s_ashr_i32 s55, s54, 31
	v_lshl_add_u64 v[18:19], s[52:53], 3, v[12:13]
	v_lshl_add_u64 v[20:21], s[54:55], 3, v[12:13]
	s_add_co_i32 s51, s51, -2
	s_add_co_i32 s50, s50, 2
	s_add_co_i32 s49, s49, 2
	s_clause 0x1
	global_load_b64 v[22:23], v[18:19], off
	global_load_b64 v[26:27], v[20:21], off
	s_wait_xcnt 0x1
	v_mov_b64_e32 v[18:19], s[24:25]
	s_wait_xcnt 0x0
	v_mov_b64_e32 v[20:21], s[22:23]
	s_mov_b32 s18, s45
	s_cmp_lg_u32 s51, 0
	s_mov_b32 s52, s46
	s_wait_loadcnt 0x0
	v_dual_mov_b32 v29, v22 :: v_dual_mov_b32 v22, v27
	v_mov_b32_e32 v28, v26
	s_delay_alu instid0(VALU_DEP_2) | instskip(SKIP_1) | instid1(VALU_DEP_2)
	v_pk_mul_f32 v[26:27], v[22:23], v[18:19]
	v_pk_mul_f32 v[22:23], v[22:23], v[20:21]
	v_pk_fma_f32 v[26:27], v[28:29], v[20:21], v[26:27] neg_lo:[0,0,1] neg_hi:[0,0,1]
	s_delay_alu instid0(VALU_DEP_2) | instskip(NEXT) | instid1(VALU_DEP_1)
	v_pk_fma_f32 v[20:21], v[28:29], v[18:19], v[22:23]
	v_dual_mov_b32 v18, v26 :: v_dual_mov_b32 v19, v20
	s_delay_alu instid0(VALU_DEP_3)
	v_mov_b32_e32 v20, v27
	ds_store_b128 v16, v[18:21]
	v_add_nc_u32_e32 v16, 16, v16
	s_cbranch_scc1 .LBB139_28
; %bb.29:                               ;   in Loop: Header=BB139_26 Depth=3
	s_and_b32 vcc_lo, exec_lo, s52
	s_cbranch_vccnz .LBB139_31
	s_branch .LBB139_33
.LBB139_30:                             ;   in Loop: Header=BB139_26 Depth=3
	s_mov_b32 s18, 0
	s_cbranch_execz .LBB139_33
.LBB139_31:                             ;   in Loop: Header=BB139_26 Depth=3
	s_add_nc_u64 s[30:31], s[26:27], s[18:19]
	v_lshl_add_u32 v18, s18, 3, v1
	s_wait_xcnt 0x0
	v_lshl_add_u64 v[16:17], s[30:31], 3, v[14:15]
	s_sub_co_i32 s18, s43, s18
.LBB139_32:                             ;   Parent Loop BB139_4 Depth=1
                                        ;     Parent Loop BB139_23 Depth=2
                                        ;       Parent Loop BB139_26 Depth=3
                                        ; =>      This Inner Loop Header: Depth=4
	global_load_b64 v[20:21], v[16:17], off offset:-4
	v_mov_b64_e32 v[22:23], s[6:7]
	v_mov_b64_e32 v[26:27], s[20:21]
	s_wait_xcnt 0x0
	v_add_nc_u64_e32 v[16:17], 8, v[16:17]
	s_add_co_i32 s18, s18, -1
	s_delay_alu instid0(SALU_CYCLE_1) | instskip(SKIP_2) | instid1(VALU_DEP_1)
	s_cmp_eq_u32 s18, 0
	s_wait_loadcnt 0x0
	v_pk_mul_f32 v[22:23], v[20:21], v[22:23] op_sel:[1,0]
	v_pk_fma_f32 v[28:29], v[20:21], v[26:27], v[22:23] op_sel_hi:[0,1,1]
	v_pk_fma_f32 v[20:21], v[20:21], v[26:27], v[22:23] neg_lo:[0,0,1] neg_hi:[0,0,1]
	s_delay_alu instid0(VALU_DEP_2)
	v_mov_b32_e32 v21, v29
	ds_store_b64 v18, v[20:21]
	v_add_nc_u32_e32 v18, 8, v18
	s_cbranch_scc0 .LBB139_32
.LBB139_33:                             ;   in Loop: Header=BB139_26 Depth=3
	s_cmp_lt_i32 s26, 1
	s_cbranch_scc1 .LBB139_45
; %bb.34:                               ;   in Loop: Header=BB139_26 Depth=3
	s_mov_b32 s31, 0
	s_mov_b32 s30, s26
	;; [unrolled: 1-line block ×4, first 2 shown]
	s_branch .LBB139_36
.LBB139_35:                             ;   in Loop: Header=BB139_36 Depth=4
	s_add_co_i32 s18, s18, 1
	s_add_co_i32 s31, s31, 8
	s_cmp_eq_u32 s18, s26
	s_cbranch_scc1 .LBB139_45
.LBB139_36:                             ;   Parent Loop BB139_4 Depth=1
                                        ;     Parent Loop BB139_23 Depth=2
                                        ;       Parent Loop BB139_26 Depth=3
                                        ; =>      This Loop Header: Depth=4
                                        ;           Child Loop BB139_38 Depth 5
                                        ;           Child Loop BB139_44 Depth 5
	s_wait_xcnt 0x0
	v_lshl_add_u64 v[16:17], s[18:19], 3, v[12:13]
	s_and_b32 vcc_lo, exec_lo, s44
	global_load_b64 v[16:17], v[16:17], off
	s_cbranch_vccz .LBB139_40
; %bb.37:                               ;   in Loop: Header=BB139_36 Depth=4
	s_wait_loadcnt 0x0
	v_dual_mov_b32 v20, v16 :: v_dual_mov_b32 v21, v16
	v_dual_mov_b32 v18, v17 :: v_dual_mov_b32 v22, v17
	;; [unrolled: 1-line block ×3, first 2 shown]
	s_lshl_b32 s50, s18, 3
	s_mov_b32 s51, 1
	s_mov_b32 s52, 0
	;; [unrolled: 1-line block ×3, first 2 shown]
.LBB139_38:                             ;   Parent Loop BB139_4 Depth=1
                                        ;     Parent Loop BB139_23 Depth=2
                                        ;       Parent Loop BB139_26 Depth=3
                                        ;         Parent Loop BB139_36 Depth=4
                                        ; =>        This Inner Loop Header: Depth=5
	s_add_co_i32 s54, s52, s30
	s_add_co_i32 s55, s51, s49
	s_lshl_b32 s54, s54, 6
	s_lshl_b32 s55, s55, 6
	s_add_co_i32 s54, s50, s54
	s_add_co_i32 s55, s50, s55
	s_delay_alu instid0(SALU_CYCLE_1)
	v_dual_mov_b32 v25, s54 :: v_dual_mov_b32 v26, s55
	s_add_co_i32 s53, s53, -2
	s_add_co_i32 s52, s52, 2
	s_add_co_i32 s51, s51, 2
	ds_load_b64 v[30:31], v25
	ds_load_b64 v[32:33], v26
	ds_load_b128 v[26:29], v19
	s_cmp_lg_u32 s53, 0
	s_wait_dscnt 0x1
	v_dual_mov_b32 v36, v30 :: v_dual_mov_b32 v37, v32
	s_wait_dscnt 0x0
	v_dual_mov_b32 v32, v31 :: v_dual_mov_b32 v34, v26
	v_dual_mov_b32 v35, v28 :: v_dual_mov_b32 v28, v27
	s_delay_alu instid0(VALU_DEP_2) | instskip(SKIP_1) | instid1(VALU_DEP_2)
	v_pk_mul_f32 v[30:31], v[32:33], v[22:23]
	v_pk_mul_f32 v[32:33], v[32:33], v[20:21]
	v_pk_fma_f32 v[26:27], v[36:37], v[20:21], v[30:31] neg_lo:[0,0,1] neg_hi:[0,0,1]
	s_delay_alu instid0(VALU_DEP_2) | instskip(NEXT) | instid1(VALU_DEP_2)
	v_pk_fma_f32 v[30:31], v[36:37], v[22:23], v[32:33]
	v_pk_add_f32 v[32:33], v[34:35], v[26:27] neg_lo:[0,1] neg_hi:[0,1]
	s_delay_alu instid0(VALU_DEP_2) | instskip(NEXT) | instid1(VALU_DEP_1)
	v_pk_add_f32 v[28:29], v[28:29], v[30:31] neg_lo:[0,1] neg_hi:[0,1]
	v_dual_mov_b32 v26, v32 :: v_dual_mov_b32 v27, v28
	s_delay_alu instid0(VALU_DEP_3)
	v_mov_b32_e32 v28, v33
	ds_store_b128 v19, v[26:29]
	v_add_nc_u32_e32 v19, 16, v19
	s_cbranch_scc1 .LBB139_38
; %bb.39:                               ;   in Loop: Header=BB139_36 Depth=4
	s_mov_b32 s50, s46
	s_mov_b32 s51, s45
	s_branch .LBB139_42
.LBB139_40:                             ;   in Loop: Header=BB139_36 Depth=4
	s_wait_loadcnt 0x0
	v_mov_b32_e32 v18, v17
	s_mov_b32 s50, 0
	s_mov_b32 s51, s45
	s_cbranch_execz .LBB139_42
; %bb.41:                               ;   in Loop: Header=BB139_36 Depth=4
	s_mov_b32 s50, -1
	s_mov_b32 s51, 0
.LBB139_42:                             ;   in Loop: Header=BB139_36 Depth=4
	s_and_not1_b32 vcc_lo, exec_lo, s50
	s_cbranch_vccnz .LBB139_35
; %bb.43:                               ;   in Loop: Header=BB139_36 Depth=4
	s_add_co_i32 s50, s26, s51
	s_wait_xcnt 0x0
	v_dual_mov_b32 v19, v17 :: v_dual_mov_b32 v17, v16
	v_lshl_add_u32 v20, s51, 3, v1
	s_lshl_b32 s52, s50, 6
	s_sub_co_i32 s50, s43, s51
	s_add_co_i32 s51, s31, s52
.LBB139_44:                             ;   Parent Loop BB139_4 Depth=1
                                        ;     Parent Loop BB139_23 Depth=2
                                        ;       Parent Loop BB139_26 Depth=3
                                        ;         Parent Loop BB139_36 Depth=4
                                        ; =>        This Inner Loop Header: Depth=5
	s_delay_alu instid0(SALU_CYCLE_1)
	v_mov_b32_e32 v21, s51
	s_add_co_i32 s50, s50, -1
	s_add_co_i32 s51, s51, 64
	s_cmp_eq_u32 s50, 0
	ds_load_b64 v[22:23], v21
	ds_load_b64 v[26:27], v20
	s_wait_dscnt 0x1
	v_pk_mul_f32 v[28:29], v[22:23], v[18:19] op_sel:[1,0] op_sel_hi:[0,1]
	s_delay_alu instid0(VALU_DEP_1) | instskip(SKIP_1) | instid1(VALU_DEP_2)
	v_pk_fma_f32 v[30:31], v[22:23], v[16:17], v[28:29]
	v_pk_fma_f32 v[22:23], v[22:23], v[16:17], v[28:29] neg_lo:[0,0,1] neg_hi:[0,0,1]
	v_mov_b32_e32 v23, v31
	s_wait_dscnt 0x0
	s_delay_alu instid0(VALU_DEP_1)
	v_pk_add_f32 v[22:23], v[26:27], v[22:23] neg_lo:[0,1] neg_hi:[0,1]
	ds_store_b64 v20, v[22:23]
	v_add_nc_u32_e32 v20, 8, v20
	s_cbranch_scc0 .LBB139_44
	s_branch .LBB139_35
.LBB139_45:                             ;   in Loop: Header=BB139_26 Depth=3
	s_mov_b32 s18, 0
	s_mov_b32 s49, s47
	s_branch .LBB139_47
.LBB139_46:                             ;   in Loop: Header=BB139_47 Depth=4
	s_mul_i32 s31, s30, 0x48
	s_add_co_i32 s18, s18, 1
	s_wait_xcnt 0x0
	v_mov_b32_e32 v17, s31
	s_ashr_i32 s31, s30, 31
	s_add_co_i32 s49, s49, 64
	s_cmp_eq_u32 s18, s43
	ds_load_b64 v[20:21], v17
	s_wait_dscnt 0x0
	v_pk_mul_f32 v[22:23], v[20:21], v[18:19] op_sel:[1,0] op_sel_hi:[0,0]
	s_delay_alu instid0(VALU_DEP_1) | instskip(SKIP_2) | instid1(VALU_DEP_3)
	v_pk_fma_f32 v[26:27], v[20:21], v[16:17], v[22:23] op_sel_hi:[1,0,1]
	v_pk_fma_f32 v[16:17], v[20:21], v[16:17], v[22:23] neg_lo:[0,0,1] neg_hi:[0,0,1]
	v_lshl_add_u64 v[20:21], s[30:31], 3, v[12:13]
	v_mov_b32_e32 v17, v27
	ds_store_b64 v19, v[16:17]
	global_store_b64 v[20:21], v[16:17], off
	s_cbranch_scc1 .LBB139_25
.LBB139_47:                             ;   Parent Loop BB139_4 Depth=1
                                        ;     Parent Loop BB139_23 Depth=2
                                        ;       Parent Loop BB139_26 Depth=3
                                        ; =>      This Loop Header: Depth=4
                                        ;           Child Loop BB139_49 Depth 5
	v_lshl_add_u32 v19, s18, 3, v1
	s_cmp_lg_u32 s18, 0
	s_cbranch_scc0 .LBB139_51
; %bb.48:                               ;   in Loop: Header=BB139_47 Depth=4
	s_wait_xcnt 0x0
	ds_load_b64 v[16:17], v19
	v_mov_b32_e32 v18, v1
	s_mov_b32 s30, s49
	s_mov_b32 s31, s18
.LBB139_49:                             ;   Parent Loop BB139_4 Depth=1
                                        ;     Parent Loop BB139_23 Depth=2
                                        ;       Parent Loop BB139_26 Depth=3
                                        ;         Parent Loop BB139_47 Depth=4
                                        ; =>        This Inner Loop Header: Depth=5
	v_mov_b32_e32 v22, s30
	s_add_co_i32 s31, s31, -1
	s_add_co_i32 s30, s30, 8
	s_cmp_eq_u32 s31, 0
	ds_load_b64 v[20:21], v18
	ds_load_b64 v[22:23], v22
	v_add_nc_u32_e32 v18, 8, v18
	s_wait_dscnt 0x0
	v_pk_mul_f32 v[26:27], v[22:23], v[20:21] op_sel:[1,1] op_sel_hi:[0,1]
	s_delay_alu instid0(VALU_DEP_1) | instskip(SKIP_1) | instid1(VALU_DEP_2)
	v_pk_fma_f32 v[28:29], v[22:23], v[20:21], v[26:27] op_sel_hi:[1,0,1]
	v_pk_fma_f32 v[20:21], v[22:23], v[20:21], v[26:27] neg_lo:[0,0,1] neg_hi:[0,0,1]
	v_mov_b32_e32 v21, v29
	s_delay_alu instid0(VALU_DEP_1)
	v_pk_add_f32 v[16:17], v[16:17], v[20:21] neg_lo:[0,1] neg_hi:[0,1]
	ds_store_b64 v19, v[16:17]
	s_cbranch_scc0 .LBB139_49
; %bb.50:                               ;   in Loop: Header=BB139_47 Depth=4
	v_mov_b32_e32 v18, v17
	s_add_co_i32 s30, s18, s26
	s_branch .LBB139_46
.LBB139_51:                             ;   in Loop: Header=BB139_47 Depth=4
                                        ; implicit-def: $vgpr16
                                        ; implicit-def: $vgpr18
                                        ; implicit-def: $sgpr30
	s_cbranch_execz .LBB139_46
; %bb.52:                               ;   in Loop: Header=BB139_47 Depth=4
	s_wait_xcnt 0x0
	ds_load_b64 v[16:17], v1
	s_mov_b32 s30, s26
	s_wait_dscnt 0x0
	v_mov_b32_e32 v18, v17
	s_branch .LBB139_46
.LBB139_53:                             ;   in Loop: Header=BB139_4 Depth=1
	s_mov_b32 s17, 0
.LBB139_54:                             ;   in Loop: Header=BB139_4 Depth=1
	s_delay_alu instid0(SALU_CYCLE_1)
	s_and_b32 vcc_lo, exec_lo, s17
	s_cbranch_vccz .LBB139_2
; %bb.55:                               ;   in Loop: Header=BB139_4 Depth=1
	v_add_nc_u64_e32 v[14:15], s[14:15], v[8:9]
	s_mov_b32 s17, 0
	s_mov_b32 s14, s36
	s_branch .LBB139_57
.LBB139_56:                             ;   in Loop: Header=BB139_57 Depth=2
	s_cmp_gt_i32 s14, -1
	s_cselect_b32 s15, -1, 0
	s_add_co_i32 s18, s17, 1
	s_cmp_lt_u32 s17, 2
	s_cselect_b32 s17, -1, 0
	s_delay_alu instid0(SALU_CYCLE_1)
	s_and_b32 s15, s15, s17
	s_mov_b32 s17, s18
	s_and_not1_b32 vcc_lo, exec_lo, s15
	s_cbranch_vccnz .LBB139_2
.LBB139_57:                             ;   Parent Loop BB139_4 Depth=1
                                        ; =>  This Loop Header: Depth=2
                                        ;       Child Loop BB139_60 Depth 3
                                        ;         Child Loop BB139_62 Depth 4
                                        ;         Child Loop BB139_66 Depth 4
	;; [unrolled: 1-line block ×3, first 2 shown]
                                        ;           Child Loop BB139_72 Depth 5
                                        ;           Child Loop BB139_78 Depth 5
                                        ;         Child Loop BB139_81 Depth 4
                                        ;           Child Loop BB139_83 Depth 5
	s_load_b32 s30, s[10:11], s17 offset:0x0 scale_offset
	s_wait_kmcnt 0x0
	s_add_co_i32 s31, s30, -1
	s_delay_alu instid0(SALU_CYCLE_1)
	s_cmp_lt_i32 s14, s31
	s_cbranch_scc1 .LBB139_56
; %bb.58:                               ;   in Loop: Header=BB139_57 Depth=2
	s_max_i32 s42, s30, 1
	s_cmp_lg_u32 s17, 2
	s_mul_i32 s48, s14, 0x48
	s_cselect_b32 s43, -1, 0
	s_and_b32 s44, s42, 0x7ffffffe
	s_mul_i32 s49, s30, 0xffffffb8
	s_cmp_lg_u32 s42, s44
	s_cselect_b32 s45, -1, 0
	s_lshl_b32 s15, s14, 3
	s_lshl_b32 s18, s30, 3
	s_add_co_i32 s46, s39, s15
	s_sub_co_i32 s47, 0, s18
	s_branch .LBB139_60
.LBB139_59:                             ;   in Loop: Header=BB139_60 Depth=3
	s_sub_co_i32 s14, s14, s30
	s_add_co_i32 s46, s46, s47
	s_add_co_i32 s48, s48, s49
	s_cmp_lt_i32 s14, s31
	s_cbranch_scc1 .LBB139_56
.LBB139_60:                             ;   Parent Loop BB139_4 Depth=1
                                        ;     Parent Loop BB139_57 Depth=2
                                        ; =>    This Loop Header: Depth=3
                                        ;         Child Loop BB139_62 Depth 4
                                        ;         Child Loop BB139_66 Depth 4
                                        ;         Child Loop BB139_70 Depth 4
                                        ;           Child Loop BB139_72 Depth 5
                                        ;           Child Loop BB139_78 Depth 5
                                        ;         Child Loop BB139_81 Depth 4
                                        ;           Child Loop BB139_83 Depth 5
	s_and_not1_b32 vcc_lo, exec_lo, s43
	s_cbranch_vccnz .LBB139_64
; %bb.61:                               ;   in Loop: Header=BB139_60 Depth=3
	s_wait_xcnt 0x0
	v_mov_b32_e32 v16, v1
	s_mov_b32 s15, s14
	s_mov_b32 s26, 1
	s_mov_b32 s27, 0
	s_mov_b32 s28, s44
.LBB139_62:                             ;   Parent Loop BB139_4 Depth=1
                                        ;     Parent Loop BB139_57 Depth=2
                                        ;       Parent Loop BB139_60 Depth=3
                                        ; =>      This Inner Loop Header: Depth=4
	s_sub_co_i32 s50, s15, s26
	s_sub_co_i32 s52, s14, s27
	s_ashr_i32 s51, s50, 31
	s_ashr_i32 s53, s52, 31
	v_lshl_add_u64 v[18:19], s[50:51], 3, v[12:13]
	v_lshl_add_u64 v[20:21], s[52:53], 3, v[12:13]
	s_add_co_i32 s28, s28, -2
	s_add_co_i32 s27, s27, 2
	s_add_co_i32 s26, s26, 2
	s_clause 0x1
	global_load_b64 v[22:23], v[18:19], off
	global_load_b64 v[26:27], v[20:21], off
	s_wait_xcnt 0x1
	v_mov_b64_e32 v[18:19], s[24:25]
	s_wait_xcnt 0x0
	v_mov_b64_e32 v[20:21], s[22:23]
	s_mov_b32 s18, s44
	s_cmp_lg_u32 s28, 0
	s_mov_b32 s29, s45
	s_wait_loadcnt 0x0
	v_dual_mov_b32 v29, v22 :: v_dual_mov_b32 v22, v27
	v_mov_b32_e32 v28, v26
	s_delay_alu instid0(VALU_DEP_2) | instskip(SKIP_1) | instid1(VALU_DEP_2)
	v_pk_mul_f32 v[26:27], v[22:23], v[18:19]
	v_pk_mul_f32 v[22:23], v[22:23], v[20:21]
	v_pk_fma_f32 v[26:27], v[28:29], v[20:21], v[26:27] neg_lo:[0,0,1] neg_hi:[0,0,1]
	s_delay_alu instid0(VALU_DEP_2) | instskip(NEXT) | instid1(VALU_DEP_1)
	v_pk_fma_f32 v[20:21], v[28:29], v[18:19], v[22:23]
	v_dual_mov_b32 v18, v26 :: v_dual_mov_b32 v19, v20
	s_delay_alu instid0(VALU_DEP_3)
	v_mov_b32_e32 v20, v27
	ds_store_b128 v16, v[18:21]
	v_add_nc_u32_e32 v16, 16, v16
	s_cbranch_scc1 .LBB139_62
; %bb.63:                               ;   in Loop: Header=BB139_60 Depth=3
	s_and_b32 vcc_lo, exec_lo, s29
	s_ashr_i32 s15, s14, 31
	s_cbranch_vccnz .LBB139_65
	s_branch .LBB139_67
.LBB139_64:                             ;   in Loop: Header=BB139_60 Depth=3
	s_mov_b32 s18, 0
	s_ashr_i32 s15, s14, 31
	s_cbranch_execz .LBB139_67
.LBB139_65:                             ;   in Loop: Header=BB139_60 Depth=3
	s_lshl_b64 s[26:27], s[14:15], 3
	s_lshl_b64 s[28:29], s[18:19], 3
	v_lshl_add_u32 v18, s18, 3, v1
	s_sub_nc_u64 s[26:27], s[26:27], s[28:29]
	s_sub_co_i32 s18, s42, s18
	s_wait_xcnt 0x0
	v_add_nc_u64_e32 v[16:17], s[26:27], v[14:15]
.LBB139_66:                             ;   Parent Loop BB139_4 Depth=1
                                        ;     Parent Loop BB139_57 Depth=2
                                        ;       Parent Loop BB139_60 Depth=3
                                        ; =>      This Inner Loop Header: Depth=4
	global_load_b64 v[20:21], v[16:17], off offset:-4
	v_mov_b64_e32 v[22:23], s[6:7]
	v_mov_b64_e32 v[26:27], s[20:21]
	s_wait_xcnt 0x0
	v_add_nc_u64_e32 v[16:17], -8, v[16:17]
	s_add_co_i32 s18, s18, -1
	s_delay_alu instid0(SALU_CYCLE_1) | instskip(SKIP_2) | instid1(VALU_DEP_1)
	s_cmp_eq_u32 s18, 0
	s_wait_loadcnt 0x0
	v_pk_mul_f32 v[22:23], v[20:21], v[22:23] op_sel:[1,0]
	v_pk_fma_f32 v[28:29], v[20:21], v[26:27], v[22:23] op_sel_hi:[0,1,1]
	v_pk_fma_f32 v[20:21], v[20:21], v[26:27], v[22:23] neg_lo:[0,0,1] neg_hi:[0,0,1]
	s_delay_alu instid0(VALU_DEP_2)
	v_mov_b32_e32 v21, v29
	ds_store_b64 v18, v[20:21]
	v_add_nc_u32_e32 v18, 8, v18
	s_cbranch_scc0 .LBB139_66
.LBB139_67:                             ;   in Loop: Header=BB139_60 Depth=3
	s_cmp_le_i32 s36, s14
	s_cbranch_scc1 .LBB139_79
; %bb.68:                               ;   in Loop: Header=BB139_60 Depth=3
	s_mov_b32 s18, s14
	s_mov_b32 s28, s14
	;; [unrolled: 1-line block ×4, first 2 shown]
	s_branch .LBB139_70
.LBB139_69:                             ;   in Loop: Header=BB139_70 Depth=4
	s_add_co_i32 s26, s26, -1
	s_sub_co_i32 s29, s29, 64
	s_cmp_le_i32 s26, s14
	s_cbranch_scc1 .LBB139_79
.LBB139_70:                             ;   Parent Loop BB139_4 Depth=1
                                        ;     Parent Loop BB139_57 Depth=2
                                        ;       Parent Loop BB139_60 Depth=3
                                        ; =>      This Loop Header: Depth=4
                                        ;           Child Loop BB139_72 Depth 5
                                        ;           Child Loop BB139_78 Depth 5
	s_ashr_i32 s27, s26, 31
	s_and_b32 vcc_lo, exec_lo, s43
	s_wait_xcnt 0x0
	v_lshl_add_u64 v[16:17], s[26:27], 3, v[12:13]
	global_load_b64 v[16:17], v[16:17], off
	s_cbranch_vccz .LBB139_74
; %bb.71:                               ;   in Loop: Header=BB139_70 Depth=4
	s_wait_loadcnt 0x0
	v_dual_mov_b32 v20, v16 :: v_dual_mov_b32 v21, v16
	v_dual_mov_b32 v18, v17 :: v_dual_mov_b32 v22, v17
	;; [unrolled: 1-line block ×3, first 2 shown]
	s_lshl_b32 s27, s26, 6
	s_mov_b32 s50, 1
	s_mov_b32 s51, 0
	s_mov_b32 s52, s44
.LBB139_72:                             ;   Parent Loop BB139_4 Depth=1
                                        ;     Parent Loop BB139_57 Depth=2
                                        ;       Parent Loop BB139_60 Depth=3
                                        ;         Parent Loop BB139_70 Depth=4
                                        ; =>        This Inner Loop Header: Depth=5
	s_sub_co_i32 s53, s18, s51
	s_sub_co_i32 s54, s28, s50
	s_lshl_b32 s53, s53, 3
	s_lshl_b32 s54, s54, 3
	s_add_co_i32 s53, s27, s53
	s_add_co_i32 s54, s27, s54
	s_delay_alu instid0(SALU_CYCLE_1)
	v_dual_mov_b32 v25, s53 :: v_dual_mov_b32 v26, s54
	s_add_co_i32 s52, s52, -2
	s_add_co_i32 s51, s51, 2
	s_add_co_i32 s50, s50, 2
	ds_load_b64 v[30:31], v25
	ds_load_b64 v[32:33], v26
	ds_load_b128 v[26:29], v19
	s_cmp_lg_u32 s52, 0
	s_wait_dscnt 0x1
	v_dual_mov_b32 v36, v30 :: v_dual_mov_b32 v37, v32
	s_wait_dscnt 0x0
	v_dual_mov_b32 v32, v31 :: v_dual_mov_b32 v34, v26
	v_dual_mov_b32 v35, v28 :: v_dual_mov_b32 v28, v27
	s_delay_alu instid0(VALU_DEP_2) | instskip(SKIP_1) | instid1(VALU_DEP_2)
	v_pk_mul_f32 v[30:31], v[32:33], v[22:23]
	v_pk_mul_f32 v[32:33], v[32:33], v[20:21]
	v_pk_fma_f32 v[26:27], v[36:37], v[20:21], v[30:31] neg_lo:[0,0,1] neg_hi:[0,0,1]
	s_delay_alu instid0(VALU_DEP_2) | instskip(NEXT) | instid1(VALU_DEP_2)
	v_pk_fma_f32 v[30:31], v[36:37], v[22:23], v[32:33]
	v_pk_add_f32 v[32:33], v[34:35], v[26:27] neg_lo:[0,1] neg_hi:[0,1]
	s_delay_alu instid0(VALU_DEP_2) | instskip(NEXT) | instid1(VALU_DEP_1)
	v_pk_add_f32 v[28:29], v[28:29], v[30:31] neg_lo:[0,1] neg_hi:[0,1]
	v_dual_mov_b32 v26, v32 :: v_dual_mov_b32 v27, v28
	s_delay_alu instid0(VALU_DEP_3)
	v_mov_b32_e32 v28, v33
	ds_store_b128 v19, v[26:29]
	v_add_nc_u32_e32 v19, 16, v19
	s_cbranch_scc1 .LBB139_72
; %bb.73:                               ;   in Loop: Header=BB139_70 Depth=4
	s_mov_b32 s27, s45
	s_mov_b32 s50, s44
	s_branch .LBB139_76
.LBB139_74:                             ;   in Loop: Header=BB139_70 Depth=4
	s_wait_loadcnt 0x0
	v_mov_b32_e32 v18, v17
	s_mov_b32 s27, 0
	s_mov_b32 s50, s44
	s_cbranch_execz .LBB139_76
; %bb.75:                               ;   in Loop: Header=BB139_70 Depth=4
	s_mov_b32 s27, -1
	s_mov_b32 s50, 0
.LBB139_76:                             ;   in Loop: Header=BB139_70 Depth=4
	s_and_not1_b32 vcc_lo, exec_lo, s27
	s_cbranch_vccnz .LBB139_69
; %bb.77:                               ;   in Loop: Header=BB139_70 Depth=4
	s_lshl_b32 s51, s50, 3
	s_wait_xcnt 0x0
	v_dual_mov_b32 v19, v17 :: v_dual_mov_b32 v17, v16
	v_add_nc_u32_e32 v20, s51, v1
	s_sub_co_i32 s27, s42, s50
	s_sub_co_i32 s50, s29, s51
.LBB139_78:                             ;   Parent Loop BB139_4 Depth=1
                                        ;     Parent Loop BB139_57 Depth=2
                                        ;       Parent Loop BB139_60 Depth=3
                                        ;         Parent Loop BB139_70 Depth=4
                                        ; =>        This Inner Loop Header: Depth=5
	s_delay_alu instid0(SALU_CYCLE_1)
	v_mov_b32_e32 v21, s50
	s_add_co_i32 s27, s27, -1
	s_add_co_i32 s50, s50, -8
	s_cmp_eq_u32 s27, 0
	ds_load_b64 v[22:23], v21
	ds_load_b64 v[26:27], v20
	s_wait_dscnt 0x1
	v_pk_mul_f32 v[28:29], v[22:23], v[18:19] op_sel:[1,0] op_sel_hi:[0,1]
	s_delay_alu instid0(VALU_DEP_1) | instskip(SKIP_1) | instid1(VALU_DEP_2)
	v_pk_fma_f32 v[30:31], v[22:23], v[16:17], v[28:29]
	v_pk_fma_f32 v[22:23], v[22:23], v[16:17], v[28:29] neg_lo:[0,0,1] neg_hi:[0,0,1]
	v_mov_b32_e32 v23, v31
	s_wait_dscnt 0x0
	s_delay_alu instid0(VALU_DEP_1)
	v_pk_add_f32 v[22:23], v[26:27], v[22:23] neg_lo:[0,1] neg_hi:[0,1]
	ds_store_b64 v20, v[22:23]
	v_add_nc_u32_e32 v20, 8, v20
	s_cbranch_scc0 .LBB139_78
	s_branch .LBB139_69
.LBB139_79:                             ;   in Loop: Header=BB139_60 Depth=3
	s_mov_b32 s18, 0
	s_mov_b32 s50, s48
	s_branch .LBB139_81
.LBB139_80:                             ;   in Loop: Header=BB139_81 Depth=4
	s_mulk_i32 s28, 0x48
	s_add_co_i32 s18, s18, 1
	s_wait_xcnt 0x0
	v_mov_b32_e32 v17, s28
	s_add_co_i32 s50, s50, -8
	s_cmp_eq_u32 s18, s42
	ds_load_b64 v[20:21], v17
	s_wait_dscnt 0x0
	v_pk_mul_f32 v[22:23], v[20:21], v[18:19] op_sel:[1,0] op_sel_hi:[0,0]
	s_delay_alu instid0(VALU_DEP_1) | instskip(SKIP_2) | instid1(VALU_DEP_3)
	v_pk_fma_f32 v[26:27], v[20:21], v[16:17], v[22:23] op_sel_hi:[1,0,1]
	v_pk_fma_f32 v[16:17], v[20:21], v[16:17], v[22:23] neg_lo:[0,0,1] neg_hi:[0,0,1]
	v_lshl_add_u64 v[20:21], s[26:27], 3, v[12:13]
	v_mov_b32_e32 v17, v27
	ds_store_b64 v19, v[16:17]
	global_store_b64 v[20:21], v[16:17], off
	s_cbranch_scc1 .LBB139_59
.LBB139_81:                             ;   Parent Loop BB139_4 Depth=1
                                        ;     Parent Loop BB139_57 Depth=2
                                        ;       Parent Loop BB139_60 Depth=3
                                        ; =>      This Loop Header: Depth=4
                                        ;           Child Loop BB139_83 Depth 5
	v_lshl_add_u32 v19, s18, 3, v1
	s_cmp_lg_u32 s18, 0
	s_cbranch_scc0 .LBB139_85
; %bb.82:                               ;   in Loop: Header=BB139_81 Depth=4
	s_wait_xcnt 0x0
	ds_load_b64 v[16:17], v19
	v_mov_b32_e32 v18, v1
	s_mov_b32 s26, s50
	s_mov_b32 s27, s18
.LBB139_83:                             ;   Parent Loop BB139_4 Depth=1
                                        ;     Parent Loop BB139_57 Depth=2
                                        ;       Parent Loop BB139_60 Depth=3
                                        ;         Parent Loop BB139_81 Depth=4
                                        ; =>        This Inner Loop Header: Depth=5
	v_mov_b32_e32 v22, s26
	s_add_co_i32 s27, s27, -1
	s_sub_co_i32 s26, s26, 64
	s_cmp_eq_u32 s27, 0
	ds_load_b64 v[20:21], v18
	ds_load_b64 v[22:23], v22
	v_add_nc_u32_e32 v18, 8, v18
	s_wait_dscnt 0x0
	v_pk_mul_f32 v[26:27], v[22:23], v[20:21] op_sel:[1,1] op_sel_hi:[0,1]
	s_delay_alu instid0(VALU_DEP_1) | instskip(SKIP_1) | instid1(VALU_DEP_2)
	v_pk_fma_f32 v[28:29], v[22:23], v[20:21], v[26:27] op_sel_hi:[1,0,1]
	v_pk_fma_f32 v[20:21], v[22:23], v[20:21], v[26:27] neg_lo:[0,0,1] neg_hi:[0,0,1]
	v_mov_b32_e32 v21, v29
	s_delay_alu instid0(VALU_DEP_1)
	v_pk_add_f32 v[16:17], v[16:17], v[20:21] neg_lo:[0,1] neg_hi:[0,1]
	ds_store_b64 v19, v[16:17]
	s_cbranch_scc0 .LBB139_83
; %bb.84:                               ;   in Loop: Header=BB139_81 Depth=4
	s_sub_co_i32 s28, s14, s18
	v_mov_b32_e32 v18, v17
	s_ashr_i32 s29, s28, 31
	s_delay_alu instid0(SALU_CYCLE_1)
	s_mov_b64 s[26:27], s[28:29]
	s_branch .LBB139_80
.LBB139_85:                             ;   in Loop: Header=BB139_81 Depth=4
                                        ; implicit-def: $vgpr16
                                        ; implicit-def: $vgpr18
                                        ; implicit-def: $sgpr28
                                        ; implicit-def: $sgpr26_sgpr27
	s_cbranch_execz .LBB139_80
; %bb.86:                               ;   in Loop: Header=BB139_81 Depth=4
	s_wait_xcnt 0x0
	ds_load_b64 v[16:17], v1
	s_mov_b64 s[26:27], s[14:15]
	s_mov_b32 s28, s14
	s_wait_dscnt 0x0
	v_mov_b32_e32 v18, v17
	s_branch .LBB139_80
.LBB139_87:
	s_endpgm
	.section	.rodata,"a",@progbits
	.p2align	6, 0x0
	.amdhsa_kernel _ZL30rocblas_trsm_small_left_deviceILi8ELi8ELb0E19rocblas_complex_numIfES1_PKS1_PS1_Ev13rocblas_fill_18rocblas_operation_17rocblas_diagonal_iiT3_T4_lilT5_lili
		.amdhsa_group_segment_fixed_size 1024
		.amdhsa_private_segment_fixed_size 0
		.amdhsa_kernarg_size 360
		.amdhsa_user_sgpr_count 4
		.amdhsa_user_sgpr_dispatch_ptr 1
		.amdhsa_user_sgpr_queue_ptr 0
		.amdhsa_user_sgpr_kernarg_segment_ptr 1
		.amdhsa_user_sgpr_dispatch_id 0
		.amdhsa_user_sgpr_kernarg_preload_length 0
		.amdhsa_user_sgpr_kernarg_preload_offset 0
		.amdhsa_user_sgpr_private_segment_size 0
		.amdhsa_wavefront_size32 1
		.amdhsa_uses_dynamic_stack 0
		.amdhsa_enable_private_segment 0
		.amdhsa_system_sgpr_workgroup_id_x 1
		.amdhsa_system_sgpr_workgroup_id_y 0
		.amdhsa_system_sgpr_workgroup_id_z 1
		.amdhsa_system_sgpr_workgroup_info 0
		.amdhsa_system_vgpr_workitem_id 2
		.amdhsa_next_free_vgpr 38
		.amdhsa_next_free_sgpr 56
		.amdhsa_named_barrier_count 0
		.amdhsa_reserve_vcc 1
		.amdhsa_float_round_mode_32 0
		.amdhsa_float_round_mode_16_64 0
		.amdhsa_float_denorm_mode_32 3
		.amdhsa_float_denorm_mode_16_64 3
		.amdhsa_fp16_overflow 0
		.amdhsa_memory_ordered 1
		.amdhsa_forward_progress 1
		.amdhsa_inst_pref_size 32
		.amdhsa_round_robin_scheduling 0
		.amdhsa_exception_fp_ieee_invalid_op 0
		.amdhsa_exception_fp_denorm_src 0
		.amdhsa_exception_fp_ieee_div_zero 0
		.amdhsa_exception_fp_ieee_overflow 0
		.amdhsa_exception_fp_ieee_underflow 0
		.amdhsa_exception_fp_ieee_inexact 0
		.amdhsa_exception_int_div_zero 0
	.end_amdhsa_kernel
	.section	.text._ZL30rocblas_trsm_small_left_deviceILi8ELi8ELb0E19rocblas_complex_numIfES1_PKS1_PS1_Ev13rocblas_fill_18rocblas_operation_17rocblas_diagonal_iiT3_T4_lilT5_lili,"axG",@progbits,_ZL30rocblas_trsm_small_left_deviceILi8ELi8ELb0E19rocblas_complex_numIfES1_PKS1_PS1_Ev13rocblas_fill_18rocblas_operation_17rocblas_diagonal_iiT3_T4_lilT5_lili,comdat
.Lfunc_end139:
	.size	_ZL30rocblas_trsm_small_left_deviceILi8ELi8ELb0E19rocblas_complex_numIfES1_PKS1_PS1_Ev13rocblas_fill_18rocblas_operation_17rocblas_diagonal_iiT3_T4_lilT5_lili, .Lfunc_end139-_ZL30rocblas_trsm_small_left_deviceILi8ELi8ELb0E19rocblas_complex_numIfES1_PKS1_PS1_Ev13rocblas_fill_18rocblas_operation_17rocblas_diagonal_iiT3_T4_lilT5_lili
                                        ; -- End function
	.set _ZL30rocblas_trsm_small_left_deviceILi8ELi8ELb0E19rocblas_complex_numIfES1_PKS1_PS1_Ev13rocblas_fill_18rocblas_operation_17rocblas_diagonal_iiT3_T4_lilT5_lili.num_vgpr, 38
	.set _ZL30rocblas_trsm_small_left_deviceILi8ELi8ELb0E19rocblas_complex_numIfES1_PKS1_PS1_Ev13rocblas_fill_18rocblas_operation_17rocblas_diagonal_iiT3_T4_lilT5_lili.num_agpr, 0
	.set _ZL30rocblas_trsm_small_left_deviceILi8ELi8ELb0E19rocblas_complex_numIfES1_PKS1_PS1_Ev13rocblas_fill_18rocblas_operation_17rocblas_diagonal_iiT3_T4_lilT5_lili.numbered_sgpr, 56
	.set _ZL30rocblas_trsm_small_left_deviceILi8ELi8ELb0E19rocblas_complex_numIfES1_PKS1_PS1_Ev13rocblas_fill_18rocblas_operation_17rocblas_diagonal_iiT3_T4_lilT5_lili.num_named_barrier, 0
	.set _ZL30rocblas_trsm_small_left_deviceILi8ELi8ELb0E19rocblas_complex_numIfES1_PKS1_PS1_Ev13rocblas_fill_18rocblas_operation_17rocblas_diagonal_iiT3_T4_lilT5_lili.private_seg_size, 0
	.set _ZL30rocblas_trsm_small_left_deviceILi8ELi8ELb0E19rocblas_complex_numIfES1_PKS1_PS1_Ev13rocblas_fill_18rocblas_operation_17rocblas_diagonal_iiT3_T4_lilT5_lili.uses_vcc, 1
	.set _ZL30rocblas_trsm_small_left_deviceILi8ELi8ELb0E19rocblas_complex_numIfES1_PKS1_PS1_Ev13rocblas_fill_18rocblas_operation_17rocblas_diagonal_iiT3_T4_lilT5_lili.uses_flat_scratch, 0
	.set _ZL30rocblas_trsm_small_left_deviceILi8ELi8ELb0E19rocblas_complex_numIfES1_PKS1_PS1_Ev13rocblas_fill_18rocblas_operation_17rocblas_diagonal_iiT3_T4_lilT5_lili.has_dyn_sized_stack, 0
	.set _ZL30rocblas_trsm_small_left_deviceILi8ELi8ELb0E19rocblas_complex_numIfES1_PKS1_PS1_Ev13rocblas_fill_18rocblas_operation_17rocblas_diagonal_iiT3_T4_lilT5_lili.has_recursion, 0
	.set _ZL30rocblas_trsm_small_left_deviceILi8ELi8ELb0E19rocblas_complex_numIfES1_PKS1_PS1_Ev13rocblas_fill_18rocblas_operation_17rocblas_diagonal_iiT3_T4_lilT5_lili.has_indirect_call, 0
	.section	.AMDGPU.csdata,"",@progbits
; Kernel info:
; codeLenInByte = 4060
; TotalNumSgprs: 58
; NumVgprs: 38
; ScratchSize: 0
; MemoryBound: 0
; FloatMode: 240
; IeeeMode: 1
; LDSByteSize: 1024 bytes/workgroup (compile time only)
; SGPRBlocks: 0
; VGPRBlocks: 2
; NumSGPRsForWavesPerEU: 58
; NumVGPRsForWavesPerEU: 38
; NamedBarCnt: 0
; Occupancy: 16
; WaveLimiterHint : 0
; COMPUTE_PGM_RSRC2:SCRATCH_EN: 0
; COMPUTE_PGM_RSRC2:USER_SGPR: 4
; COMPUTE_PGM_RSRC2:TRAP_HANDLER: 0
; COMPUTE_PGM_RSRC2:TGID_X_EN: 1
; COMPUTE_PGM_RSRC2:TGID_Y_EN: 0
; COMPUTE_PGM_RSRC2:TGID_Z_EN: 1
; COMPUTE_PGM_RSRC2:TIDIG_COMP_CNT: 2
	.section	.text._ZL38rocblas_trsm_small_left_device_sharedBILi8ELi8ELb1E19rocblas_complex_numIfES1_PKS1_PS1_Ev13rocblas_fill_18rocblas_operation_17rocblas_diagonal_iiT3_T4_lilT5_lili,"axG",@progbits,_ZL38rocblas_trsm_small_left_device_sharedBILi8ELi8ELb1E19rocblas_complex_numIfES1_PKS1_PS1_Ev13rocblas_fill_18rocblas_operation_17rocblas_diagonal_iiT3_T4_lilT5_lili,comdat
	.globl	_ZL38rocblas_trsm_small_left_device_sharedBILi8ELi8ELb1E19rocblas_complex_numIfES1_PKS1_PS1_Ev13rocblas_fill_18rocblas_operation_17rocblas_diagonal_iiT3_T4_lilT5_lili ; -- Begin function _ZL38rocblas_trsm_small_left_device_sharedBILi8ELi8ELb1E19rocblas_complex_numIfES1_PKS1_PS1_Ev13rocblas_fill_18rocblas_operation_17rocblas_diagonal_iiT3_T4_lilT5_lili
	.p2align	8
	.type	_ZL38rocblas_trsm_small_left_device_sharedBILi8ELi8ELb1E19rocblas_complex_numIfES1_PKS1_PS1_Ev13rocblas_fill_18rocblas_operation_17rocblas_diagonal_iiT3_T4_lilT5_lili,@function
_ZL38rocblas_trsm_small_left_device_sharedBILi8ELi8ELb1E19rocblas_complex_numIfES1_PKS1_PS1_Ev13rocblas_fill_18rocblas_operation_17rocblas_diagonal_iiT3_T4_lilT5_lili: ; @_ZL38rocblas_trsm_small_left_device_sharedBILi8ELi8ELb1E19rocblas_complex_numIfES1_PKS1_PS1_Ev13rocblas_fill_18rocblas_operation_17rocblas_diagonal_iiT3_T4_lilT5_lili
; %bb.0:
	s_load_b32 s15, s[2:3], 0x60
	s_bfe_u32 s4, ttmp6, 0x40014
	s_lshr_b32 s5, ttmp7, 16
	s_add_co_i32 s4, s4, 1
	s_bfe_u32 s7, ttmp6, 0x40008
	s_mul_i32 s6, s5, s4
	s_getreg_b32 s4, hwreg(HW_REG_IB_STS2, 6, 4)
	s_add_co_i32 s7, s7, s6
	s_cmp_eq_u32 s4, 0
	s_mov_b32 s17, 0
	s_cselect_b32 s16, s5, s7
	s_wait_kmcnt 0x0
	s_cmp_ge_u32 s16, s15
	s_cbranch_scc1 .LBB140_81
; %bb.1:
	s_clause 0x1
	s_load_b32 s20, s[2:3], 0x30
	s_load_b96 s[12:14], s[2:3], 0x48
	s_load_b64 s[26:27], s[0:1], 0x4
	s_clause 0x2
	s_load_b128 s[8:11], s[2:3], 0x4
	s_load_b32 s5, s[2:3], 0x68
	s_load_b64 s[18:19], s[2:3], 0x14
	v_and_b32_e32 v8, 0x3ff, v0
	v_bfe_u32 v1, v0, 10, 10
	v_bfe_u32 v7, v0, 20, 10
	s_delay_alu instid0(VALU_DEP_3) | instskip(SKIP_1) | instid1(VALU_DEP_2)
	v_dual_mov_b32 v3, 0 :: v_dual_lshlrev_b32 v2, 3, v8
	v_lshlrev_b32_e32 v12, 6, v8
	v_add_nc_u32_e32 v20, 0x200, v2
	s_delay_alu instid0(VALU_DEP_2)
	v_add_nc_u32_e32 v21, v2, v12
	s_wait_kmcnt 0x0
	s_ashr_i32 s21, s20, 31
	s_ashr_i32 s0, s14, 31
	s_lshr_b32 s26, s26, 16
	s_cmp_lg_u32 s8, 0x71
	s_mul_i32 s26, s26, s27
	s_cselect_b32 s1, -1, 0
	s_bfe_u32 s6, ttmp6, 0x4000c
	s_min_i32 s22, s10, 8
	s_add_co_i32 s6, s6, 1
	s_add_co_i32 s24, s5, -1
	s_and_b32 s5, ttmp6, 15
	s_mul_i32 s6, ttmp9, s6
	s_add_co_i32 s23, s22, -1
	s_add_co_i32 s5, s5, s6
	s_cmp_eq_u32 s4, 0
	v_mul_u32_u24_e32 v9, s27, v1
	s_cselect_b32 s25, ttmp9, s5
	s_load_b128 s[4:7], s[2:3], 0x38
	s_lshl_b32 s28, s25, 3
	v_mul_u32_u24_e32 v10, s26, v8
	s_sub_co_i32 s11, s11, s28
	s_cmp_ge_u32 s25, s24
	v_mov_b64_e32 v[0:1], 0xbf80000000000000
	s_cselect_b32 s30, s11, 8
	s_ashr_i32 s29, s28, 31
	s_cmp_lg_u32 s9, 0x84
	v_add3_u32 v9, v10, v9, v7
	s_cselect_b32 s24, -1, 0
	s_cmp_gt_i32 s10, 0
	v_cmp_gt_i32_e32 vcc_lo, s30, v8
	s_cselect_b32 s31, -1, 0
	s_cmp_lg_u32 s8, 0x6f
	v_mov_b64_e32 v[10:11], 0x3f800000
	s_cselect_b32 s25, -1, 0
	s_lshl_b64 s[28:29], s[28:29], 3
	s_lshl_b64 s[8:9], s[12:13], 3
	v_or_b32_e32 v6, s28, v2
	s_wait_kmcnt 0x0
	s_add_nc_u64 s[6:7], s[6:7], s[8:9]
	s_clause 0x1
	s_load_b128 s[8:11], s[2:3], 0x20
	s_load_b64 s[12:13], s[2:3], 0x58
	s_wait_xcnt 0x0
	s_mov_b32 s2, s19
	s_mov_b32 s3, s18
	v_mad_nc_u64_u32 v[4:5], v6, s14, s[6:7]
	s_lshl_b64 s[4:5], s[4:5], 3
	s_delay_alu instid0(VALU_DEP_1)
	v_mad_u32 v5, s29, s14, v5
	s_and_b32 s14, vcc_lo, s31
	s_wait_kmcnt 0x0
	s_lshl_b64 s[6:7], s[10:11], 3
	s_lshl_b64 s[10:11], s[12:13], 3
	s_add_nc_u64 s[6:7], s[8:9], s[6:7]
	s_get_pc_i64 s[8:9]
	s_add_nc_u64 s[8:9], s[8:9], __const._ZL38rocblas_trsm_small_left_device_sharedBILi8ELi8ELb1E19rocblas_complex_numIfES1_PKS1_PS1_Ev13rocblas_fill_18rocblas_operation_17rocblas_diagonal_iiT3_T4_lilT5_lili.step_sizes@rel64+4
	s_delay_alu instid0(VALU_DEP_1)
	v_mad_u32 v5, v6, s0, v5
	v_add_nc_u64_e32 v[6:7], s[6:7], v[2:3]
	v_cmp_gt_i32_e64 s0, s22, v8
	v_lshl_add_u32 v3, v9, 6, 0x400
	s_lshl_b64 s[6:7], s[20:21], 3
	s_lshl_b32 s20, s22, 3
	s_delay_alu instid0(SALU_CYCLE_1)
	s_add_co_i32 s20, s20, -8
	v_add_nc_u64_e32 v[6:7], 4, v[6:7]
	v_add_nc_u64_e32 v[8:9], 4, v[4:5]
	s_branch .LBB140_3
.LBB140_2:                              ;   in Loop: Header=BB140_3 Depth=1
	s_or_b32 exec_lo, exec_lo, s21
	s_add_co_i32 s16, s16, 0x10000
	s_delay_alu instid0(SALU_CYCLE_1)
	s_cmp_lt_u32 s16, s15
	s_cbranch_scc0 .LBB140_81
.LBB140_3:                              ; =>This Loop Header: Depth=1
                                        ;     Child Loop BB140_6 Depth 2
                                        ;     Child Loop BB140_20 Depth 2
	;; [unrolled: 1-line block ×3, first 2 shown]
                                        ;       Child Loop BB140_27 Depth 3
                                        ;         Child Loop BB140_28 Depth 4
                                        ;         Child Loop BB140_32 Depth 4
                                        ;           Child Loop BB140_34 Depth 5
                                        ;           Child Loop BB140_40 Depth 5
                                        ;         Child Loop BB140_43 Depth 4
                                        ;           Child Loop BB140_45 Depth 5
                                        ;     Child Loop BB140_53 Depth 2
                                        ;       Child Loop BB140_56 Depth 3
                                        ;         Child Loop BB140_57 Depth 4
                                        ;         Child Loop BB140_61 Depth 4
                                        ;           Child Loop BB140_63 Depth 5
                                        ;           Child Loop BB140_69 Depth 5
                                        ;         Child Loop BB140_72 Depth 4
                                        ;           Child Loop BB140_74 Depth 5
                                        ;     Child Loop BB140_80 Depth 2
	s_and_saveexec_b32 s12, s0
	s_cbranch_execz .LBB140_18
; %bb.4:                                ;   in Loop: Header=BB140_3 Depth=1
	s_delay_alu instid0(VALU_DEP_2) | instskip(SKIP_2) | instid1(VALU_DEP_2)
	v_mad_nc_u64_u32 v[12:13], s4, s16, v[6:7]
	v_mov_b32_e32 v16, v2
	s_mov_b32 s13, s22
	v_mad_u32 v13, s5, s16, v13
	s_branch .LBB140_6
.LBB140_5:                              ;   in Loop: Header=BB140_6 Depth=2
	global_load_b32 v14, v[12:13], off offset:-4
	s_wait_xcnt 0x0
	v_add_nc_u64_e32 v[12:13], s[6:7], v[12:13]
	s_add_co_i32 s13, s13, -1
	s_delay_alu instid0(SALU_CYCLE_1)
	s_cmp_eq_u32 s13, 0
	s_wait_loadcnt 0x0
	ds_store_b64 v16, v[14:15]
	v_add_nc_u32_e32 v16, 64, v16
	s_cbranch_scc1 .LBB140_10
.LBB140_6:                              ;   Parent Loop BB140_3 Depth=1
                                        ; =>  This Inner Loop Header: Depth=2
	s_and_b32 vcc_lo, exec_lo, s1
	s_mov_b32 s21, -1
                                        ; implicit-def: $vgpr15
	s_cbranch_vccz .LBB140_8
; %bb.7:                                ;   in Loop: Header=BB140_6 Depth=2
	global_load_b32 v15, v[12:13], off
	s_mov_b32 s21, 0
.LBB140_8:                              ;   in Loop: Header=BB140_6 Depth=2
	s_delay_alu instid0(SALU_CYCLE_1)
	s_and_not1_b32 vcc_lo, exec_lo, s21
	s_cbranch_vccnz .LBB140_5
; %bb.9:                                ;   in Loop: Header=BB140_6 Depth=2
	global_load_b32 v14, v[12:13], off
	s_wait_loadcnt 0x0
	v_xor_b32_e32 v15, 0x80000000, v14
	s_branch .LBB140_5
.LBB140_10:                             ;   in Loop: Header=BB140_3 Depth=1
	s_and_b32 vcc_lo, exec_lo, s24
	s_mov_b32 s13, -1
	s_cbranch_vccz .LBB140_16
; %bb.11:                               ;   in Loop: Header=BB140_3 Depth=1
	ds_load_b64 v[12:13], v21
                                        ; implicit-def: $vgpr14_vgpr15
	s_wait_dscnt 0x0
	v_cmp_ngt_f32_e64 s13, |v12|, |v13|
	s_and_saveexec_b32 s21, s13
	s_delay_alu instid0(SALU_CYCLE_1)
	s_xor_b32 s13, exec_lo, s21
	s_cbranch_execz .LBB140_13
; %bb.12:                               ;   in Loop: Header=BB140_3 Depth=1
	v_div_scale_f32 v14, null, v13, v13, v12
	v_div_scale_f32 v17, vcc_lo, v12, v13, v12
	s_delay_alu instid0(VALU_DEP_2) | instskip(SKIP_1) | instid1(TRANS32_DEP_1)
	v_rcp_f32_e32 v15, v14
	v_nop
	v_fma_f32 v16, -v14, v15, 1.0
	s_delay_alu instid0(VALU_DEP_1) | instskip(NEXT) | instid1(VALU_DEP_1)
	v_fmac_f32_e32 v15, v16, v15
	v_mul_f32_e32 v16, v17, v15
	s_delay_alu instid0(VALU_DEP_1) | instskip(NEXT) | instid1(VALU_DEP_1)
	v_fma_f32 v18, -v14, v16, v17
	v_fmac_f32_e32 v16, v18, v15
	s_delay_alu instid0(VALU_DEP_1) | instskip(NEXT) | instid1(VALU_DEP_1)
	v_fma_f32 v14, -v14, v16, v17
	v_div_fmas_f32 v14, v14, v15, v16
	s_delay_alu instid0(VALU_DEP_1) | instskip(NEXT) | instid1(VALU_DEP_1)
	v_div_fixup_f32 v14, v14, v13, v12
	v_fmac_f32_e32 v13, v12, v14
	s_delay_alu instid0(VALU_DEP_1) | instskip(SKIP_1) | instid1(VALU_DEP_2)
	v_div_scale_f32 v12, null, v13, v13, 1.0
	v_div_scale_f32 v17, vcc_lo, 1.0, v13, 1.0
	v_rcp_f32_e32 v15, v12
	v_nop
	s_delay_alu instid0(TRANS32_DEP_1) | instskip(NEXT) | instid1(VALU_DEP_1)
	v_fma_f32 v16, -v12, v15, 1.0
	v_fmac_f32_e32 v15, v16, v15
	s_delay_alu instid0(VALU_DEP_1) | instskip(NEXT) | instid1(VALU_DEP_1)
	v_mul_f32_e32 v16, v17, v15
	v_fma_f32 v18, -v12, v16, v17
	s_delay_alu instid0(VALU_DEP_1) | instskip(NEXT) | instid1(VALU_DEP_1)
	v_fmac_f32_e32 v16, v18, v15
	v_fma_f32 v12, -v12, v16, v17
	s_delay_alu instid0(VALU_DEP_1) | instskip(SKIP_1) | instid1(VALU_DEP_2)
	v_div_fmas_f32 v12, v12, v15, v16
	v_mul_f32_e32 v15, 0, v14
	v_div_fixup_f32 v12, v12, v13, 1.0
	s_delay_alu instid0(VALU_DEP_2) | instskip(NEXT) | instid1(VALU_DEP_1)
	v_pk_add_f32 v[14:15], v[14:15], v[0:1]
	v_pk_mul_f32 v[14:15], v[14:15], v[12:13] op_sel_hi:[1,0]
                                        ; implicit-def: $vgpr12_vgpr13
.LBB140_13:                             ;   in Loop: Header=BB140_3 Depth=1
	s_and_not1_saveexec_b32 s13, s13
	s_cbranch_execz .LBB140_15
; %bb.14:                               ;   in Loop: Header=BB140_3 Depth=1
	v_div_scale_f32 v14, null, v12, v12, v13
	v_div_scale_f32 v17, vcc_lo, v13, v12, v13
	s_delay_alu instid0(VALU_DEP_2) | instskip(SKIP_1) | instid1(TRANS32_DEP_1)
	v_rcp_f32_e32 v15, v14
	v_nop
	v_fma_f32 v16, -v14, v15, 1.0
	s_delay_alu instid0(VALU_DEP_1) | instskip(NEXT) | instid1(VALU_DEP_1)
	v_fmac_f32_e32 v15, v16, v15
	v_mul_f32_e32 v16, v17, v15
	s_delay_alu instid0(VALU_DEP_1) | instskip(NEXT) | instid1(VALU_DEP_1)
	v_fma_f32 v18, -v14, v16, v17
	v_fmac_f32_e32 v16, v18, v15
	s_delay_alu instid0(VALU_DEP_1) | instskip(NEXT) | instid1(VALU_DEP_1)
	v_fma_f32 v14, -v14, v16, v17
	v_div_fmas_f32 v14, v14, v15, v16
	s_delay_alu instid0(VALU_DEP_1) | instskip(NEXT) | instid1(VALU_DEP_1)
	v_div_fixup_f32 v15, v14, v12, v13
	v_fmac_f32_e32 v12, v13, v15
	s_delay_alu instid0(VALU_DEP_1) | instskip(SKIP_1) | instid1(VALU_DEP_2)
	v_div_scale_f32 v13, null, v12, v12, 1.0
	v_div_scale_f32 v17, vcc_lo, 1.0, v12, 1.0
	v_rcp_f32_e32 v14, v13
	v_nop
	s_delay_alu instid0(TRANS32_DEP_1) | instskip(NEXT) | instid1(VALU_DEP_1)
	v_fma_f32 v16, -v13, v14, 1.0
	v_fmac_f32_e32 v14, v16, v14
	s_delay_alu instid0(VALU_DEP_1) | instskip(NEXT) | instid1(VALU_DEP_1)
	v_mul_f32_e32 v16, v17, v14
	v_fma_f32 v18, -v13, v16, v17
	s_delay_alu instid0(VALU_DEP_1) | instskip(NEXT) | instid1(VALU_DEP_1)
	v_fmac_f32_e32 v16, v18, v14
	v_dual_fma_f32 v13, -v13, v16, v17 :: v_dual_mul_f32 v17, 0, v15
	v_sub_f32_e32 v15, 0, v15
	s_delay_alu instid0(VALU_DEP_2) | instskip(NEXT) | instid1(VALU_DEP_3)
	v_div_fmas_f32 v13, v13, v14, v16
	v_add_f32_e32 v14, 1.0, v17
	s_delay_alu instid0(VALU_DEP_2) | instskip(NEXT) | instid1(VALU_DEP_1)
	v_div_fixup_f32 v12, v13, v12, 1.0
	v_pk_mul_f32 v[14:15], v[14:15], v[12:13] op_sel_hi:[1,0]
.LBB140_15:                             ;   in Loop: Header=BB140_3 Depth=1
	s_or_b32 exec_lo, exec_lo, s13
	s_mov_b32 s13, 0
	ds_store_b64 v21, v[14:15]
.LBB140_16:                             ;   in Loop: Header=BB140_3 Depth=1
	s_and_b32 vcc_lo, exec_lo, s13
	s_cbranch_vccz .LBB140_18
; %bb.17:                               ;   in Loop: Header=BB140_3 Depth=1
	ds_store_b64 v21, v[10:11]
.LBB140_18:                             ;   in Loop: Header=BB140_3 Depth=1
	s_or_b32 exec_lo, exec_lo, s12
	s_mul_u64 s[12:13], s[10:11], s[16:17]
	s_and_saveexec_b32 s21, s14
	s_cbranch_execz .LBB140_21
; %bb.19:                               ;   in Loop: Header=BB140_3 Depth=1
	v_add_nc_u64_e32 v[12:13], s[12:13], v[8:9]
	v_mov_b32_e32 v14, v20
	s_mov_b32 s26, s22
.LBB140_20:                             ;   Parent Loop BB140_3 Depth=1
                                        ; =>  This Inner Loop Header: Depth=2
	global_load_b64 v[16:17], v[12:13], off offset:-4
	v_mov_b64_e32 v[18:19], s[2:3]
	v_mov_b64_e32 v[22:23], s[18:19]
	s_wait_xcnt 0x0
	v_add_nc_u64_e32 v[12:13], 8, v[12:13]
	s_add_co_i32 s26, s26, -1
	s_delay_alu instid0(SALU_CYCLE_1) | instskip(SKIP_2) | instid1(VALU_DEP_1)
	s_cmp_lg_u32 s26, 0
	s_wait_loadcnt 0x0
	v_pk_mul_f32 v[18:19], v[18:19], v[16:17] op_sel:[0,1]
	v_pk_fma_f32 v[24:25], v[22:23], v[16:17], v[18:19] op_sel_hi:[1,0,1]
	v_pk_fma_f32 v[16:17], v[22:23], v[16:17], v[18:19] neg_lo:[0,0,1] neg_hi:[0,0,1]
	s_delay_alu instid0(VALU_DEP_2)
	v_mov_b32_e32 v17, v25
	ds_store_b64 v14, v[16:17]
	v_add_nc_u32_e32 v14, 64, v14
	s_cbranch_scc1 .LBB140_20
.LBB140_21:                             ;   in Loop: Header=BB140_3 Depth=1
	s_or_b32 exec_lo, exec_lo, s21
	s_delay_alu instid0(SALU_CYCLE_1)
	s_and_not1_b32 vcc_lo, exec_lo, s25
	s_mov_b32 s21, -1
	s_wait_dscnt 0x0
	; wave barrier
	s_cbranch_vccnz .LBB140_50
; %bb.22:                               ;   in Loop: Header=BB140_3 Depth=1
	s_mov_b32 s26, 0
	s_mov_b32 s21, s23
	s_branch .LBB140_24
.LBB140_23:                             ;   in Loop: Header=BB140_24 Depth=2
	s_cmp_gt_i32 s21, -1
	s_cselect_b32 s27, -1, 0
	s_add_co_i32 s28, s26, 1
	s_cmp_lt_u32 s26, 2
	s_wait_xcnt 0x0
	s_cselect_b32 s26, -1, 0
	s_delay_alu instid0(SALU_CYCLE_1) | instskip(NEXT) | instid1(SALU_CYCLE_1)
	s_and_b32 s26, s27, s26
	s_and_b32 vcc_lo, exec_lo, s26
	s_mov_b32 s26, s28
	s_cbranch_vccz .LBB140_49
.LBB140_24:                             ;   Parent Loop BB140_3 Depth=1
                                        ; =>  This Loop Header: Depth=2
                                        ;       Child Loop BB140_27 Depth 3
                                        ;         Child Loop BB140_28 Depth 4
                                        ;         Child Loop BB140_32 Depth 4
                                        ;           Child Loop BB140_34 Depth 5
                                        ;           Child Loop BB140_40 Depth 5
                                        ;         Child Loop BB140_43 Depth 4
                                        ;           Child Loop BB140_45 Depth 5
	s_load_b32 s27, s[8:9], s26 offset:0x0 scale_offset
	s_wait_kmcnt 0x0
	s_add_co_i32 s28, s27, -1
	s_delay_alu instid0(SALU_CYCLE_1)
	s_cmp_lt_i32 s21, s28
	s_cbranch_scc1 .LBB140_23
; %bb.25:                               ;   in Loop: Header=BB140_24 Depth=2
	s_max_i32 s29, s27, 1
	s_cmp_lg_u32 s26, 2
	s_mul_i32 s36, s21, 0x48
	s_cselect_b32 s30, -1, 0
	s_and_b32 s31, s29, 0x7ffffffe
	s_mul_i32 s37, s27, 0xffffffb8
	s_cmp_lg_u32 s29, s31
	s_cselect_b32 s33, -1, 0
	s_lshl_b32 s35, s21, 6
	s_lshl_b32 s34, s27, 6
	v_add_nc_u32_e32 v22, s35, v20
	s_sub_co_i32 s34, 0, s34
	s_add_co_i32 s35, s20, s35
	s_branch .LBB140_27
.LBB140_26:                             ;   in Loop: Header=BB140_27 Depth=3
	v_add_nc_u32_e32 v22, s34, v22
	s_sub_co_i32 s21, s21, s27
	s_add_co_i32 s35, s35, s34
	s_add_co_i32 s36, s36, s37
	s_cmp_lt_i32 s21, s28
	s_cbranch_scc1 .LBB140_23
.LBB140_27:                             ;   Parent Loop BB140_3 Depth=1
                                        ;     Parent Loop BB140_24 Depth=2
                                        ; =>    This Loop Header: Depth=3
                                        ;         Child Loop BB140_28 Depth 4
                                        ;         Child Loop BB140_32 Depth 4
                                        ;           Child Loop BB140_34 Depth 5
                                        ;           Child Loop BB140_40 Depth 5
                                        ;         Child Loop BB140_43 Depth 4
                                        ;           Child Loop BB140_45 Depth 5
	s_delay_alu instid0(VALU_DEP_1)
	v_dual_mov_b32 v12, v3 :: v_dual_mov_b32 v13, v22
	s_mov_b32 s38, s29
.LBB140_28:                             ;   Parent Loop BB140_3 Depth=1
                                        ;     Parent Loop BB140_24 Depth=2
                                        ;       Parent Loop BB140_27 Depth=3
                                        ; =>      This Inner Loop Header: Depth=4
	ds_load_b64 v[14:15], v13
	v_subrev_nc_u32_e32 v13, 64, v13
	s_add_co_i32 s38, s38, -1
	s_delay_alu instid0(SALU_CYCLE_1)
	s_cmp_eq_u32 s38, 0
	s_wait_dscnt 0x0
	ds_store_b64 v12, v[14:15]
	v_add_nc_u32_e32 v12, 8, v12
	s_cbranch_scc0 .LBB140_28
; %bb.29:                               ;   in Loop: Header=BB140_27 Depth=3
	s_cmp_le_i32 s23, s21
	s_cbranch_scc1 .LBB140_41
; %bb.30:                               ;   in Loop: Header=BB140_27 Depth=3
	s_mov_b32 s38, s21
	s_mov_b32 s39, s35
	s_mov_b32 s40, s23
	s_branch .LBB140_32
.LBB140_31:                             ;   in Loop: Header=BB140_32 Depth=4
	s_add_co_i32 s40, s40, -1
	s_add_co_i32 s39, s39, -8
	s_cmp_le_i32 s40, s21
	s_cbranch_scc1 .LBB140_41
.LBB140_32:                             ;   Parent Loop BB140_3 Depth=1
                                        ;     Parent Loop BB140_24 Depth=2
                                        ;       Parent Loop BB140_27 Depth=3
                                        ; =>      This Loop Header: Depth=4
                                        ;           Child Loop BB140_34 Depth 5
                                        ;           Child Loop BB140_40 Depth 5
	v_lshl_add_u32 v12, s40, 6, v20
	s_and_b32 vcc_lo, exec_lo, s30
	ds_load_b64 v[12:13], v12
	s_cbranch_vccz .LBB140_36
; %bb.33:                               ;   in Loop: Header=BB140_32 Depth=4
	s_wait_dscnt 0x0
	v_dual_mov_b32 v16, v12 :: v_dual_mov_b32 v17, v12
	v_dual_mov_b32 v14, v13 :: v_dual_mov_b32 v18, v13
	;; [unrolled: 1-line block ×3, first 2 shown]
	s_lshl_b32 s41, s40, 3
	s_mov_b32 s42, 1
	s_mov_b32 s43, 0
	;; [unrolled: 1-line block ×3, first 2 shown]
.LBB140_34:                             ;   Parent Loop BB140_3 Depth=1
                                        ;     Parent Loop BB140_24 Depth=2
                                        ;       Parent Loop BB140_27 Depth=3
                                        ;         Parent Loop BB140_32 Depth=4
                                        ; =>        This Inner Loop Header: Depth=5
	s_sub_co_i32 s45, s21, s43
	s_sub_co_i32 s46, s38, s42
	s_lshl_b32 s45, s45, 6
	s_lshl_b32 s46, s46, 6
	s_add_co_i32 s45, s41, s45
	s_add_co_i32 s46, s41, s46
	s_delay_alu instid0(SALU_CYCLE_1)
	v_dual_mov_b32 v23, s45 :: v_dual_mov_b32 v24, s46
	s_add_co_i32 s44, s44, -2
	s_add_co_i32 s43, s43, 2
	s_add_co_i32 s42, s42, 2
	ds_load_b64 v[28:29], v23
	ds_load_b64 v[30:31], v24
	ds_load_b128 v[24:27], v15
	s_cmp_lg_u32 s44, 0
	s_wait_dscnt 0x1
	v_dual_mov_b32 v34, v28 :: v_dual_mov_b32 v35, v30
	s_wait_dscnt 0x0
	v_dual_mov_b32 v30, v29 :: v_dual_mov_b32 v32, v24
	v_dual_mov_b32 v33, v26 :: v_dual_mov_b32 v26, v25
	s_delay_alu instid0(VALU_DEP_2) | instskip(SKIP_1) | instid1(VALU_DEP_2)
	v_pk_mul_f32 v[28:29], v[30:31], v[18:19]
	v_pk_mul_f32 v[30:31], v[30:31], v[16:17]
	v_pk_fma_f32 v[24:25], v[34:35], v[16:17], v[28:29] neg_lo:[0,0,1] neg_hi:[0,0,1]
	s_delay_alu instid0(VALU_DEP_2) | instskip(NEXT) | instid1(VALU_DEP_2)
	v_pk_fma_f32 v[28:29], v[34:35], v[18:19], v[30:31]
	v_pk_add_f32 v[30:31], v[32:33], v[24:25] neg_lo:[0,1] neg_hi:[0,1]
	s_delay_alu instid0(VALU_DEP_2) | instskip(NEXT) | instid1(VALU_DEP_1)
	v_pk_add_f32 v[26:27], v[26:27], v[28:29] neg_lo:[0,1] neg_hi:[0,1]
	v_dual_mov_b32 v24, v30 :: v_dual_mov_b32 v25, v26
	s_delay_alu instid0(VALU_DEP_3)
	v_mov_b32_e32 v26, v31
	ds_store_b128 v15, v[24:27]
	v_add_nc_u32_e32 v15, 16, v15
	s_cbranch_scc1 .LBB140_34
; %bb.35:                               ;   in Loop: Header=BB140_32 Depth=4
	s_mov_b32 s41, s33
	s_mov_b32 s42, s31
	s_branch .LBB140_38
.LBB140_36:                             ;   in Loop: Header=BB140_32 Depth=4
	s_wait_dscnt 0x0
	v_mov_b32_e32 v14, v13
	s_mov_b32 s41, 0
	s_mov_b32 s42, s31
	s_cbranch_execz .LBB140_38
; %bb.37:                               ;   in Loop: Header=BB140_32 Depth=4
	s_mov_b32 s41, -1
	s_mov_b32 s42, 0
.LBB140_38:                             ;   in Loop: Header=BB140_32 Depth=4
	s_and_not1_b32 vcc_lo, exec_lo, s41
	s_cbranch_vccnz .LBB140_31
; %bb.39:                               ;   in Loop: Header=BB140_32 Depth=4
	v_dual_mov_b32 v15, v13 :: v_dual_mov_b32 v13, v12
	v_lshl_add_u32 v16, s42, 3, v3
	s_lshl_b32 s43, s42, 6
	s_sub_co_i32 s41, s29, s42
	s_sub_co_i32 s42, s39, s43
.LBB140_40:                             ;   Parent Loop BB140_3 Depth=1
                                        ;     Parent Loop BB140_24 Depth=2
                                        ;       Parent Loop BB140_27 Depth=3
                                        ;         Parent Loop BB140_32 Depth=4
                                        ; =>        This Inner Loop Header: Depth=5
	s_delay_alu instid0(SALU_CYCLE_1)
	v_mov_b32_e32 v17, s42
	s_add_co_i32 s41, s41, -1
	s_sub_co_i32 s42, s42, 64
	s_cmp_eq_u32 s41, 0
	ds_load_b64 v[18:19], v17
	ds_load_b64 v[24:25], v16
	s_wait_dscnt 0x1
	v_pk_mul_f32 v[26:27], v[18:19], v[14:15] op_sel:[1,0] op_sel_hi:[0,1]
	s_delay_alu instid0(VALU_DEP_1) | instskip(SKIP_1) | instid1(VALU_DEP_2)
	v_pk_fma_f32 v[28:29], v[18:19], v[12:13], v[26:27]
	v_pk_fma_f32 v[18:19], v[18:19], v[12:13], v[26:27] neg_lo:[0,0,1] neg_hi:[0,0,1]
	v_mov_b32_e32 v19, v29
	s_wait_dscnt 0x0
	s_delay_alu instid0(VALU_DEP_1)
	v_pk_add_f32 v[18:19], v[24:25], v[18:19] neg_lo:[0,1] neg_hi:[0,1]
	ds_store_b64 v16, v[18:19]
	v_add_nc_u32_e32 v16, 8, v16
	s_cbranch_scc0 .LBB140_40
	s_branch .LBB140_31
.LBB140_41:                             ;   in Loop: Header=BB140_27 Depth=3
	s_lshl_b32 s38, s21, 6
	s_mov_b32 s39, 0
	s_mov_b32 s40, s36
	s_branch .LBB140_43
.LBB140_42:                             ;   in Loop: Header=BB140_43 Depth=4
	s_mulk_i32 s42, 0x48
	s_add_co_i32 s39, s39, 1
	v_mov_b32_e32 v13, s42
	s_sub_co_i32 s40, s40, 64
	s_cmp_eq_u32 s39, s29
	ds_load_b64 v[16:17], v13
	s_wait_dscnt 0x0
	v_pk_mul_f32 v[18:19], v[16:17], v[14:15] op_sel:[1,0] op_sel_hi:[0,0]
	v_add_nc_u32_e32 v14, s41, v20
	s_delay_alu instid0(VALU_DEP_2) | instskip(SKIP_1) | instid1(VALU_DEP_2)
	v_pk_fma_f32 v[24:25], v[16:17], v[12:13], v[18:19] op_sel_hi:[1,0,1]
	v_pk_fma_f32 v[12:13], v[16:17], v[12:13], v[18:19] neg_lo:[0,0,1] neg_hi:[0,0,1]
	v_mov_b32_e32 v13, v25
	ds_store_b64 v15, v[12:13]
	ds_store_b64 v14, v[12:13]
	s_cbranch_scc1 .LBB140_26
.LBB140_43:                             ;   Parent Loop BB140_3 Depth=1
                                        ;     Parent Loop BB140_24 Depth=2
                                        ;       Parent Loop BB140_27 Depth=3
                                        ; =>      This Loop Header: Depth=4
                                        ;           Child Loop BB140_45 Depth 5
	v_lshl_add_u32 v15, s39, 3, v3
	s_cmp_lg_u32 s39, 0
	s_cbranch_scc0 .LBB140_47
; %bb.44:                               ;   in Loop: Header=BB140_43 Depth=4
	ds_load_b64 v[12:13], v15
	v_mov_b32_e32 v14, v3
	s_mov_b32 s41, s40
	s_mov_b32 s42, s39
.LBB140_45:                             ;   Parent Loop BB140_3 Depth=1
                                        ;     Parent Loop BB140_24 Depth=2
                                        ;       Parent Loop BB140_27 Depth=3
                                        ;         Parent Loop BB140_43 Depth=4
                                        ; =>        This Inner Loop Header: Depth=5
	v_mov_b32_e32 v18, s41
	s_add_co_i32 s42, s42, -1
	s_add_co_i32 s41, s41, -8
	s_cmp_eq_u32 s42, 0
	ds_load_b64 v[16:17], v14
	ds_load_b64 v[18:19], v18
	v_add_nc_u32_e32 v14, 8, v14
	s_wait_dscnt 0x0
	v_pk_mul_f32 v[24:25], v[18:19], v[16:17] op_sel:[1,1] op_sel_hi:[0,1]
	s_delay_alu instid0(VALU_DEP_1) | instskip(SKIP_1) | instid1(VALU_DEP_2)
	v_pk_fma_f32 v[26:27], v[18:19], v[16:17], v[24:25] op_sel_hi:[1,0,1]
	v_pk_fma_f32 v[16:17], v[18:19], v[16:17], v[24:25] neg_lo:[0,0,1] neg_hi:[0,0,1]
	v_mov_b32_e32 v17, v27
	s_delay_alu instid0(VALU_DEP_1)
	v_pk_add_f32 v[12:13], v[12:13], v[16:17] neg_lo:[0,1] neg_hi:[0,1]
	ds_store_b64 v15, v[12:13]
	s_cbranch_scc0 .LBB140_45
; %bb.46:                               ;   in Loop: Header=BB140_43 Depth=4
	v_mov_b32_e32 v14, v13
	s_sub_co_i32 s42, s21, s39
	s_delay_alu instid0(SALU_CYCLE_1)
	s_lshl_b32 s41, s42, 6
	s_branch .LBB140_42
.LBB140_47:                             ;   in Loop: Header=BB140_43 Depth=4
                                        ; implicit-def: $vgpr12
                                        ; implicit-def: $vgpr14
                                        ; implicit-def: $sgpr42
                                        ; implicit-def: $sgpr41
	s_cbranch_execz .LBB140_42
; %bb.48:                               ;   in Loop: Header=BB140_43 Depth=4
	ds_load_b64 v[12:13], v3
	s_mov_b32 s41, s38
	s_mov_b32 s42, s21
	s_wait_dscnt 0x0
	v_mov_b32_e32 v14, v13
	s_branch .LBB140_42
.LBB140_49:                             ;   in Loop: Header=BB140_3 Depth=1
	s_mov_b32 s21, 0
.LBB140_50:                             ;   in Loop: Header=BB140_3 Depth=1
	s_delay_alu instid0(SALU_CYCLE_1)
	s_and_b32 vcc_lo, exec_lo, s21
	s_cbranch_vccz .LBB140_78
; %bb.51:                               ;   in Loop: Header=BB140_3 Depth=1
	s_mov_b32 s26, 0
	s_mov_b32 s21, 0
	s_branch .LBB140_53
.LBB140_52:                             ;   in Loop: Header=BB140_53 Depth=2
	s_cmp_lt_i32 s21, s22
	s_cselect_b32 s27, -1, 0
	s_add_co_i32 s28, s26, 1
	s_cmp_lt_u32 s26, 2
	s_wait_xcnt 0x0
	s_cselect_b32 s26, -1, 0
	s_delay_alu instid0(SALU_CYCLE_1) | instskip(NEXT) | instid1(SALU_CYCLE_1)
	s_and_b32 s26, s27, s26
	s_and_not1_b32 vcc_lo, exec_lo, s26
	s_mov_b32 s26, s28
	s_cbranch_vccnz .LBB140_78
.LBB140_53:                             ;   Parent Loop BB140_3 Depth=1
                                        ; =>  This Loop Header: Depth=2
                                        ;       Child Loop BB140_56 Depth 3
                                        ;         Child Loop BB140_57 Depth 4
                                        ;         Child Loop BB140_61 Depth 4
                                        ;           Child Loop BB140_63 Depth 5
                                        ;           Child Loop BB140_69 Depth 5
                                        ;         Child Loop BB140_72 Depth 4
                                        ;           Child Loop BB140_74 Depth 5
	s_load_b32 s27, s[8:9], s26 offset:0x0 scale_offset
	s_wait_kmcnt 0x0
	s_add_co_i32 s28, s27, -1
	s_delay_alu instid0(SALU_CYCLE_1) | instskip(NEXT) | instid1(SALU_CYCLE_1)
	s_add_co_i32 s29, s28, s21
	s_cmp_ge_i32 s29, s22
	s_cbranch_scc1 .LBB140_52
; %bb.54:                               ;   in Loop: Header=BB140_53 Depth=2
	s_max_i32 s29, s27, 1
	s_cmp_lg_u32 s26, 2
	v_lshl_add_u32 v22, s21, 6, v20
	s_cselect_b32 s30, -1, 0
	s_and_b32 s31, s29, 0x7ffffffe
	s_mul_i32 s37, s21, 0x48
	s_cmp_lg_u32 s29, s31
	s_mul_i32 s38, s27, 0x48
	s_cselect_b32 s33, -1, 0
	s_lshl_b32 s34, s27, 6
	s_lshl_b32 s35, s21, 3
	;; [unrolled: 1-line block ×3, first 2 shown]
	s_branch .LBB140_56
.LBB140_55:                             ;   in Loop: Header=BB140_56 Depth=3
	s_add_co_i32 s21, s21, s27
	v_add_nc_u32_e32 v22, s34, v22
	s_add_co_i32 s39, s28, s21
	s_add_co_i32 s35, s35, s36
	;; [unrolled: 1-line block ×3, first 2 shown]
	s_cmp_ge_i32 s39, s22
	s_cbranch_scc1 .LBB140_52
.LBB140_56:                             ;   Parent Loop BB140_3 Depth=1
                                        ;     Parent Loop BB140_53 Depth=2
                                        ; =>    This Loop Header: Depth=3
                                        ;         Child Loop BB140_57 Depth 4
                                        ;         Child Loop BB140_61 Depth 4
                                        ;           Child Loop BB140_63 Depth 5
                                        ;           Child Loop BB140_69 Depth 5
                                        ;         Child Loop BB140_72 Depth 4
                                        ;           Child Loop BB140_74 Depth 5
	v_dual_mov_b32 v12, v3 :: v_dual_mov_b32 v13, v22
	s_mov_b32 s39, s29
.LBB140_57:                             ;   Parent Loop BB140_3 Depth=1
                                        ;     Parent Loop BB140_53 Depth=2
                                        ;       Parent Loop BB140_56 Depth=3
                                        ; =>      This Inner Loop Header: Depth=4
	ds_load_b64 v[14:15], v13
	v_add_nc_u32_e32 v13, 64, v13
	s_add_co_i32 s39, s39, -1
	s_delay_alu instid0(SALU_CYCLE_1)
	s_cmp_eq_u32 s39, 0
	s_wait_dscnt 0x0
	ds_store_b64 v12, v[14:15]
	v_add_nc_u32_e32 v12, 8, v12
	s_cbranch_scc0 .LBB140_57
; %bb.58:                               ;   in Loop: Header=BB140_56 Depth=3
	s_cmp_lt_i32 s21, 1
	s_cbranch_scc1 .LBB140_70
; %bb.59:                               ;   in Loop: Header=BB140_56 Depth=3
	s_mov_b32 s39, 0
	s_mov_b32 s40, s35
	s_branch .LBB140_61
.LBB140_60:                             ;   in Loop: Header=BB140_61 Depth=4
	s_add_co_i32 s39, s39, 1
	s_add_co_i32 s40, s40, 64
	s_cmp_eq_u32 s39, s21
	s_cbranch_scc1 .LBB140_70
.LBB140_61:                             ;   Parent Loop BB140_3 Depth=1
                                        ;     Parent Loop BB140_53 Depth=2
                                        ;       Parent Loop BB140_56 Depth=3
                                        ; =>      This Loop Header: Depth=4
                                        ;           Child Loop BB140_63 Depth 5
                                        ;           Child Loop BB140_69 Depth 5
	v_lshl_add_u32 v12, s39, 6, v20
	s_and_b32 vcc_lo, exec_lo, s30
	ds_load_b64 v[12:13], v12
	s_cbranch_vccz .LBB140_65
; %bb.62:                               ;   in Loop: Header=BB140_61 Depth=4
	s_wait_dscnt 0x0
	v_dual_mov_b32 v16, v12 :: v_dual_mov_b32 v17, v12
	v_dual_mov_b32 v14, v13 :: v_dual_mov_b32 v18, v13
	;; [unrolled: 1-line block ×3, first 2 shown]
	s_mov_b32 s41, s31
	s_mov_b32 s42, s40
.LBB140_63:                             ;   Parent Loop BB140_3 Depth=1
                                        ;     Parent Loop BB140_53 Depth=2
                                        ;       Parent Loop BB140_56 Depth=3
                                        ;         Parent Loop BB140_61 Depth=4
                                        ; =>        This Inner Loop Header: Depth=5
	s_delay_alu instid0(SALU_CYCLE_1)
	v_mov_b32_e32 v23, s42
	s_add_co_i32 s41, s41, -2
	s_add_co_i32 s42, s42, 16
	s_cmp_lg_u32 s41, 0
	ds_load_2addr_b64 v[24:27], v23 offset1:1
	ds_load_b128 v[28:31], v15
	s_wait_dscnt 0x0
	v_dual_mov_b32 v35, v26 :: v_dual_mov_b32 v33, v30
	v_dual_mov_b32 v26, v25 :: v_dual_mov_b32 v34, v24
	;; [unrolled: 1-line block ×3, first 2 shown]
	s_delay_alu instid0(VALU_DEP_2) | instskip(SKIP_1) | instid1(VALU_DEP_2)
	v_pk_mul_f32 v[24:25], v[26:27], v[18:19]
	v_pk_mul_f32 v[26:27], v[26:27], v[16:17]
	v_pk_fma_f32 v[24:25], v[34:35], v[16:17], v[24:25] neg_lo:[0,0,1] neg_hi:[0,0,1]
	s_delay_alu instid0(VALU_DEP_2) | instskip(NEXT) | instid1(VALU_DEP_2)
	v_pk_fma_f32 v[26:27], v[34:35], v[18:19], v[26:27]
	v_pk_add_f32 v[28:29], v[32:33], v[24:25] neg_lo:[0,1] neg_hi:[0,1]
	s_delay_alu instid0(VALU_DEP_1) | instskip(NEXT) | instid1(VALU_DEP_3)
	v_mov_b32_e32 v24, v28
	v_pk_add_f32 v[26:27], v[30:31], v[26:27] neg_lo:[0,1] neg_hi:[0,1]
	s_delay_alu instid0(VALU_DEP_1)
	v_dual_mov_b32 v25, v26 :: v_dual_mov_b32 v26, v29
	ds_store_b128 v15, v[24:27]
	v_add_nc_u32_e32 v15, 16, v15
	s_cbranch_scc1 .LBB140_63
; %bb.64:                               ;   in Loop: Header=BB140_61 Depth=4
	s_mov_b32 s41, s33
	s_mov_b32 s42, s31
	s_branch .LBB140_67
.LBB140_65:                             ;   in Loop: Header=BB140_61 Depth=4
	s_wait_dscnt 0x0
	v_mov_b32_e32 v14, v13
	s_mov_b32 s41, 0
	s_mov_b32 s42, s31
	s_cbranch_execz .LBB140_67
; %bb.66:                               ;   in Loop: Header=BB140_61 Depth=4
	s_mov_b32 s41, -1
	s_mov_b32 s42, 0
.LBB140_67:                             ;   in Loop: Header=BB140_61 Depth=4
	s_and_not1_b32 vcc_lo, exec_lo, s41
	s_cbranch_vccnz .LBB140_60
; %bb.68:                               ;   in Loop: Header=BB140_61 Depth=4
	v_dual_mov_b32 v15, v13 :: v_dual_mov_b32 v13, v12
	s_sub_co_i32 s41, s29, s42
	s_lshl_b32 s42, s42, 3
.LBB140_69:                             ;   Parent Loop BB140_3 Depth=1
                                        ;     Parent Loop BB140_53 Depth=2
                                        ;       Parent Loop BB140_56 Depth=3
                                        ;         Parent Loop BB140_61 Depth=4
                                        ; =>        This Inner Loop Header: Depth=5
	s_delay_alu instid0(SALU_CYCLE_1)
	s_add_co_i32 s43, s40, s42
	s_add_co_i32 s41, s41, -1
	v_dual_mov_b32 v16, s43 :: v_dual_add_nc_u32 v23, s42, v3
	s_add_co_i32 s42, s42, 8
	s_cmp_eq_u32 s41, 0
	ds_load_b64 v[16:17], v16
	ds_load_b64 v[18:19], v23
	s_wait_dscnt 0x1
	v_pk_mul_f32 v[24:25], v[16:17], v[14:15] op_sel:[1,0] op_sel_hi:[0,1]
	s_delay_alu instid0(VALU_DEP_1) | instskip(SKIP_1) | instid1(VALU_DEP_2)
	v_pk_fma_f32 v[26:27], v[16:17], v[12:13], v[24:25]
	v_pk_fma_f32 v[16:17], v[16:17], v[12:13], v[24:25] neg_lo:[0,0,1] neg_hi:[0,0,1]
	v_mov_b32_e32 v17, v27
	s_wait_dscnt 0x0
	s_delay_alu instid0(VALU_DEP_1)
	v_pk_add_f32 v[16:17], v[18:19], v[16:17] neg_lo:[0,1] neg_hi:[0,1]
	ds_store_b64 v23, v[16:17]
	s_cbranch_scc0 .LBB140_69
	s_branch .LBB140_60
.LBB140_70:                             ;   in Loop: Header=BB140_56 Depth=3
	s_mov_b32 s39, 0
	s_mov_b32 s40, s37
	s_branch .LBB140_72
.LBB140_71:                             ;   in Loop: Header=BB140_72 Depth=4
	s_add_co_i32 s41, s39, s21
	s_add_co_i32 s39, s39, 1
	s_mul_i32 s42, s41, 0x48
	s_add_co_i32 s40, s40, 8
	v_mov_b32_e32 v13, s42
	s_cmp_eq_u32 s39, s29
	ds_load_b64 v[16:17], v13
	s_wait_dscnt 0x0
	v_pk_mul_f32 v[18:19], v[16:17], v[14:15] op_sel:[1,0] op_sel_hi:[0,0]
	v_lshl_add_u32 v14, s41, 6, v20
	s_delay_alu instid0(VALU_DEP_2) | instskip(SKIP_1) | instid1(VALU_DEP_2)
	v_pk_fma_f32 v[24:25], v[16:17], v[12:13], v[18:19] op_sel_hi:[1,0,1]
	v_pk_fma_f32 v[12:13], v[16:17], v[12:13], v[18:19] neg_lo:[0,0,1] neg_hi:[0,0,1]
	v_mov_b32_e32 v13, v25
	ds_store_b64 v15, v[12:13]
	ds_store_b64 v14, v[12:13]
	s_cbranch_scc1 .LBB140_55
.LBB140_72:                             ;   Parent Loop BB140_3 Depth=1
                                        ;     Parent Loop BB140_53 Depth=2
                                        ;       Parent Loop BB140_56 Depth=3
                                        ; =>      This Loop Header: Depth=4
                                        ;           Child Loop BB140_74 Depth 5
	v_lshl_add_u32 v15, s39, 3, v3
	s_cmp_lg_u32 s39, 0
	s_cbranch_scc0 .LBB140_76
; %bb.73:                               ;   in Loop: Header=BB140_72 Depth=4
	ds_load_b64 v[12:13], v15
	v_mov_b32_e32 v14, v3
	s_mov_b32 s41, s40
	s_mov_b32 s42, s39
.LBB140_74:                             ;   Parent Loop BB140_3 Depth=1
                                        ;     Parent Loop BB140_53 Depth=2
                                        ;       Parent Loop BB140_56 Depth=3
                                        ;         Parent Loop BB140_72 Depth=4
                                        ; =>        This Inner Loop Header: Depth=5
	v_mov_b32_e32 v18, s41
	s_add_co_i32 s42, s42, -1
	s_add_co_i32 s41, s41, 64
	s_cmp_eq_u32 s42, 0
	ds_load_b64 v[16:17], v14
	ds_load_b64 v[18:19], v18
	v_add_nc_u32_e32 v14, 8, v14
	s_wait_dscnt 0x0
	v_pk_mul_f32 v[24:25], v[18:19], v[16:17] op_sel:[1,1] op_sel_hi:[0,1]
	s_delay_alu instid0(VALU_DEP_1) | instskip(SKIP_1) | instid1(VALU_DEP_2)
	v_pk_fma_f32 v[26:27], v[18:19], v[16:17], v[24:25] op_sel_hi:[1,0,1]
	v_pk_fma_f32 v[16:17], v[18:19], v[16:17], v[24:25] neg_lo:[0,0,1] neg_hi:[0,0,1]
	v_mov_b32_e32 v17, v27
	s_delay_alu instid0(VALU_DEP_1)
	v_pk_add_f32 v[12:13], v[12:13], v[16:17] neg_lo:[0,1] neg_hi:[0,1]
	ds_store_b64 v15, v[12:13]
	s_cbranch_scc0 .LBB140_74
; %bb.75:                               ;   in Loop: Header=BB140_72 Depth=4
	v_mov_b32_e32 v14, v13
	s_branch .LBB140_71
.LBB140_76:                             ;   in Loop: Header=BB140_72 Depth=4
                                        ; implicit-def: $vgpr12
                                        ; implicit-def: $vgpr14
	s_cbranch_execz .LBB140_71
; %bb.77:                               ;   in Loop: Header=BB140_72 Depth=4
	ds_load_b64 v[12:13], v3
	s_wait_dscnt 0x0
	v_mov_b32_e32 v14, v13
	s_branch .LBB140_71
.LBB140_78:                             ;   in Loop: Header=BB140_3 Depth=1
	s_wait_dscnt 0x0
	; wave barrier
	s_and_saveexec_b32 s21, s14
	s_cbranch_execz .LBB140_2
; %bb.79:                               ;   in Loop: Header=BB140_3 Depth=1
	v_add_nc_u64_e32 v[12:13], s[12:13], v[4:5]
	v_mov_b32_e32 v14, v20
	s_mov_b32 s12, s22
.LBB140_80:                             ;   Parent Loop BB140_3 Depth=1
                                        ; =>  This Inner Loop Header: Depth=2
	ds_load_b64 v[16:17], v14
	v_add_nc_u32_e32 v14, 64, v14
	s_add_co_i32 s12, s12, -1
	s_delay_alu instid0(SALU_CYCLE_1)
	s_cmp_lg_u32 s12, 0
	s_wait_dscnt 0x0
	global_store_b64 v[12:13], v[16:17], off
	s_wait_xcnt 0x0
	v_add_nc_u64_e32 v[12:13], 8, v[12:13]
	s_cbranch_scc1 .LBB140_80
	s_branch .LBB140_2
.LBB140_81:
	s_endpgm
	.section	.rodata,"a",@progbits
	.p2align	6, 0x0
	.amdhsa_kernel _ZL38rocblas_trsm_small_left_device_sharedBILi8ELi8ELb1E19rocblas_complex_numIfES1_PKS1_PS1_Ev13rocblas_fill_18rocblas_operation_17rocblas_diagonal_iiT3_T4_lilT5_lili
		.amdhsa_group_segment_fixed_size 1536
		.amdhsa_private_segment_fixed_size 0
		.amdhsa_kernarg_size 360
		.amdhsa_user_sgpr_count 4
		.amdhsa_user_sgpr_dispatch_ptr 1
		.amdhsa_user_sgpr_queue_ptr 0
		.amdhsa_user_sgpr_kernarg_segment_ptr 1
		.amdhsa_user_sgpr_dispatch_id 0
		.amdhsa_user_sgpr_kernarg_preload_length 0
		.amdhsa_user_sgpr_kernarg_preload_offset 0
		.amdhsa_user_sgpr_private_segment_size 0
		.amdhsa_wavefront_size32 1
		.amdhsa_uses_dynamic_stack 0
		.amdhsa_enable_private_segment 0
		.amdhsa_system_sgpr_workgroup_id_x 1
		.amdhsa_system_sgpr_workgroup_id_y 0
		.amdhsa_system_sgpr_workgroup_id_z 1
		.amdhsa_system_sgpr_workgroup_info 0
		.amdhsa_system_vgpr_workitem_id 2
		.amdhsa_next_free_vgpr 36
		.amdhsa_next_free_sgpr 47
		.amdhsa_named_barrier_count 0
		.amdhsa_reserve_vcc 1
		.amdhsa_float_round_mode_32 0
		.amdhsa_float_round_mode_16_64 0
		.amdhsa_float_denorm_mode_32 3
		.amdhsa_float_denorm_mode_16_64 3
		.amdhsa_fp16_overflow 0
		.amdhsa_memory_ordered 1
		.amdhsa_forward_progress 1
		.amdhsa_inst_pref_size 28
		.amdhsa_round_robin_scheduling 0
		.amdhsa_exception_fp_ieee_invalid_op 0
		.amdhsa_exception_fp_denorm_src 0
		.amdhsa_exception_fp_ieee_div_zero 0
		.amdhsa_exception_fp_ieee_overflow 0
		.amdhsa_exception_fp_ieee_underflow 0
		.amdhsa_exception_fp_ieee_inexact 0
		.amdhsa_exception_int_div_zero 0
	.end_amdhsa_kernel
	.section	.text._ZL38rocblas_trsm_small_left_device_sharedBILi8ELi8ELb1E19rocblas_complex_numIfES1_PKS1_PS1_Ev13rocblas_fill_18rocblas_operation_17rocblas_diagonal_iiT3_T4_lilT5_lili,"axG",@progbits,_ZL38rocblas_trsm_small_left_device_sharedBILi8ELi8ELb1E19rocblas_complex_numIfES1_PKS1_PS1_Ev13rocblas_fill_18rocblas_operation_17rocblas_diagonal_iiT3_T4_lilT5_lili,comdat
.Lfunc_end140:
	.size	_ZL38rocblas_trsm_small_left_device_sharedBILi8ELi8ELb1E19rocblas_complex_numIfES1_PKS1_PS1_Ev13rocblas_fill_18rocblas_operation_17rocblas_diagonal_iiT3_T4_lilT5_lili, .Lfunc_end140-_ZL38rocblas_trsm_small_left_device_sharedBILi8ELi8ELb1E19rocblas_complex_numIfES1_PKS1_PS1_Ev13rocblas_fill_18rocblas_operation_17rocblas_diagonal_iiT3_T4_lilT5_lili
                                        ; -- End function
	.set _ZL38rocblas_trsm_small_left_device_sharedBILi8ELi8ELb1E19rocblas_complex_numIfES1_PKS1_PS1_Ev13rocblas_fill_18rocblas_operation_17rocblas_diagonal_iiT3_T4_lilT5_lili.num_vgpr, 36
	.set _ZL38rocblas_trsm_small_left_device_sharedBILi8ELi8ELb1E19rocblas_complex_numIfES1_PKS1_PS1_Ev13rocblas_fill_18rocblas_operation_17rocblas_diagonal_iiT3_T4_lilT5_lili.num_agpr, 0
	.set _ZL38rocblas_trsm_small_left_device_sharedBILi8ELi8ELb1E19rocblas_complex_numIfES1_PKS1_PS1_Ev13rocblas_fill_18rocblas_operation_17rocblas_diagonal_iiT3_T4_lilT5_lili.numbered_sgpr, 47
	.set _ZL38rocblas_trsm_small_left_device_sharedBILi8ELi8ELb1E19rocblas_complex_numIfES1_PKS1_PS1_Ev13rocblas_fill_18rocblas_operation_17rocblas_diagonal_iiT3_T4_lilT5_lili.num_named_barrier, 0
	.set _ZL38rocblas_trsm_small_left_device_sharedBILi8ELi8ELb1E19rocblas_complex_numIfES1_PKS1_PS1_Ev13rocblas_fill_18rocblas_operation_17rocblas_diagonal_iiT3_T4_lilT5_lili.private_seg_size, 0
	.set _ZL38rocblas_trsm_small_left_device_sharedBILi8ELi8ELb1E19rocblas_complex_numIfES1_PKS1_PS1_Ev13rocblas_fill_18rocblas_operation_17rocblas_diagonal_iiT3_T4_lilT5_lili.uses_vcc, 1
	.set _ZL38rocblas_trsm_small_left_device_sharedBILi8ELi8ELb1E19rocblas_complex_numIfES1_PKS1_PS1_Ev13rocblas_fill_18rocblas_operation_17rocblas_diagonal_iiT3_T4_lilT5_lili.uses_flat_scratch, 0
	.set _ZL38rocblas_trsm_small_left_device_sharedBILi8ELi8ELb1E19rocblas_complex_numIfES1_PKS1_PS1_Ev13rocblas_fill_18rocblas_operation_17rocblas_diagonal_iiT3_T4_lilT5_lili.has_dyn_sized_stack, 0
	.set _ZL38rocblas_trsm_small_left_device_sharedBILi8ELi8ELb1E19rocblas_complex_numIfES1_PKS1_PS1_Ev13rocblas_fill_18rocblas_operation_17rocblas_diagonal_iiT3_T4_lilT5_lili.has_recursion, 0
	.set _ZL38rocblas_trsm_small_left_device_sharedBILi8ELi8ELb1E19rocblas_complex_numIfES1_PKS1_PS1_Ev13rocblas_fill_18rocblas_operation_17rocblas_diagonal_iiT3_T4_lilT5_lili.has_indirect_call, 0
	.section	.AMDGPU.csdata,"",@progbits
; Kernel info:
; codeLenInByte = 3488
; TotalNumSgprs: 49
; NumVgprs: 36
; ScratchSize: 0
; MemoryBound: 0
; FloatMode: 240
; IeeeMode: 1
; LDSByteSize: 1536 bytes/workgroup (compile time only)
; SGPRBlocks: 0
; VGPRBlocks: 2
; NumSGPRsForWavesPerEU: 49
; NumVGPRsForWavesPerEU: 36
; NamedBarCnt: 0
; Occupancy: 16
; WaveLimiterHint : 0
; COMPUTE_PGM_RSRC2:SCRATCH_EN: 0
; COMPUTE_PGM_RSRC2:USER_SGPR: 4
; COMPUTE_PGM_RSRC2:TRAP_HANDLER: 0
; COMPUTE_PGM_RSRC2:TGID_X_EN: 1
; COMPUTE_PGM_RSRC2:TGID_Y_EN: 0
; COMPUTE_PGM_RSRC2:TGID_Z_EN: 1
; COMPUTE_PGM_RSRC2:TIDIG_COMP_CNT: 2
	.section	.text._ZL30rocblas_trsm_small_left_deviceILi8ELi8ELb1E19rocblas_complex_numIfES1_PKS1_PS1_Ev13rocblas_fill_18rocblas_operation_17rocblas_diagonal_iiT3_T4_lilT5_lili,"axG",@progbits,_ZL30rocblas_trsm_small_left_deviceILi8ELi8ELb1E19rocblas_complex_numIfES1_PKS1_PS1_Ev13rocblas_fill_18rocblas_operation_17rocblas_diagonal_iiT3_T4_lilT5_lili,comdat
	.globl	_ZL30rocblas_trsm_small_left_deviceILi8ELi8ELb1E19rocblas_complex_numIfES1_PKS1_PS1_Ev13rocblas_fill_18rocblas_operation_17rocblas_diagonal_iiT3_T4_lilT5_lili ; -- Begin function _ZL30rocblas_trsm_small_left_deviceILi8ELi8ELb1E19rocblas_complex_numIfES1_PKS1_PS1_Ev13rocblas_fill_18rocblas_operation_17rocblas_diagonal_iiT3_T4_lilT5_lili
	.p2align	8
	.type	_ZL30rocblas_trsm_small_left_deviceILi8ELi8ELb1E19rocblas_complex_numIfES1_PKS1_PS1_Ev13rocblas_fill_18rocblas_operation_17rocblas_diagonal_iiT3_T4_lilT5_lili,@function
_ZL30rocblas_trsm_small_left_deviceILi8ELi8ELb1E19rocblas_complex_numIfES1_PKS1_PS1_Ev13rocblas_fill_18rocblas_operation_17rocblas_diagonal_iiT3_T4_lilT5_lili: ; @_ZL30rocblas_trsm_small_left_deviceILi8ELi8ELb1E19rocblas_complex_numIfES1_PKS1_PS1_Ev13rocblas_fill_18rocblas_operation_17rocblas_diagonal_iiT3_T4_lilT5_lili
; %bb.0:
	s_load_b32 s33, s[2:3], 0x60
	s_bfe_u32 s4, ttmp6, 0x40014
	s_lshr_b32 s5, ttmp7, 16
	s_add_co_i32 s4, s4, 1
	s_bfe_u32 s6, ttmp6, 0x40008
	s_mul_i32 s4, s5, s4
	s_getreg_b32 s11, hwreg(HW_REG_IB_STS2, 6, 4)
	s_add_co_i32 s6, s6, s4
	s_cmp_eq_u32 s11, 0
	s_mov_b32 s19, 0
	s_cselect_b32 s16, s5, s6
	s_wait_kmcnt 0x0
	s_cmp_ge_u32 s16, s33
	s_cbranch_scc1 .LBB141_87
; %bb.1:
	s_clause 0x1
	s_load_b32 s26, s[2:3], 0x30
	s_load_b96 s[8:10], s[2:3], 0x48
	s_load_b64 s[28:29], s[0:1], 0x4
	s_clause 0x2
	s_load_b128 s[4:7], s[2:3], 0x4
	s_load_b32 s12, s[2:3], 0x68
	s_load_b64 s[20:21], s[2:3], 0x14
	v_and_b32_e32 v8, 0x3ff, v0
	v_bfe_u32 v6, v0, 10, 10
	v_bfe_u32 v7, v0, 20, 10
	v_mov_b64_e32 v[10:11], 0x3f800000
	s_mov_b32 s40, 0
	v_dual_mov_b32 v1, 0 :: v_dual_lshlrev_b32 v12, 6, v8
	v_lshlrev_b32_e32 v0, 3, v8
	s_delay_alu instid0(VALU_DEP_1)
	v_add_nc_u32_e32 v24, v0, v12
	s_wait_kmcnt 0x0
	s_ashr_i32 s27, s26, 31
	s_ashr_i32 s1, s10, 31
	s_lshr_b32 s17, s28, 16
	s_cmp_lg_u32 s4, 0x71
	s_mul_i32 s17, s17, s29
	s_cselect_b32 s34, -1, 0
	s_bfe_u32 s0, ttmp6, 0x4000c
	s_min_i32 s35, s6, 8
	s_add_co_i32 s0, s0, 1
	s_and_b32 s6, ttmp6, 15
	s_mul_i32 s0, ttmp9, s0
	s_lshl_b64 s[30:31], s[8:9], 3
	s_add_co_i32 s18, s12, -1
	s_add_co_i32 s36, s35, -1
	s_add_co_i32 s6, s6, s0
	s_cmp_eq_u32 s11, 0
	s_mov_b32 s0, s10
	s_cselect_b32 s28, ttmp9, s6
	s_clause 0x1
	s_load_b128 s[12:15], s[2:3], 0x20
	s_load_b128 s[8:11], s[2:3], 0x38
	s_lshl_b32 s37, s28, 3
	s_wait_xcnt 0x0
	s_load_b64 s[2:3], s[2:3], 0x58
	v_or_b32_e32 v2, s37, v8
	v_mul_u32_u24_e32 v9, s17, v8
	v_mul_u32_u24_e32 v6, s29, v6
	s_mov_b32 s22, s20
	s_mov_b32 s23, s20
	v_ashrrev_i32_e32 v3, 31, v2
	s_mov_b32 s24, s21
	v_add3_u32 v9, v9, v6, v7
	s_mov_b32 s25, s21
	s_mov_b32 s6, s21
	v_mul_u64_e32 v[4:5], s[0:1], v[2:3]
	s_sub_co_i32 s0, s7, s37
	s_cmp_ge_u32 s28, s18
	v_mov_b64_e32 v[2:3], 0xbf80000000000000
	s_cselect_b32 s17, s0, 8
	s_cmp_lg_u32 s5, 0x84
	s_mov_b32 s7, s20
	s_cselect_b32 s37, -1, 0
	s_cmp_lg_u32 s4, 0x6f
	s_wait_kmcnt 0x0
	s_add_nc_u64 s[4:5], s[10:11], s[30:31]
	s_cselect_b32 s38, -1, 0
	s_lshl_b64 s[0:1], s[14:15], 3
	s_lshl_b32 s39, s35, 3
	s_add_nc_u64 s[10:11], s[12:13], s[0:1]
	v_cmp_gt_i32_e64 s0, s35, v8
	v_add_nc_u64_e32 v[6:7], s[10:11], v[0:1]
	v_lshl_add_u32 v1, v9, 6, 0x200
	v_cmp_gt_i32_e64 s1, s17, v8
	s_lshl_b64 s[12:13], s[2:3], 3
	s_add_co_i32 s39, s39, -8
	s_get_pc_i64 s[10:11]
	s_add_nc_u64 s[10:11], s[10:11], __const._ZL30rocblas_trsm_small_left_deviceILi8ELi8ELb1E19rocblas_complex_numIfES1_PKS1_PS1_Ev13rocblas_fill_18rocblas_operation_17rocblas_diagonal_iiT3_T4_lilT5_lili.step_sizes@rel64+4
	v_add_nc_u64_e32 v[6:7], 4, v[6:7]
	v_lshl_add_u64 v[4:5], v[4:5], 3, s[4:5]
	s_lshl_b64 s[4:5], s[8:9], 3
	s_lshl_b64 s[8:9], s[26:27], 3
	s_delay_alu instid0(VALU_DEP_1)
	v_add_nc_u64_e32 v[8:9], 4, v[4:5]
	s_branch .LBB141_4
.LBB141_2:                              ;   in Loop: Header=BB141_4 Depth=1
	s_add_co_i32 s16, s16, 0x10000
	s_delay_alu instid0(SALU_CYCLE_1) | instskip(SKIP_1) | instid1(SALU_CYCLE_1)
	s_cmp_ge_u32 s16, s33
	s_cselect_b32 s14, -1, 0
	s_or_not1_b32 s14, s14, exec_lo
.LBB141_3:                              ;   in Loop: Header=BB141_4 Depth=1
	s_wait_xcnt 0x0
	s_or_b32 exec_lo, exec_lo, s41
	s_delay_alu instid0(SALU_CYCLE_1) | instskip(NEXT) | instid1(SALU_CYCLE_1)
	s_and_b32 s14, exec_lo, s14
	s_or_b32 s40, s14, s40
	s_delay_alu instid0(SALU_CYCLE_1)
	s_and_not1_b32 exec_lo, exec_lo, s40
	s_cbranch_execz .LBB141_87
.LBB141_4:                              ; =>This Loop Header: Depth=1
                                        ;     Child Loop BB141_7 Depth 2
                                        ;     Child Loop BB141_23 Depth 2
                                        ;       Child Loop BB141_26 Depth 3
                                        ;         Child Loop BB141_28 Depth 4
                                        ;         Child Loop BB141_32 Depth 4
	;; [unrolled: 1-line block ×3, first 2 shown]
                                        ;           Child Loop BB141_38 Depth 5
                                        ;           Child Loop BB141_44 Depth 5
                                        ;         Child Loop BB141_47 Depth 4
                                        ;           Child Loop BB141_49 Depth 5
                                        ;     Child Loop BB141_57 Depth 2
                                        ;       Child Loop BB141_60 Depth 3
                                        ;         Child Loop BB141_62 Depth 4
                                        ;         Child Loop BB141_66 Depth 4
	;; [unrolled: 1-line block ×3, first 2 shown]
                                        ;           Child Loop BB141_72 Depth 5
                                        ;           Child Loop BB141_78 Depth 5
                                        ;         Child Loop BB141_81 Depth 4
                                        ;           Child Loop BB141_83 Depth 5
	s_mov_b32 s17, s19
	s_and_saveexec_b32 s14, s0
	s_cbranch_execz .LBB141_19
; %bb.5:                                ;   in Loop: Header=BB141_4 Depth=1
	v_mad_nc_u64_u32 v[12:13], s4, s16, v[6:7]
	v_mov_b32_e32 v16, v0
	s_mov_b32 s15, s35
	s_delay_alu instid0(VALU_DEP_2)
	v_mad_u32 v13, s5, s16, v13
	s_branch .LBB141_7
.LBB141_6:                              ;   in Loop: Header=BB141_7 Depth=2
	global_load_b32 v14, v[12:13], off offset:-4
	s_wait_xcnt 0x0
	v_add_nc_u64_e32 v[12:13], s[8:9], v[12:13]
	s_add_co_i32 s15, s15, -1
	s_delay_alu instid0(SALU_CYCLE_1)
	s_cmp_eq_u32 s15, 0
	s_wait_loadcnt 0x0
	ds_store_b64 v16, v[14:15]
	v_add_nc_u32_e32 v16, 64, v16
	s_cbranch_scc1 .LBB141_11
.LBB141_7:                              ;   Parent Loop BB141_4 Depth=1
                                        ; =>  This Inner Loop Header: Depth=2
	s_and_b32 vcc_lo, exec_lo, s34
	s_mov_b32 s18, -1
                                        ; implicit-def: $vgpr15
	s_cbranch_vccz .LBB141_9
; %bb.8:                                ;   in Loop: Header=BB141_7 Depth=2
	global_load_b32 v15, v[12:13], off
	s_mov_b32 s18, 0
.LBB141_9:                              ;   in Loop: Header=BB141_7 Depth=2
	s_delay_alu instid0(SALU_CYCLE_1)
	s_and_not1_b32 vcc_lo, exec_lo, s18
	s_cbranch_vccnz .LBB141_6
; %bb.10:                               ;   in Loop: Header=BB141_7 Depth=2
	global_load_b32 v14, v[12:13], off
	s_wait_loadcnt 0x0
	v_xor_b32_e32 v15, 0x80000000, v14
	s_branch .LBB141_6
.LBB141_11:                             ;   in Loop: Header=BB141_4 Depth=1
	s_and_b32 vcc_lo, exec_lo, s37
	s_mov_b32 s15, -1
	s_cbranch_vccz .LBB141_17
; %bb.12:                               ;   in Loop: Header=BB141_4 Depth=1
	ds_load_b64 v[12:13], v24
                                        ; implicit-def: $vgpr14_vgpr15
	s_wait_dscnt 0x0
	v_cmp_ngt_f32_e64 s15, |v12|, |v13|
	s_and_saveexec_b32 s18, s15
	s_delay_alu instid0(SALU_CYCLE_1)
	s_xor_b32 s15, exec_lo, s18
	s_cbranch_execz .LBB141_14
; %bb.13:                               ;   in Loop: Header=BB141_4 Depth=1
	v_div_scale_f32 v14, null, v13, v13, v12
	v_div_scale_f32 v17, vcc_lo, v12, v13, v12
	s_delay_alu instid0(VALU_DEP_2) | instskip(SKIP_1) | instid1(TRANS32_DEP_1)
	v_rcp_f32_e32 v15, v14
	v_nop
	v_fma_f32 v16, -v14, v15, 1.0
	s_delay_alu instid0(VALU_DEP_1) | instskip(NEXT) | instid1(VALU_DEP_1)
	v_fmac_f32_e32 v15, v16, v15
	v_mul_f32_e32 v16, v17, v15
	s_delay_alu instid0(VALU_DEP_1) | instskip(NEXT) | instid1(VALU_DEP_1)
	v_fma_f32 v18, -v14, v16, v17
	v_fmac_f32_e32 v16, v18, v15
	s_delay_alu instid0(VALU_DEP_1) | instskip(NEXT) | instid1(VALU_DEP_1)
	v_fma_f32 v14, -v14, v16, v17
	v_div_fmas_f32 v14, v14, v15, v16
	s_delay_alu instid0(VALU_DEP_1) | instskip(NEXT) | instid1(VALU_DEP_1)
	v_div_fixup_f32 v14, v14, v13, v12
	v_fmac_f32_e32 v13, v12, v14
	s_delay_alu instid0(VALU_DEP_1) | instskip(SKIP_1) | instid1(VALU_DEP_2)
	v_div_scale_f32 v12, null, v13, v13, 1.0
	v_div_scale_f32 v17, vcc_lo, 1.0, v13, 1.0
	v_rcp_f32_e32 v15, v12
	v_nop
	s_delay_alu instid0(TRANS32_DEP_1) | instskip(NEXT) | instid1(VALU_DEP_1)
	v_fma_f32 v16, -v12, v15, 1.0
	v_fmac_f32_e32 v15, v16, v15
	s_delay_alu instid0(VALU_DEP_1) | instskip(NEXT) | instid1(VALU_DEP_1)
	v_mul_f32_e32 v16, v17, v15
	v_fma_f32 v18, -v12, v16, v17
	s_delay_alu instid0(VALU_DEP_1) | instskip(NEXT) | instid1(VALU_DEP_1)
	v_fmac_f32_e32 v16, v18, v15
	v_fma_f32 v12, -v12, v16, v17
	s_delay_alu instid0(VALU_DEP_1) | instskip(SKIP_1) | instid1(VALU_DEP_2)
	v_div_fmas_f32 v12, v12, v15, v16
	v_mul_f32_e32 v15, 0, v14
	v_div_fixup_f32 v12, v12, v13, 1.0
	s_delay_alu instid0(VALU_DEP_2) | instskip(NEXT) | instid1(VALU_DEP_1)
	v_pk_add_f32 v[14:15], v[14:15], v[2:3]
	v_pk_mul_f32 v[14:15], v[14:15], v[12:13] op_sel_hi:[1,0]
                                        ; implicit-def: $vgpr12_vgpr13
.LBB141_14:                             ;   in Loop: Header=BB141_4 Depth=1
	s_and_not1_saveexec_b32 s15, s15
	s_cbranch_execz .LBB141_16
; %bb.15:                               ;   in Loop: Header=BB141_4 Depth=1
	v_div_scale_f32 v14, null, v12, v12, v13
	v_div_scale_f32 v17, vcc_lo, v13, v12, v13
	s_delay_alu instid0(VALU_DEP_2) | instskip(SKIP_1) | instid1(TRANS32_DEP_1)
	v_rcp_f32_e32 v15, v14
	v_nop
	v_fma_f32 v16, -v14, v15, 1.0
	s_delay_alu instid0(VALU_DEP_1) | instskip(NEXT) | instid1(VALU_DEP_1)
	v_fmac_f32_e32 v15, v16, v15
	v_mul_f32_e32 v16, v17, v15
	s_delay_alu instid0(VALU_DEP_1) | instskip(NEXT) | instid1(VALU_DEP_1)
	v_fma_f32 v18, -v14, v16, v17
	v_fmac_f32_e32 v16, v18, v15
	s_delay_alu instid0(VALU_DEP_1) | instskip(NEXT) | instid1(VALU_DEP_1)
	v_fma_f32 v14, -v14, v16, v17
	v_div_fmas_f32 v14, v14, v15, v16
	s_delay_alu instid0(VALU_DEP_1) | instskip(NEXT) | instid1(VALU_DEP_1)
	v_div_fixup_f32 v15, v14, v12, v13
	v_fmac_f32_e32 v12, v13, v15
	s_delay_alu instid0(VALU_DEP_1) | instskip(SKIP_1) | instid1(VALU_DEP_2)
	v_div_scale_f32 v13, null, v12, v12, 1.0
	v_div_scale_f32 v17, vcc_lo, 1.0, v12, 1.0
	v_rcp_f32_e32 v14, v13
	v_nop
	s_delay_alu instid0(TRANS32_DEP_1) | instskip(NEXT) | instid1(VALU_DEP_1)
	v_fma_f32 v16, -v13, v14, 1.0
	v_fmac_f32_e32 v14, v16, v14
	s_delay_alu instid0(VALU_DEP_1) | instskip(NEXT) | instid1(VALU_DEP_1)
	v_mul_f32_e32 v16, v17, v14
	v_fma_f32 v18, -v13, v16, v17
	s_delay_alu instid0(VALU_DEP_1) | instskip(NEXT) | instid1(VALU_DEP_1)
	v_fmac_f32_e32 v16, v18, v14
	v_dual_fma_f32 v13, -v13, v16, v17 :: v_dual_mul_f32 v17, 0, v15
	v_sub_f32_e32 v15, 0, v15
	s_delay_alu instid0(VALU_DEP_2) | instskip(NEXT) | instid1(VALU_DEP_3)
	v_div_fmas_f32 v13, v13, v14, v16
	v_add_f32_e32 v14, 1.0, v17
	s_delay_alu instid0(VALU_DEP_2) | instskip(NEXT) | instid1(VALU_DEP_1)
	v_div_fixup_f32 v12, v13, v12, 1.0
	v_pk_mul_f32 v[14:15], v[14:15], v[12:13] op_sel_hi:[1,0]
.LBB141_16:                             ;   in Loop: Header=BB141_4 Depth=1
	s_or_b32 exec_lo, exec_lo, s15
	s_mov_b32 s15, 0
	ds_store_b64 v24, v[14:15]
.LBB141_17:                             ;   in Loop: Header=BB141_4 Depth=1
	s_and_b32 vcc_lo, exec_lo, s15
	s_cbranch_vccz .LBB141_19
; %bb.18:                               ;   in Loop: Header=BB141_4 Depth=1
	ds_store_b64 v24, v[10:11]
.LBB141_19:                             ;   in Loop: Header=BB141_4 Depth=1
	s_or_b32 exec_lo, exec_lo, s14
	s_mov_b32 s14, -1
	s_wait_dscnt 0x0
	; wave barrier
	s_and_saveexec_b32 s41, s1
	s_cbranch_execz .LBB141_3
; %bb.20:                               ;   in Loop: Header=BB141_4 Depth=1
	s_mul_u64 s[14:15], s[2:3], s[16:17]
	s_and_not1_b32 vcc_lo, exec_lo, s38
	v_lshl_add_u64 v[12:13], s[14:15], 3, v[4:5]
	s_mul_u64 s[14:15], s[12:13], s[16:17]
	s_mov_b32 s17, -1
	s_cbranch_vccnz .LBB141_54
; %bb.21:                               ;   in Loop: Header=BB141_4 Depth=1
	v_add_nc_u64_e32 v[14:15], s[14:15], v[8:9]
	s_mov_b32 s17, 0
	s_mov_b32 s26, s36
	s_branch .LBB141_23
.LBB141_22:                             ;   in Loop: Header=BB141_23 Depth=2
	s_cmp_gt_i32 s26, -1
	s_cselect_b32 s18, -1, 0
	s_add_co_i32 s27, s17, 1
	s_cmp_lt_u32 s17, 2
	s_wait_xcnt 0x0
	s_cselect_b32 s17, -1, 0
	s_delay_alu instid0(SALU_CYCLE_1) | instskip(NEXT) | instid1(SALU_CYCLE_1)
	s_and_b32 s17, s18, s17
	s_and_b32 vcc_lo, exec_lo, s17
	s_mov_b32 s17, s27
	s_cbranch_vccz .LBB141_53
.LBB141_23:                             ;   Parent Loop BB141_4 Depth=1
                                        ; =>  This Loop Header: Depth=2
                                        ;       Child Loop BB141_26 Depth 3
                                        ;         Child Loop BB141_28 Depth 4
                                        ;         Child Loop BB141_32 Depth 4
	;; [unrolled: 1-line block ×3, first 2 shown]
                                        ;           Child Loop BB141_38 Depth 5
                                        ;           Child Loop BB141_44 Depth 5
                                        ;         Child Loop BB141_47 Depth 4
                                        ;           Child Loop BB141_49 Depth 5
	s_load_b32 s42, s[10:11], s17 offset:0x0 scale_offset
	s_wait_kmcnt 0x0
	s_add_co_i32 s43, s42, -1
	s_delay_alu instid0(SALU_CYCLE_1)
	s_cmp_lt_i32 s26, s43
	s_cbranch_scc1 .LBB141_22
; %bb.24:                               ;   in Loop: Header=BB141_23 Depth=2
	s_max_i32 s44, s42, 1
	s_cmp_lg_u32 s17, 2
	s_mul_i32 s50, s26, 0x48
	s_cselect_b32 s45, -1, 0
	s_and_b32 s46, s44, 0x7ffffffe
	s_mul_i32 s51, s42, 0xffffffb8
	s_cmp_lg_u32 s44, s46
	s_cselect_b32 s47, -1, 0
	s_lshl_b32 s18, s26, 6
	s_lshl_b32 s27, s42, 6
	s_add_co_i32 s48, s39, s18
	s_sub_co_i32 s49, 0, s27
	s_branch .LBB141_26
.LBB141_25:                             ;   in Loop: Header=BB141_26 Depth=3
	s_sub_co_i32 s26, s26, s42
	s_add_co_i32 s48, s48, s49
	s_add_co_i32 s50, s50, s51
	s_cmp_lt_i32 s26, s43
	s_cbranch_scc1 .LBB141_22
.LBB141_26:                             ;   Parent Loop BB141_4 Depth=1
                                        ;     Parent Loop BB141_23 Depth=2
                                        ; =>    This Loop Header: Depth=3
                                        ;         Child Loop BB141_28 Depth 4
                                        ;         Child Loop BB141_32 Depth 4
	;; [unrolled: 1-line block ×3, first 2 shown]
                                        ;           Child Loop BB141_38 Depth 5
                                        ;           Child Loop BB141_44 Depth 5
                                        ;         Child Loop BB141_47 Depth 4
                                        ;           Child Loop BB141_49 Depth 5
	s_and_not1_b32 vcc_lo, exec_lo, s45
	s_cbranch_vccnz .LBB141_30
; %bb.27:                               ;   in Loop: Header=BB141_26 Depth=3
	s_wait_xcnt 0x0
	v_mov_b32_e32 v16, v1
	s_mov_b32 s27, s26
	s_mov_b32 s28, 1
	;; [unrolled: 1-line block ×4, first 2 shown]
.LBB141_28:                             ;   Parent Loop BB141_4 Depth=1
                                        ;     Parent Loop BB141_23 Depth=2
                                        ;       Parent Loop BB141_26 Depth=3
                                        ; =>      This Inner Loop Header: Depth=4
	s_sub_co_i32 s52, s27, s28
	s_sub_co_i32 s54, s26, s29
	s_ashr_i32 s53, s52, 31
	s_ashr_i32 s55, s54, 31
	v_lshl_add_u64 v[18:19], s[52:53], 3, v[12:13]
	v_lshl_add_u64 v[20:21], s[54:55], 3, v[12:13]
	s_add_co_i32 s30, s30, -2
	s_add_co_i32 s29, s29, 2
	s_add_co_i32 s28, s28, 2
	s_clause 0x1
	global_load_b64 v[22:23], v[18:19], off
	global_load_b64 v[26:27], v[20:21], off
	s_wait_xcnt 0x1
	v_mov_b64_e32 v[18:19], s[24:25]
	s_wait_xcnt 0x0
	v_mov_b64_e32 v[20:21], s[22:23]
	s_mov_b32 s18, s46
	s_cmp_lg_u32 s30, 0
	s_mov_b32 s31, s47
	s_wait_loadcnt 0x0
	v_dual_mov_b32 v29, v22 :: v_dual_mov_b32 v22, v27
	v_mov_b32_e32 v28, v26
	s_delay_alu instid0(VALU_DEP_2) | instskip(SKIP_1) | instid1(VALU_DEP_2)
	v_pk_mul_f32 v[26:27], v[22:23], v[18:19]
	v_pk_mul_f32 v[22:23], v[22:23], v[20:21]
	v_pk_fma_f32 v[26:27], v[28:29], v[20:21], v[26:27] neg_lo:[0,0,1] neg_hi:[0,0,1]
	s_delay_alu instid0(VALU_DEP_2) | instskip(NEXT) | instid1(VALU_DEP_1)
	v_pk_fma_f32 v[20:21], v[28:29], v[18:19], v[22:23]
	v_dual_mov_b32 v18, v26 :: v_dual_mov_b32 v19, v20
	s_delay_alu instid0(VALU_DEP_3)
	v_mov_b32_e32 v20, v27
	ds_store_b128 v16, v[18:21]
	v_add_nc_u32_e32 v16, 16, v16
	s_cbranch_scc1 .LBB141_28
; %bb.29:                               ;   in Loop: Header=BB141_26 Depth=3
	s_and_b32 vcc_lo, exec_lo, s31
	s_ashr_i32 s27, s26, 31
	s_cbranch_vccnz .LBB141_31
	s_branch .LBB141_33
.LBB141_30:                             ;   in Loop: Header=BB141_26 Depth=3
	s_mov_b32 s18, 0
	s_ashr_i32 s27, s26, 31
	s_cbranch_execz .LBB141_33
.LBB141_31:                             ;   in Loop: Header=BB141_26 Depth=3
	s_lshl_b64 s[28:29], s[26:27], 3
	s_lshl_b64 s[30:31], s[18:19], 3
	v_lshl_add_u32 v18, s18, 3, v1
	s_sub_nc_u64 s[28:29], s[28:29], s[30:31]
	s_sub_co_i32 s18, s44, s18
	s_wait_xcnt 0x0
	v_add_nc_u64_e32 v[16:17], s[28:29], v[14:15]
.LBB141_32:                             ;   Parent Loop BB141_4 Depth=1
                                        ;     Parent Loop BB141_23 Depth=2
                                        ;       Parent Loop BB141_26 Depth=3
                                        ; =>      This Inner Loop Header: Depth=4
	global_load_b64 v[20:21], v[16:17], off offset:-4
	v_mov_b64_e32 v[22:23], s[6:7]
	v_mov_b64_e32 v[26:27], s[20:21]
	s_wait_xcnt 0x0
	v_add_nc_u64_e32 v[16:17], -8, v[16:17]
	s_add_co_i32 s18, s18, -1
	s_delay_alu instid0(SALU_CYCLE_1) | instskip(SKIP_2) | instid1(VALU_DEP_1)
	s_cmp_eq_u32 s18, 0
	s_wait_loadcnt 0x0
	v_pk_mul_f32 v[22:23], v[20:21], v[22:23] op_sel:[1,0]
	v_pk_fma_f32 v[28:29], v[20:21], v[26:27], v[22:23] op_sel_hi:[0,1,1]
	v_pk_fma_f32 v[20:21], v[20:21], v[26:27], v[22:23] neg_lo:[0,0,1] neg_hi:[0,0,1]
	s_delay_alu instid0(VALU_DEP_2)
	v_mov_b32_e32 v21, v29
	ds_store_b64 v18, v[20:21]
	v_add_nc_u32_e32 v18, 8, v18
	s_cbranch_scc0 .LBB141_32
.LBB141_33:                             ;   in Loop: Header=BB141_26 Depth=3
	s_cmp_le_i32 s36, s26
	s_cbranch_scc1 .LBB141_45
; %bb.34:                               ;   in Loop: Header=BB141_26 Depth=3
	s_mov_b32 s18, s26
	s_mov_b32 s30, s26
	;; [unrolled: 1-line block ×4, first 2 shown]
	s_branch .LBB141_36
.LBB141_35:                             ;   in Loop: Header=BB141_36 Depth=4
	s_add_co_i32 s28, s28, -1
	s_add_co_i32 s31, s31, -8
	s_cmp_le_i32 s28, s26
	s_cbranch_scc1 .LBB141_45
.LBB141_36:                             ;   Parent Loop BB141_4 Depth=1
                                        ;     Parent Loop BB141_23 Depth=2
                                        ;       Parent Loop BB141_26 Depth=3
                                        ; =>      This Loop Header: Depth=4
                                        ;           Child Loop BB141_38 Depth 5
                                        ;           Child Loop BB141_44 Depth 5
	s_ashr_i32 s29, s28, 31
	s_and_b32 vcc_lo, exec_lo, s45
	s_wait_xcnt 0x0
	v_lshl_add_u64 v[16:17], s[28:29], 3, v[12:13]
	global_load_b64 v[16:17], v[16:17], off
	s_cbranch_vccz .LBB141_40
; %bb.37:                               ;   in Loop: Header=BB141_36 Depth=4
	s_wait_loadcnt 0x0
	v_dual_mov_b32 v20, v16 :: v_dual_mov_b32 v21, v16
	v_dual_mov_b32 v18, v17 :: v_dual_mov_b32 v22, v17
	;; [unrolled: 1-line block ×3, first 2 shown]
	s_lshl_b32 s29, s28, 3
	s_mov_b32 s52, 1
	s_mov_b32 s53, 0
	;; [unrolled: 1-line block ×3, first 2 shown]
.LBB141_38:                             ;   Parent Loop BB141_4 Depth=1
                                        ;     Parent Loop BB141_23 Depth=2
                                        ;       Parent Loop BB141_26 Depth=3
                                        ;         Parent Loop BB141_36 Depth=4
                                        ; =>        This Inner Loop Header: Depth=5
	s_sub_co_i32 s55, s18, s53
	s_sub_co_i32 s56, s30, s52
	s_lshl_b32 s55, s55, 6
	s_lshl_b32 s56, s56, 6
	s_add_co_i32 s55, s29, s55
	s_add_co_i32 s56, s29, s56
	s_delay_alu instid0(SALU_CYCLE_1)
	v_dual_mov_b32 v25, s55 :: v_dual_mov_b32 v26, s56
	s_add_co_i32 s54, s54, -2
	s_add_co_i32 s53, s53, 2
	s_add_co_i32 s52, s52, 2
	ds_load_b64 v[30:31], v25
	ds_load_b64 v[32:33], v26
	ds_load_b128 v[26:29], v19
	s_cmp_lg_u32 s54, 0
	s_wait_dscnt 0x1
	v_dual_mov_b32 v36, v30 :: v_dual_mov_b32 v37, v32
	s_wait_dscnt 0x0
	v_dual_mov_b32 v32, v31 :: v_dual_mov_b32 v34, v26
	v_dual_mov_b32 v35, v28 :: v_dual_mov_b32 v28, v27
	s_delay_alu instid0(VALU_DEP_2) | instskip(SKIP_1) | instid1(VALU_DEP_2)
	v_pk_mul_f32 v[30:31], v[32:33], v[22:23]
	v_pk_mul_f32 v[32:33], v[32:33], v[20:21]
	v_pk_fma_f32 v[26:27], v[36:37], v[20:21], v[30:31] neg_lo:[0,0,1] neg_hi:[0,0,1]
	s_delay_alu instid0(VALU_DEP_2) | instskip(NEXT) | instid1(VALU_DEP_2)
	v_pk_fma_f32 v[30:31], v[36:37], v[22:23], v[32:33]
	v_pk_add_f32 v[32:33], v[34:35], v[26:27] neg_lo:[0,1] neg_hi:[0,1]
	s_delay_alu instid0(VALU_DEP_2) | instskip(NEXT) | instid1(VALU_DEP_1)
	v_pk_add_f32 v[28:29], v[28:29], v[30:31] neg_lo:[0,1] neg_hi:[0,1]
	v_dual_mov_b32 v26, v32 :: v_dual_mov_b32 v27, v28
	s_delay_alu instid0(VALU_DEP_3)
	v_mov_b32_e32 v28, v33
	ds_store_b128 v19, v[26:29]
	v_add_nc_u32_e32 v19, 16, v19
	s_cbranch_scc1 .LBB141_38
; %bb.39:                               ;   in Loop: Header=BB141_36 Depth=4
	s_mov_b32 s29, s47
	s_mov_b32 s52, s46
	s_branch .LBB141_42
.LBB141_40:                             ;   in Loop: Header=BB141_36 Depth=4
	s_wait_loadcnt 0x0
	v_mov_b32_e32 v18, v17
	s_mov_b32 s29, 0
	s_mov_b32 s52, s46
	s_cbranch_execz .LBB141_42
; %bb.41:                               ;   in Loop: Header=BB141_36 Depth=4
	s_mov_b32 s29, -1
	s_mov_b32 s52, 0
.LBB141_42:                             ;   in Loop: Header=BB141_36 Depth=4
	s_and_not1_b32 vcc_lo, exec_lo, s29
	s_cbranch_vccnz .LBB141_35
; %bb.43:                               ;   in Loop: Header=BB141_36 Depth=4
	s_wait_xcnt 0x0
	v_dual_mov_b32 v19, v17 :: v_dual_mov_b32 v17, v16
	v_lshl_add_u32 v20, s52, 3, v1
	s_lshl_b32 s53, s52, 6
	s_sub_co_i32 s29, s44, s52
	s_sub_co_i32 s52, s31, s53
.LBB141_44:                             ;   Parent Loop BB141_4 Depth=1
                                        ;     Parent Loop BB141_23 Depth=2
                                        ;       Parent Loop BB141_26 Depth=3
                                        ;         Parent Loop BB141_36 Depth=4
                                        ; =>        This Inner Loop Header: Depth=5
	s_delay_alu instid0(SALU_CYCLE_1)
	v_mov_b32_e32 v21, s52
	s_add_co_i32 s29, s29, -1
	s_sub_co_i32 s52, s52, 64
	s_cmp_eq_u32 s29, 0
	ds_load_b64 v[22:23], v21
	ds_load_b64 v[26:27], v20
	s_wait_dscnt 0x1
	v_pk_mul_f32 v[28:29], v[22:23], v[18:19] op_sel:[1,0] op_sel_hi:[0,1]
	s_delay_alu instid0(VALU_DEP_1) | instskip(SKIP_1) | instid1(VALU_DEP_2)
	v_pk_fma_f32 v[30:31], v[22:23], v[16:17], v[28:29]
	v_pk_fma_f32 v[22:23], v[22:23], v[16:17], v[28:29] neg_lo:[0,0,1] neg_hi:[0,0,1]
	v_mov_b32_e32 v23, v31
	s_wait_dscnt 0x0
	s_delay_alu instid0(VALU_DEP_1)
	v_pk_add_f32 v[22:23], v[26:27], v[22:23] neg_lo:[0,1] neg_hi:[0,1]
	ds_store_b64 v20, v[22:23]
	v_add_nc_u32_e32 v20, 8, v20
	s_cbranch_scc0 .LBB141_44
	s_branch .LBB141_35
.LBB141_45:                             ;   in Loop: Header=BB141_26 Depth=3
	s_mov_b32 s18, 0
	s_mov_b32 s52, s50
	s_branch .LBB141_47
.LBB141_46:                             ;   in Loop: Header=BB141_47 Depth=4
	s_mulk_i32 s30, 0x48
	s_add_co_i32 s18, s18, 1
	s_wait_xcnt 0x0
	v_mov_b32_e32 v17, s30
	s_sub_co_i32 s52, s52, 64
	s_cmp_eq_u32 s18, s44
	ds_load_b64 v[20:21], v17
	s_wait_dscnt 0x0
	v_pk_mul_f32 v[22:23], v[20:21], v[18:19] op_sel:[1,0] op_sel_hi:[0,0]
	s_delay_alu instid0(VALU_DEP_1) | instskip(SKIP_2) | instid1(VALU_DEP_3)
	v_pk_fma_f32 v[26:27], v[20:21], v[16:17], v[22:23] op_sel_hi:[1,0,1]
	v_pk_fma_f32 v[16:17], v[20:21], v[16:17], v[22:23] neg_lo:[0,0,1] neg_hi:[0,0,1]
	v_lshl_add_u64 v[20:21], s[28:29], 3, v[12:13]
	v_mov_b32_e32 v17, v27
	ds_store_b64 v19, v[16:17]
	global_store_b64 v[20:21], v[16:17], off
	s_cbranch_scc1 .LBB141_25
.LBB141_47:                             ;   Parent Loop BB141_4 Depth=1
                                        ;     Parent Loop BB141_23 Depth=2
                                        ;       Parent Loop BB141_26 Depth=3
                                        ; =>      This Loop Header: Depth=4
                                        ;           Child Loop BB141_49 Depth 5
	v_lshl_add_u32 v19, s18, 3, v1
	s_cmp_lg_u32 s18, 0
	s_cbranch_scc0 .LBB141_51
; %bb.48:                               ;   in Loop: Header=BB141_47 Depth=4
	s_wait_xcnt 0x0
	ds_load_b64 v[16:17], v19
	v_mov_b32_e32 v18, v1
	s_mov_b32 s28, s52
	s_mov_b32 s29, s18
.LBB141_49:                             ;   Parent Loop BB141_4 Depth=1
                                        ;     Parent Loop BB141_23 Depth=2
                                        ;       Parent Loop BB141_26 Depth=3
                                        ;         Parent Loop BB141_47 Depth=4
                                        ; =>        This Inner Loop Header: Depth=5
	v_mov_b32_e32 v22, s28
	s_add_co_i32 s29, s29, -1
	s_add_co_i32 s28, s28, -8
	s_cmp_eq_u32 s29, 0
	ds_load_b64 v[20:21], v18
	ds_load_b64 v[22:23], v22
	v_add_nc_u32_e32 v18, 8, v18
	s_wait_dscnt 0x0
	v_pk_mul_f32 v[26:27], v[22:23], v[20:21] op_sel:[1,1] op_sel_hi:[0,1]
	s_delay_alu instid0(VALU_DEP_1) | instskip(SKIP_1) | instid1(VALU_DEP_2)
	v_pk_fma_f32 v[28:29], v[22:23], v[20:21], v[26:27] op_sel_hi:[1,0,1]
	v_pk_fma_f32 v[20:21], v[22:23], v[20:21], v[26:27] neg_lo:[0,0,1] neg_hi:[0,0,1]
	v_mov_b32_e32 v21, v29
	s_delay_alu instid0(VALU_DEP_1)
	v_pk_add_f32 v[16:17], v[16:17], v[20:21] neg_lo:[0,1] neg_hi:[0,1]
	ds_store_b64 v19, v[16:17]
	s_cbranch_scc0 .LBB141_49
; %bb.50:                               ;   in Loop: Header=BB141_47 Depth=4
	s_sub_co_i32 s30, s26, s18
	v_mov_b32_e32 v18, v17
	s_ashr_i32 s31, s30, 31
	s_delay_alu instid0(SALU_CYCLE_1)
	s_mov_b64 s[28:29], s[30:31]
	s_branch .LBB141_46
.LBB141_51:                             ;   in Loop: Header=BB141_47 Depth=4
                                        ; implicit-def: $vgpr16
                                        ; implicit-def: $vgpr18
                                        ; implicit-def: $sgpr30
                                        ; implicit-def: $sgpr28_sgpr29
	s_cbranch_execz .LBB141_46
; %bb.52:                               ;   in Loop: Header=BB141_47 Depth=4
	s_wait_xcnt 0x0
	ds_load_b64 v[16:17], v1
	s_mov_b64 s[28:29], s[26:27]
	s_mov_b32 s30, s26
	s_wait_dscnt 0x0
	v_mov_b32_e32 v18, v17
	s_branch .LBB141_46
.LBB141_53:                             ;   in Loop: Header=BB141_4 Depth=1
	s_mov_b32 s17, 0
.LBB141_54:                             ;   in Loop: Header=BB141_4 Depth=1
	s_delay_alu instid0(SALU_CYCLE_1)
	s_and_b32 vcc_lo, exec_lo, s17
	s_cbranch_vccz .LBB141_2
; %bb.55:                               ;   in Loop: Header=BB141_4 Depth=1
	v_add_nc_u64_e32 v[14:15], s[14:15], v[8:9]
	s_mov_b32 s14, 0
	s_mov_b32 s17, 0
	s_branch .LBB141_57
.LBB141_56:                             ;   in Loop: Header=BB141_57 Depth=2
	s_cmp_lt_i32 s14, s35
	s_cselect_b32 s15, -1, 0
	s_add_co_i32 s18, s17, 1
	s_cmp_lt_u32 s17, 2
	s_cselect_b32 s17, -1, 0
	s_delay_alu instid0(SALU_CYCLE_1)
	s_and_b32 s15, s15, s17
	s_mov_b32 s17, s18
	s_and_not1_b32 vcc_lo, exec_lo, s15
	s_cbranch_vccnz .LBB141_2
.LBB141_57:                             ;   Parent Loop BB141_4 Depth=1
                                        ; =>  This Loop Header: Depth=2
                                        ;       Child Loop BB141_60 Depth 3
                                        ;         Child Loop BB141_62 Depth 4
                                        ;         Child Loop BB141_66 Depth 4
	;; [unrolled: 1-line block ×3, first 2 shown]
                                        ;           Child Loop BB141_72 Depth 5
                                        ;           Child Loop BB141_78 Depth 5
                                        ;         Child Loop BB141_81 Depth 4
                                        ;           Child Loop BB141_83 Depth 5
	s_load_b32 s26, s[10:11], s17 offset:0x0 scale_offset
	s_wait_kmcnt 0x0
	s_add_co_i32 s28, s26, -1
	s_delay_alu instid0(SALU_CYCLE_1) | instskip(NEXT) | instid1(SALU_CYCLE_1)
	s_add_co_i32 s15, s28, s14
	s_cmp_ge_i32 s15, s35
	s_cbranch_scc1 .LBB141_56
; %bb.58:                               ;   in Loop: Header=BB141_57 Depth=2
	s_max_i32 s29, s26, 1
	s_cmp_lg_u32 s17, 2
	s_mul_i32 s45, s14, 0x48
	s_cselect_b32 s30, -1, 0
	s_and_b32 s31, s29, 0x7ffffffe
	s_mul_i32 s46, s26, 0x48
	s_cmp_lg_u32 s29, s31
	s_cselect_b32 s42, -1, 0
	s_ashr_i32 s15, s14, 31
	s_ashr_i32 s27, s26, 31
	s_lshl_b32 s43, s14, 3
	s_lshl_b32 s44, s26, 3
	s_branch .LBB141_60
.LBB141_59:                             ;   in Loop: Header=BB141_60 Depth=3
	s_add_nc_u64 s[14:15], s[14:15], s[26:27]
	s_add_co_i32 s43, s43, s44
	s_add_co_i32 s18, s28, s14
	;; [unrolled: 1-line block ×3, first 2 shown]
	s_cmp_ge_i32 s18, s35
	s_cbranch_scc1 .LBB141_56
.LBB141_60:                             ;   Parent Loop BB141_4 Depth=1
                                        ;     Parent Loop BB141_57 Depth=2
                                        ; =>    This Loop Header: Depth=3
                                        ;         Child Loop BB141_62 Depth 4
                                        ;         Child Loop BB141_66 Depth 4
                                        ;         Child Loop BB141_70 Depth 4
                                        ;           Child Loop BB141_72 Depth 5
                                        ;           Child Loop BB141_78 Depth 5
                                        ;         Child Loop BB141_81 Depth 4
                                        ;           Child Loop BB141_83 Depth 5
	s_and_not1_b32 vcc_lo, exec_lo, s30
	s_cbranch_vccnz .LBB141_64
; %bb.61:                               ;   in Loop: Header=BB141_60 Depth=3
	s_wait_xcnt 0x0
	v_mov_b32_e32 v16, v1
	s_mov_b32 s47, s14
	s_mov_b32 s48, s14
	;; [unrolled: 1-line block ×5, first 2 shown]
.LBB141_62:                             ;   Parent Loop BB141_4 Depth=1
                                        ;     Parent Loop BB141_57 Depth=2
                                        ;       Parent Loop BB141_60 Depth=3
                                        ; =>      This Inner Loop Header: Depth=4
	s_add_co_i32 s52, s49, s48
	s_add_co_i32 s54, s50, s47
	s_ashr_i32 s53, s52, 31
	s_ashr_i32 s55, s54, 31
	v_lshl_add_u64 v[18:19], s[52:53], 3, v[12:13]
	v_lshl_add_u64 v[20:21], s[54:55], 3, v[12:13]
	s_add_co_i32 s51, s51, -2
	s_add_co_i32 s50, s50, 2
	s_add_co_i32 s49, s49, 2
	s_clause 0x1
	global_load_b64 v[22:23], v[18:19], off
	global_load_b64 v[26:27], v[20:21], off
	s_wait_xcnt 0x1
	v_mov_b64_e32 v[18:19], s[24:25]
	s_wait_xcnt 0x0
	v_mov_b64_e32 v[20:21], s[22:23]
	s_mov_b32 s18, s31
	s_cmp_lg_u32 s51, 0
	s_mov_b32 s52, s42
	s_wait_loadcnt 0x0
	v_dual_mov_b32 v29, v22 :: v_dual_mov_b32 v22, v27
	v_mov_b32_e32 v28, v26
	s_delay_alu instid0(VALU_DEP_2) | instskip(SKIP_1) | instid1(VALU_DEP_2)
	v_pk_mul_f32 v[26:27], v[22:23], v[18:19]
	v_pk_mul_f32 v[22:23], v[22:23], v[20:21]
	v_pk_fma_f32 v[26:27], v[28:29], v[20:21], v[26:27] neg_lo:[0,0,1] neg_hi:[0,0,1]
	s_delay_alu instid0(VALU_DEP_2) | instskip(NEXT) | instid1(VALU_DEP_1)
	v_pk_fma_f32 v[20:21], v[28:29], v[18:19], v[22:23]
	v_dual_mov_b32 v18, v26 :: v_dual_mov_b32 v19, v20
	s_delay_alu instid0(VALU_DEP_3)
	v_mov_b32_e32 v20, v27
	ds_store_b128 v16, v[18:21]
	v_add_nc_u32_e32 v16, 16, v16
	s_cbranch_scc1 .LBB141_62
; %bb.63:                               ;   in Loop: Header=BB141_60 Depth=3
	s_and_b32 vcc_lo, exec_lo, s52
	s_cbranch_vccnz .LBB141_65
	s_branch .LBB141_67
.LBB141_64:                             ;   in Loop: Header=BB141_60 Depth=3
	s_mov_b32 s18, 0
	s_cbranch_execz .LBB141_67
.LBB141_65:                             ;   in Loop: Header=BB141_60 Depth=3
	s_add_nc_u64 s[48:49], s[14:15], s[18:19]
	v_lshl_add_u32 v18, s18, 3, v1
	s_wait_xcnt 0x0
	v_lshl_add_u64 v[16:17], s[48:49], 3, v[14:15]
	s_sub_co_i32 s18, s29, s18
.LBB141_66:                             ;   Parent Loop BB141_4 Depth=1
                                        ;     Parent Loop BB141_57 Depth=2
                                        ;       Parent Loop BB141_60 Depth=3
                                        ; =>      This Inner Loop Header: Depth=4
	global_load_b64 v[20:21], v[16:17], off offset:-4
	v_mov_b64_e32 v[22:23], s[6:7]
	v_mov_b64_e32 v[26:27], s[20:21]
	s_wait_xcnt 0x0
	v_add_nc_u64_e32 v[16:17], 8, v[16:17]
	s_add_co_i32 s18, s18, -1
	s_delay_alu instid0(SALU_CYCLE_1) | instskip(SKIP_2) | instid1(VALU_DEP_1)
	s_cmp_eq_u32 s18, 0
	s_wait_loadcnt 0x0
	v_pk_mul_f32 v[22:23], v[20:21], v[22:23] op_sel:[1,0]
	v_pk_fma_f32 v[28:29], v[20:21], v[26:27], v[22:23] op_sel_hi:[0,1,1]
	v_pk_fma_f32 v[20:21], v[20:21], v[26:27], v[22:23] neg_lo:[0,0,1] neg_hi:[0,0,1]
	s_delay_alu instid0(VALU_DEP_2)
	v_mov_b32_e32 v21, v29
	ds_store_b64 v18, v[20:21]
	v_add_nc_u32_e32 v18, 8, v18
	s_cbranch_scc0 .LBB141_66
.LBB141_67:                             ;   in Loop: Header=BB141_60 Depth=3
	s_cmp_lt_i32 s14, 1
	s_cbranch_scc1 .LBB141_79
; %bb.68:                               ;   in Loop: Header=BB141_60 Depth=3
	s_mov_b32 s18, 0
	s_mov_b32 s47, s43
	s_branch .LBB141_70
.LBB141_69:                             ;   in Loop: Header=BB141_70 Depth=4
	s_add_co_i32 s18, s18, 1
	s_add_co_i32 s47, s47, 64
	s_cmp_eq_u32 s18, s14
	s_cbranch_scc1 .LBB141_79
.LBB141_70:                             ;   Parent Loop BB141_4 Depth=1
                                        ;     Parent Loop BB141_57 Depth=2
                                        ;       Parent Loop BB141_60 Depth=3
                                        ; =>      This Loop Header: Depth=4
                                        ;           Child Loop BB141_72 Depth 5
                                        ;           Child Loop BB141_78 Depth 5
	s_wait_xcnt 0x0
	v_lshl_add_u64 v[16:17], s[18:19], 3, v[12:13]
	s_and_b32 vcc_lo, exec_lo, s30
	global_load_b64 v[16:17], v[16:17], off
	s_cbranch_vccz .LBB141_74
; %bb.71:                               ;   in Loop: Header=BB141_70 Depth=4
	s_wait_loadcnt 0x0
	v_dual_mov_b32 v20, v16 :: v_dual_mov_b32 v21, v16
	v_dual_mov_b32 v18, v17 :: v_dual_mov_b32 v22, v17
	;; [unrolled: 1-line block ×3, first 2 shown]
	s_mov_b32 s48, s31
	s_mov_b32 s49, s47
.LBB141_72:                             ;   Parent Loop BB141_4 Depth=1
                                        ;     Parent Loop BB141_57 Depth=2
                                        ;       Parent Loop BB141_60 Depth=3
                                        ;         Parent Loop BB141_70 Depth=4
                                        ; =>        This Inner Loop Header: Depth=5
	s_delay_alu instid0(SALU_CYCLE_1)
	v_mov_b32_e32 v25, s49
	s_add_co_i32 s48, s48, -2
	s_add_co_i32 s49, s49, 16
	s_cmp_lg_u32 s48, 0
	ds_load_2addr_b64 v[26:29], v25 offset1:1
	ds_load_b128 v[30:33], v19
	s_wait_dscnt 0x0
	v_dual_mov_b32 v37, v28 :: v_dual_mov_b32 v35, v32
	v_dual_mov_b32 v28, v27 :: v_dual_mov_b32 v36, v26
	;; [unrolled: 1-line block ×3, first 2 shown]
	s_delay_alu instid0(VALU_DEP_2) | instskip(SKIP_1) | instid1(VALU_DEP_2)
	v_pk_mul_f32 v[26:27], v[28:29], v[22:23]
	v_pk_mul_f32 v[28:29], v[28:29], v[20:21]
	v_pk_fma_f32 v[26:27], v[36:37], v[20:21], v[26:27] neg_lo:[0,0,1] neg_hi:[0,0,1]
	s_delay_alu instid0(VALU_DEP_2) | instskip(NEXT) | instid1(VALU_DEP_2)
	v_pk_fma_f32 v[28:29], v[36:37], v[22:23], v[28:29]
	v_pk_add_f32 v[30:31], v[34:35], v[26:27] neg_lo:[0,1] neg_hi:[0,1]
	s_delay_alu instid0(VALU_DEP_1) | instskip(NEXT) | instid1(VALU_DEP_3)
	v_mov_b32_e32 v26, v30
	v_pk_add_f32 v[28:29], v[32:33], v[28:29] neg_lo:[0,1] neg_hi:[0,1]
	s_delay_alu instid0(VALU_DEP_1)
	v_dual_mov_b32 v27, v28 :: v_dual_mov_b32 v28, v31
	ds_store_b128 v19, v[26:29]
	v_add_nc_u32_e32 v19, 16, v19
	s_cbranch_scc1 .LBB141_72
; %bb.73:                               ;   in Loop: Header=BB141_70 Depth=4
	s_mov_b32 s48, s42
	s_mov_b32 s49, s31
	s_branch .LBB141_76
.LBB141_74:                             ;   in Loop: Header=BB141_70 Depth=4
	s_wait_loadcnt 0x0
	v_mov_b32_e32 v18, v17
	s_mov_b32 s48, 0
	s_mov_b32 s49, s31
	s_cbranch_execz .LBB141_76
; %bb.75:                               ;   in Loop: Header=BB141_70 Depth=4
	s_mov_b32 s48, -1
	s_mov_b32 s49, 0
.LBB141_76:                             ;   in Loop: Header=BB141_70 Depth=4
	s_and_not1_b32 vcc_lo, exec_lo, s48
	s_cbranch_vccnz .LBB141_69
; %bb.77:                               ;   in Loop: Header=BB141_70 Depth=4
	s_wait_xcnt 0x0
	v_dual_mov_b32 v19, v17 :: v_dual_mov_b32 v17, v16
	s_sub_co_i32 s48, s29, s49
	s_lshl_b32 s49, s49, 3
.LBB141_78:                             ;   Parent Loop BB141_4 Depth=1
                                        ;     Parent Loop BB141_57 Depth=2
                                        ;       Parent Loop BB141_60 Depth=3
                                        ;         Parent Loop BB141_70 Depth=4
                                        ; =>        This Inner Loop Header: Depth=5
	s_delay_alu instid0(SALU_CYCLE_1)
	s_add_co_i32 s50, s47, s49
	s_add_co_i32 s48, s48, -1
	v_dual_mov_b32 v20, s50 :: v_dual_add_nc_u32 v25, s49, v1
	s_add_co_i32 s49, s49, 8
	s_cmp_eq_u32 s48, 0
	ds_load_b64 v[20:21], v20
	ds_load_b64 v[22:23], v25
	s_wait_dscnt 0x1
	v_pk_mul_f32 v[26:27], v[20:21], v[18:19] op_sel:[1,0] op_sel_hi:[0,1]
	s_delay_alu instid0(VALU_DEP_1) | instskip(SKIP_1) | instid1(VALU_DEP_2)
	v_pk_fma_f32 v[28:29], v[20:21], v[16:17], v[26:27]
	v_pk_fma_f32 v[20:21], v[20:21], v[16:17], v[26:27] neg_lo:[0,0,1] neg_hi:[0,0,1]
	v_mov_b32_e32 v21, v29
	s_wait_dscnt 0x0
	s_delay_alu instid0(VALU_DEP_1)
	v_pk_add_f32 v[20:21], v[22:23], v[20:21] neg_lo:[0,1] neg_hi:[0,1]
	ds_store_b64 v25, v[20:21]
	s_cbranch_scc0 .LBB141_78
	s_branch .LBB141_69
.LBB141_79:                             ;   in Loop: Header=BB141_60 Depth=3
	s_mov_b32 s18, 0
	s_mov_b32 s47, s45
	s_branch .LBB141_81
.LBB141_80:                             ;   in Loop: Header=BB141_81 Depth=4
	s_add_co_i32 s48, s18, s14
	s_add_co_i32 s18, s18, 1
	s_mul_i32 s49, s48, 0x48
	s_add_co_i32 s47, s47, 8
	s_wait_xcnt 0x0
	v_mov_b32_e32 v17, s49
	s_ashr_i32 s49, s48, 31
	s_cmp_eq_u32 s18, s29
	ds_load_b64 v[20:21], v17
	s_wait_dscnt 0x0
	v_pk_mul_f32 v[22:23], v[20:21], v[18:19] op_sel:[1,0] op_sel_hi:[0,0]
	s_delay_alu instid0(VALU_DEP_1) | instskip(SKIP_2) | instid1(VALU_DEP_3)
	v_pk_fma_f32 v[26:27], v[20:21], v[16:17], v[22:23] op_sel_hi:[1,0,1]
	v_pk_fma_f32 v[16:17], v[20:21], v[16:17], v[22:23] neg_lo:[0,0,1] neg_hi:[0,0,1]
	v_lshl_add_u64 v[20:21], s[48:49], 3, v[12:13]
	v_mov_b32_e32 v17, v27
	ds_store_b64 v19, v[16:17]
	global_store_b64 v[20:21], v[16:17], off
	s_cbranch_scc1 .LBB141_59
.LBB141_81:                             ;   Parent Loop BB141_4 Depth=1
                                        ;     Parent Loop BB141_57 Depth=2
                                        ;       Parent Loop BB141_60 Depth=3
                                        ; =>      This Loop Header: Depth=4
                                        ;           Child Loop BB141_83 Depth 5
	v_lshl_add_u32 v19, s18, 3, v1
	s_cmp_lg_u32 s18, 0
	s_cbranch_scc0 .LBB141_85
; %bb.82:                               ;   in Loop: Header=BB141_81 Depth=4
	s_wait_xcnt 0x0
	ds_load_b64 v[16:17], v19
	v_mov_b32_e32 v18, v1
	s_mov_b32 s48, s47
	s_mov_b32 s49, s18
.LBB141_83:                             ;   Parent Loop BB141_4 Depth=1
                                        ;     Parent Loop BB141_57 Depth=2
                                        ;       Parent Loop BB141_60 Depth=3
                                        ;         Parent Loop BB141_81 Depth=4
                                        ; =>        This Inner Loop Header: Depth=5
	v_mov_b32_e32 v22, s48
	s_add_co_i32 s49, s49, -1
	s_add_co_i32 s48, s48, 64
	s_cmp_eq_u32 s49, 0
	ds_load_b64 v[20:21], v18
	ds_load_b64 v[22:23], v22
	v_add_nc_u32_e32 v18, 8, v18
	s_wait_dscnt 0x0
	v_pk_mul_f32 v[26:27], v[22:23], v[20:21] op_sel:[1,1] op_sel_hi:[0,1]
	s_delay_alu instid0(VALU_DEP_1) | instskip(SKIP_1) | instid1(VALU_DEP_2)
	v_pk_fma_f32 v[28:29], v[22:23], v[20:21], v[26:27] op_sel_hi:[1,0,1]
	v_pk_fma_f32 v[20:21], v[22:23], v[20:21], v[26:27] neg_lo:[0,0,1] neg_hi:[0,0,1]
	v_mov_b32_e32 v21, v29
	s_delay_alu instid0(VALU_DEP_1)
	v_pk_add_f32 v[16:17], v[16:17], v[20:21] neg_lo:[0,1] neg_hi:[0,1]
	ds_store_b64 v19, v[16:17]
	s_cbranch_scc0 .LBB141_83
; %bb.84:                               ;   in Loop: Header=BB141_81 Depth=4
	v_mov_b32_e32 v18, v17
	s_branch .LBB141_80
.LBB141_85:                             ;   in Loop: Header=BB141_81 Depth=4
                                        ; implicit-def: $vgpr16
                                        ; implicit-def: $vgpr18
	s_cbranch_execz .LBB141_80
; %bb.86:                               ;   in Loop: Header=BB141_81 Depth=4
	s_wait_xcnt 0x0
	ds_load_b64 v[16:17], v1
	s_wait_dscnt 0x0
	v_mov_b32_e32 v18, v17
	s_branch .LBB141_80
.LBB141_87:
	s_endpgm
	.section	.rodata,"a",@progbits
	.p2align	6, 0x0
	.amdhsa_kernel _ZL30rocblas_trsm_small_left_deviceILi8ELi8ELb1E19rocblas_complex_numIfES1_PKS1_PS1_Ev13rocblas_fill_18rocblas_operation_17rocblas_diagonal_iiT3_T4_lilT5_lili
		.amdhsa_group_segment_fixed_size 1024
		.amdhsa_private_segment_fixed_size 0
		.amdhsa_kernarg_size 360
		.amdhsa_user_sgpr_count 4
		.amdhsa_user_sgpr_dispatch_ptr 1
		.amdhsa_user_sgpr_queue_ptr 0
		.amdhsa_user_sgpr_kernarg_segment_ptr 1
		.amdhsa_user_sgpr_dispatch_id 0
		.amdhsa_user_sgpr_kernarg_preload_length 0
		.amdhsa_user_sgpr_kernarg_preload_offset 0
		.amdhsa_user_sgpr_private_segment_size 0
		.amdhsa_wavefront_size32 1
		.amdhsa_uses_dynamic_stack 0
		.amdhsa_enable_private_segment 0
		.amdhsa_system_sgpr_workgroup_id_x 1
		.amdhsa_system_sgpr_workgroup_id_y 0
		.amdhsa_system_sgpr_workgroup_id_z 1
		.amdhsa_system_sgpr_workgroup_info 0
		.amdhsa_system_vgpr_workitem_id 2
		.amdhsa_next_free_vgpr 38
		.amdhsa_next_free_sgpr 57
		.amdhsa_named_barrier_count 0
		.amdhsa_reserve_vcc 1
		.amdhsa_float_round_mode_32 0
		.amdhsa_float_round_mode_16_64 0
		.amdhsa_float_denorm_mode_32 3
		.amdhsa_float_denorm_mode_16_64 3
		.amdhsa_fp16_overflow 0
		.amdhsa_memory_ordered 1
		.amdhsa_forward_progress 1
		.amdhsa_inst_pref_size 32
		.amdhsa_round_robin_scheduling 0
		.amdhsa_exception_fp_ieee_invalid_op 0
		.amdhsa_exception_fp_denorm_src 0
		.amdhsa_exception_fp_ieee_div_zero 0
		.amdhsa_exception_fp_ieee_overflow 0
		.amdhsa_exception_fp_ieee_underflow 0
		.amdhsa_exception_fp_ieee_inexact 0
		.amdhsa_exception_int_div_zero 0
	.end_amdhsa_kernel
	.section	.text._ZL30rocblas_trsm_small_left_deviceILi8ELi8ELb1E19rocblas_complex_numIfES1_PKS1_PS1_Ev13rocblas_fill_18rocblas_operation_17rocblas_diagonal_iiT3_T4_lilT5_lili,"axG",@progbits,_ZL30rocblas_trsm_small_left_deviceILi8ELi8ELb1E19rocblas_complex_numIfES1_PKS1_PS1_Ev13rocblas_fill_18rocblas_operation_17rocblas_diagonal_iiT3_T4_lilT5_lili,comdat
.Lfunc_end141:
	.size	_ZL30rocblas_trsm_small_left_deviceILi8ELi8ELb1E19rocblas_complex_numIfES1_PKS1_PS1_Ev13rocblas_fill_18rocblas_operation_17rocblas_diagonal_iiT3_T4_lilT5_lili, .Lfunc_end141-_ZL30rocblas_trsm_small_left_deviceILi8ELi8ELb1E19rocblas_complex_numIfES1_PKS1_PS1_Ev13rocblas_fill_18rocblas_operation_17rocblas_diagonal_iiT3_T4_lilT5_lili
                                        ; -- End function
	.set _ZL30rocblas_trsm_small_left_deviceILi8ELi8ELb1E19rocblas_complex_numIfES1_PKS1_PS1_Ev13rocblas_fill_18rocblas_operation_17rocblas_diagonal_iiT3_T4_lilT5_lili.num_vgpr, 38
	.set _ZL30rocblas_trsm_small_left_deviceILi8ELi8ELb1E19rocblas_complex_numIfES1_PKS1_PS1_Ev13rocblas_fill_18rocblas_operation_17rocblas_diagonal_iiT3_T4_lilT5_lili.num_agpr, 0
	.set _ZL30rocblas_trsm_small_left_deviceILi8ELi8ELb1E19rocblas_complex_numIfES1_PKS1_PS1_Ev13rocblas_fill_18rocblas_operation_17rocblas_diagonal_iiT3_T4_lilT5_lili.numbered_sgpr, 57
	.set _ZL30rocblas_trsm_small_left_deviceILi8ELi8ELb1E19rocblas_complex_numIfES1_PKS1_PS1_Ev13rocblas_fill_18rocblas_operation_17rocblas_diagonal_iiT3_T4_lilT5_lili.num_named_barrier, 0
	.set _ZL30rocblas_trsm_small_left_deviceILi8ELi8ELb1E19rocblas_complex_numIfES1_PKS1_PS1_Ev13rocblas_fill_18rocblas_operation_17rocblas_diagonal_iiT3_T4_lilT5_lili.private_seg_size, 0
	.set _ZL30rocblas_trsm_small_left_deviceILi8ELi8ELb1E19rocblas_complex_numIfES1_PKS1_PS1_Ev13rocblas_fill_18rocblas_operation_17rocblas_diagonal_iiT3_T4_lilT5_lili.uses_vcc, 1
	.set _ZL30rocblas_trsm_small_left_deviceILi8ELi8ELb1E19rocblas_complex_numIfES1_PKS1_PS1_Ev13rocblas_fill_18rocblas_operation_17rocblas_diagonal_iiT3_T4_lilT5_lili.uses_flat_scratch, 0
	.set _ZL30rocblas_trsm_small_left_deviceILi8ELi8ELb1E19rocblas_complex_numIfES1_PKS1_PS1_Ev13rocblas_fill_18rocblas_operation_17rocblas_diagonal_iiT3_T4_lilT5_lili.has_dyn_sized_stack, 0
	.set _ZL30rocblas_trsm_small_left_deviceILi8ELi8ELb1E19rocblas_complex_numIfES1_PKS1_PS1_Ev13rocblas_fill_18rocblas_operation_17rocblas_diagonal_iiT3_T4_lilT5_lili.has_recursion, 0
	.set _ZL30rocblas_trsm_small_left_deviceILi8ELi8ELb1E19rocblas_complex_numIfES1_PKS1_PS1_Ev13rocblas_fill_18rocblas_operation_17rocblas_diagonal_iiT3_T4_lilT5_lili.has_indirect_call, 0
	.section	.AMDGPU.csdata,"",@progbits
; Kernel info:
; codeLenInByte = 4004
; TotalNumSgprs: 59
; NumVgprs: 38
; ScratchSize: 0
; MemoryBound: 0
; FloatMode: 240
; IeeeMode: 1
; LDSByteSize: 1024 bytes/workgroup (compile time only)
; SGPRBlocks: 0
; VGPRBlocks: 2
; NumSGPRsForWavesPerEU: 59
; NumVGPRsForWavesPerEU: 38
; NamedBarCnt: 0
; Occupancy: 16
; WaveLimiterHint : 0
; COMPUTE_PGM_RSRC2:SCRATCH_EN: 0
; COMPUTE_PGM_RSRC2:USER_SGPR: 4
; COMPUTE_PGM_RSRC2:TRAP_HANDLER: 0
; COMPUTE_PGM_RSRC2:TGID_X_EN: 1
; COMPUTE_PGM_RSRC2:TGID_Y_EN: 0
; COMPUTE_PGM_RSRC2:TGID_Z_EN: 1
; COMPUTE_PGM_RSRC2:TIDIG_COMP_CNT: 2
	.section	.text._ZL31rocblas_trsm_small_right_deviceI19rocblas_complex_numIfES1_PKS1_PS1_Li8EEv13rocblas_fill_18rocblas_operation_17rocblas_diagonal_iiT0_T1_lilT2_lili,"axG",@progbits,_ZL31rocblas_trsm_small_right_deviceI19rocblas_complex_numIfES1_PKS1_PS1_Li8EEv13rocblas_fill_18rocblas_operation_17rocblas_diagonal_iiT0_T1_lilT2_lili,comdat
	.globl	_ZL31rocblas_trsm_small_right_deviceI19rocblas_complex_numIfES1_PKS1_PS1_Li8EEv13rocblas_fill_18rocblas_operation_17rocblas_diagonal_iiT0_T1_lilT2_lili ; -- Begin function _ZL31rocblas_trsm_small_right_deviceI19rocblas_complex_numIfES1_PKS1_PS1_Li8EEv13rocblas_fill_18rocblas_operation_17rocblas_diagonal_iiT0_T1_lilT2_lili
	.p2align	8
	.type	_ZL31rocblas_trsm_small_right_deviceI19rocblas_complex_numIfES1_PKS1_PS1_Li8EEv13rocblas_fill_18rocblas_operation_17rocblas_diagonal_iiT0_T1_lilT2_lili,@function
_ZL31rocblas_trsm_small_right_deviceI19rocblas_complex_numIfES1_PKS1_PS1_Li8EEv13rocblas_fill_18rocblas_operation_17rocblas_diagonal_iiT0_T1_lilT2_lili: ; @_ZL31rocblas_trsm_small_right_deviceI19rocblas_complex_numIfES1_PKS1_PS1_Li8EEv13rocblas_fill_18rocblas_operation_17rocblas_diagonal_iiT0_T1_lilT2_lili
; %bb.0:
	s_load_b32 s33, s[0:1], 0x60
	s_bfe_u32 s2, ttmp6, 0x40014
	s_lshr_b32 s4, ttmp7, 16
	s_add_co_i32 s2, s2, 1
	s_bfe_u32 s5, ttmp6, 0x40008
	s_mul_i32 s2, s4, s2
	s_getreg_b32 s3, hwreg(HW_REG_IB_STS2, 6, 4)
	s_add_co_i32 s5, s5, s2
	s_cmp_eq_u32 s3, 0
	s_mov_b32 s19, 0
	s_cselect_b32 s2, s4, s5
	s_wait_kmcnt 0x0
	s_cmp_ge_u32 s2, s33
	s_cbranch_scc1 .LBB142_156
; %bb.1:
	s_clause 0x7
	s_load_b96 s[20:22], s[0:1], 0x48
	s_load_b32 s26, s[0:1], 0x30
	s_load_b128 s[12:15], s[0:1], 0x0
	s_load_b96 s[16:18], s[0:1], 0x10
	s_load_b32 s23, s[0:1], 0x68
	s_load_b128 s[8:11], s[0:1], 0x20
	s_load_b128 s[4:7], s[0:1], 0x38
	s_load_b64 s[24:25], s[0:1], 0x58
	v_dual_mov_b32 v7, 0 :: v_dual_lshlrev_b32 v4, 3, v0
	v_lshlrev_b32_e32 v1, 6, v0
	v_mov_b64_e32 v[14:15], 0x3f800000
	v_lshlrev_b32_e32 v6, 3, v0
	s_delay_alu instid0(VALU_DEP_4) | instskip(NEXT) | instid1(VALU_DEP_4)
	v_or_b32_e32 v24, 0x200, v4
	v_dual_mov_b32 v5, v7 :: v_dual_add_nc_u32 v26, v4, v1
	s_wait_kmcnt 0x0
	s_ashr_i32 s29, s22, 31
	s_mov_b32 s28, s22
	s_ashr_i32 s27, s26, 31
	s_cmp_eq_u64 s[28:29], 1
	s_mov_b32 s22, s17
	s_cselect_b32 s34, -1, 0
	s_lshl_b64 s[0:1], s[20:21], 3
	s_cmp_lg_u32 s12, 0x7a
	s_cselect_b32 s35, -1, 0
	s_cmp_lg_u32 s13, 0x71
	s_cselect_b32 s36, -1, 0
	s_bfe_u32 s20, ttmp6, 0x4000c
	s_min_i32 s37, s16, 8
	s_add_co_i32 s20, s20, 1
	s_and_b32 s21, ttmp6, 15
	s_mul_i32 s20, ttmp9, s20
	s_add_co_i32 s23, s23, -1
	s_add_co_i32 s38, s37, -1
	s_add_co_i32 s21, s21, s20
	s_cmp_eq_u32 s3, 0
	s_mov_b32 s20, s17
	s_cselect_b32 s30, ttmp9, s21
	s_mov_b32 s21, s18
	s_lshl_b32 s3, s30, 3
	s_delay_alu instid0(SALU_CYCLE_1)
	s_sub_co_i32 s3, s15, s3
	s_cmp_ge_u32 s30, s23
	s_mov_b32 s23, s17
	s_cselect_b32 s3, s3, 8
	s_ashr_i32 s31, s30, 31
	v_cmp_gt_i32_e32 vcc_lo, s3, v0
	s_lshl_b64 s[30:31], s[30:31], 6
	s_cmp_eq_u32 s14, 0x84
	s_mov_b32 s14, s18
	s_cselect_b32 s39, -1, 0
	s_cmp_gt_i32 s16, 0
	s_mov_b32 s15, s18
	s_cselect_b32 s43, -1, 0
	s_cmp_lg_u32 s13, 0x6f
	s_cselect_b32 s13, -1, 0
	s_cmp_lg_u32 s12, 0x79
	s_mov_b32 s12, s18
	s_cselect_b32 s3, -1, 0
	s_or_b32 s40, s35, s13
	s_or_b32 s41, s3, s13
	s_cmp_gt_i32 s16, 3
	v_cndmask_b32_e64 v25, 0, 1, s3
	s_cselect_b32 s42, -1, 0
	s_and_b32 s43, vcc_lo, s43
	s_cmp_gt_u32 s16, 1
	s_mov_b32 s13, s17
	s_cselect_b32 s3, -1, 0
	s_and_b32 s17, s16, 0x7ffffffe
	s_and_b32 s44, s3, s34
	s_cmp_lg_u32 s16, s17
	s_add_nc_u64 s[34:35], s[6:7], s[0:1]
	s_cselect_b32 s45, -1, 0
	s_lshl_b64 s[10:11], s[10:11], 3
	s_add_nc_u64 s[0:1], s[30:31], s[0:1]
	s_add_nc_u64 s[8:9], s[8:9], s[10:11]
	;; [unrolled: 1-line block ×3, first 2 shown]
	v_add_nc_u64_e32 v[2:3], s[8:9], v[4:5]
	v_add_nc_u64_e32 v[8:9], s[6:7], v[4:5]
	s_lshl_b32 s3, s37, 6
	v_cmp_gt_i32_e64 s0, s37, v0
	s_mul_i32 s1, s37, 0x48
	s_lshl_b32 s48, s37, 3
	s_add_nc_u64 s[6:7], s[34:35], s[30:31]
	v_add_nc_u64_e32 v[10:11], 4, v[2:3]
	v_or_b32_e32 v2, s3, v4
	v_add_nc_u64_e32 v[12:13], 4, v[8:9]
	s_lshl_b64 s[4:5], s[4:5], 3
	s_lshl_b64 s[8:9], s[26:27], 3
	;; [unrolled: 1-line block ×3, first 2 shown]
	v_add_nc_u32_e32 v5, 0x1c0, v2
	s_lshl_b64 s[26:27], s[24:25], 3
	s_sub_co_i32 s46, s3, 64
	s_add_co_i32 s47, s1, 0xfffffef8
	s_add_co_i32 s48, s48, -8
	s_branch .LBB142_3
.LBB142_2:                              ;   in Loop: Header=BB142_3 Depth=1
	s_or_b32 exec_lo, exec_lo, s3
	s_add_co_i32 s2, s2, 0x10000
	s_delay_alu instid0(SALU_CYCLE_1)
	s_cmp_lt_u32 s2, s33
	s_cbranch_scc0 .LBB142_156
.LBB142_3:                              ; =>This Loop Header: Depth=1
                                        ;     Child Loop BB142_6 Depth 2
                                        ;     Child Loop BB142_15 Depth 2
	;; [unrolled: 1-line block ×4, first 2 shown]
                                        ;       Child Loop BB142_26 Depth 3
                                        ;     Child Loop BB142_48 Depth 2
                                        ;       Child Loop BB142_49 Depth 3
                                        ;     Child Loop BB142_57 Depth 2
                                        ;       Child Loop BB142_58 Depth 3
                                        ;     Child Loop BB142_81 Depth 2
                                        ;       Child Loop BB142_82 Depth 3
                                        ;     Child Loop BB142_90 Depth 2
                                        ;       Child Loop BB142_91 Depth 3
                                        ;     Child Loop BB142_114 Depth 2
                                        ;       Child Loop BB142_115 Depth 3
                                        ;     Child Loop BB142_124 Depth 2
                                        ;       Child Loop BB142_125 Depth 3
                                        ;     Child Loop BB142_147 Depth 2
                                        ;       Child Loop BB142_148 Depth 3
                                        ;     Child Loop BB142_155 Depth 2
	s_mov_b32 s3, s19
	s_and_saveexec_b32 s18, s0
	s_cbranch_execz .LBB142_12
; %bb.4:                                ;   in Loop: Header=BB142_3 Depth=1
	v_mad_nc_u64_u32 v[0:1], s4, s2, v[10:11]
	v_mov_b32_e32 v16, v4
	s_mov_b32 s28, s37
	s_delay_alu instid0(VALU_DEP_2)
	v_mad_u32 v1, s5, s2, v1
	s_branch .LBB142_6
.LBB142_5:                              ;   in Loop: Header=BB142_6 Depth=2
	global_load_b32 v2, v[0:1], off offset:-4
	s_wait_xcnt 0x0
	v_add_nc_u64_e32 v[0:1], s[8:9], v[0:1]
	s_add_co_i32 s28, s28, -1
	s_delay_alu instid0(SALU_CYCLE_1)
	s_cmp_eq_u32 s28, 0
	s_wait_loadcnt 0x0
	ds_store_b64 v16, v[2:3]
	v_add_nc_u32_e32 v16, 64, v16
	s_cbranch_scc1 .LBB142_10
.LBB142_6:                              ;   Parent Loop BB142_3 Depth=1
                                        ; =>  This Inner Loop Header: Depth=2
	s_and_b32 vcc_lo, exec_lo, s36
	s_mov_b32 s29, -1
                                        ; implicit-def: $vgpr3
	s_cbranch_vccz .LBB142_8
; %bb.7:                                ;   in Loop: Header=BB142_6 Depth=2
	global_load_b32 v3, v[0:1], off
	s_mov_b32 s29, 0
.LBB142_8:                              ;   in Loop: Header=BB142_6 Depth=2
	s_delay_alu instid0(SALU_CYCLE_1)
	s_and_not1_b32 vcc_lo, exec_lo, s29
	s_cbranch_vccnz .LBB142_5
; %bb.9:                                ;   in Loop: Header=BB142_6 Depth=2
	global_load_b32 v2, v[0:1], off
	s_wait_loadcnt 0x0
	v_xor_b32_e32 v3, 0x80000000, v2
	s_branch .LBB142_5
.LBB142_10:                             ;   in Loop: Header=BB142_3 Depth=1
	s_and_b32 vcc_lo, exec_lo, s39
	s_cbranch_vccz .LBB142_12
; %bb.11:                               ;   in Loop: Header=BB142_3 Depth=1
	ds_store_b64 v26, v[14:15]
.LBB142_12:                             ;   in Loop: Header=BB142_3 Depth=1
	s_or_b32 exec_lo, exec_lo, s18
	s_mul_u64 s[28:29], s[26:27], s[2:3]
	s_and_saveexec_b32 s49, s43
	s_cbranch_execz .LBB142_20
; %bb.13:                               ;   in Loop: Header=BB142_3 Depth=1
	s_and_not1_b32 vcc_lo, exec_lo, s44
	s_cbranch_vccnz .LBB142_17
; %bb.14:                               ;   in Loop: Header=BB142_3 Depth=1
	s_mul_u64 s[30:31], s[24:25], s[2:3]
	s_mov_b32 s18, 0
	s_lshl_b64 s[30:31], s[30:31], 3
	s_mov_b32 s3, s17
	s_add_nc_u64 s[30:31], s[6:7], s[30:31]
	s_delay_alu instid0(SALU_CYCLE_1)
	v_add_nc_u64_e32 v[0:1], s[30:31], v[6:7]
	s_mov_b32 s30, 1
.LBB142_15:                             ;   Parent Loop BB142_3 Depth=1
                                        ; =>  This Inner Loop Header: Depth=2
	s_mov_b32 s31, s19
	s_delay_alu instid0(VALU_DEP_1)
	v_lshl_add_u64 v[2:3], s[18:19], 3, v[0:1]
	v_lshl_add_u64 v[16:17], s[30:31], 3, v[0:1]
	v_lshl_add_u32 v27, s18, 6, v24
	v_lshl_add_u32 v28, s30, 6, v24
	s_add_co_i32 s3, s3, -2
	s_clause 0x1
	global_load_b64 v[18:19], v[2:3], off
	global_load_b64 v[20:21], v[16:17], off
	s_wait_xcnt 0x1
	v_mov_b64_e32 v[2:3], s[14:15]
	s_wait_xcnt 0x0
	v_mov_b64_e32 v[16:17], s[22:23]
	s_add_co_i32 s18, s18, 2
	s_add_co_i32 s30, s30, 2
	s_mov_b32 s34, s17
	s_mov_b32 s31, s45
	s_cmp_lg_u32 s3, 0
	s_wait_loadcnt 0x0
	v_dual_mov_b32 v22, v18 :: v_dual_mov_b32 v23, v20
	v_mov_b32_e32 v20, v19
	s_delay_alu instid0(VALU_DEP_1) | instskip(SKIP_1) | instid1(VALU_DEP_2)
	v_pk_mul_f32 v[18:19], v[2:3], v[20:21]
	v_pk_mul_f32 v[20:21], v[16:17], v[20:21]
	v_pk_fma_f32 v[16:17], v[16:17], v[22:23], v[18:19] neg_lo:[0,0,1] neg_hi:[0,0,1]
	s_delay_alu instid0(VALU_DEP_2)
	v_pk_fma_f32 v[2:3], v[2:3], v[22:23], v[20:21]
	ds_store_b32 v27, v16
	ds_store_b32 v28, v17
	ds_store_b32 v27, v2 offset:4
	ds_store_b32 v28, v3 offset:4
	s_cbranch_scc1 .LBB142_15
; %bb.16:                               ;   in Loop: Header=BB142_3 Depth=1
	s_and_b32 vcc_lo, exec_lo, s31
	s_cbranch_vccnz .LBB142_18
	s_branch .LBB142_20
.LBB142_17:                             ;   in Loop: Header=BB142_3 Depth=1
	s_mov_b32 s34, 0
	s_cbranch_execz .LBB142_20
.LBB142_18:                             ;   in Loop: Header=BB142_3 Depth=1
	s_mov_b32 s35, s19
	v_lshl_add_u32 v2, s34, 6, v24
	s_mul_u64 s[30:31], s[10:11], s[34:35]
	s_sub_co_i32 s3, s16, s34
	s_add_nc_u64 s[30:31], s[30:31], s[28:29]
	s_delay_alu instid0(SALU_CYCLE_1)
	v_add_nc_u64_e32 v[0:1], s[30:31], v[12:13]
.LBB142_19:                             ;   Parent Loop BB142_3 Depth=1
                                        ; =>  This Inner Loop Header: Depth=2
	global_load_b64 v[16:17], v[0:1], off offset:-4
	v_mov_b64_e32 v[18:19], s[12:13]
	v_mov_b64_e32 v[20:21], s[20:21]
	s_wait_xcnt 0x0
	v_add_nc_u64_e32 v[0:1], s[10:11], v[0:1]
	s_add_co_i32 s3, s3, -1
	s_delay_alu instid0(SALU_CYCLE_1) | instskip(SKIP_2) | instid1(VALU_DEP_1)
	s_cmp_lg_u32 s3, 0
	s_wait_loadcnt 0x0
	v_pk_mul_f32 v[18:19], v[18:19], v[16:17] op_sel:[0,1]
	v_pk_fma_f32 v[22:23], v[20:21], v[16:17], v[18:19] op_sel_hi:[1,0,1]
	v_pk_fma_f32 v[16:17], v[20:21], v[16:17], v[18:19] neg_lo:[0,0,1] neg_hi:[0,0,1]
	s_delay_alu instid0(VALU_DEP_2)
	v_mov_b32_e32 v17, v23
	ds_store_b64 v2, v[16:17]
	v_add_nc_u32_e32 v2, 64, v2
	s_cbranch_scc1 .LBB142_19
.LBB142_20:                             ;   in Loop: Header=BB142_3 Depth=1
	s_or_b32 exec_lo, exec_lo, s49
	s_delay_alu instid0(SALU_CYCLE_1)
	s_and_b32 vcc_lo, exec_lo, s41
	s_mov_b32 s3, -1
	s_wait_dscnt 0x0
	; wave barrier
	s_cbranch_vccz .LBB142_121
; %bb.21:                               ;   in Loop: Header=BB142_3 Depth=1
	s_and_b32 vcc_lo, exec_lo, s40
	s_cbranch_vccz .LBB142_88
; %bb.22:                               ;   in Loop: Header=BB142_3 Depth=1
	v_cmp_ne_u32_e32 vcc_lo, 1, v25
	s_cbranch_vccnz .LBB142_55
; %bb.23:                               ;   in Loop: Header=BB142_3 Depth=1
	s_and_not1_b32 vcc_lo, exec_lo, s42
	s_mov_b32 s30, 0
	s_cbranch_vccnz .LBB142_45
; %bb.24:                               ;   in Loop: Header=BB142_3 Depth=1
	s_mov_b32 s3, 0
	s_mov_b32 s18, 0
.LBB142_25:                             ;   Parent Loop BB142_3 Depth=1
                                        ; =>  This Loop Header: Depth=2
                                        ;       Child Loop BB142_26 Depth 3
	s_delay_alu instid0(SALU_CYCLE_1) | instskip(SKIP_3) | instid1(SALU_CYCLE_1)
	s_lshl_b32 s34, s18, 6
	s_or_b32 s31, s18, 1
	s_or_b32 s49, s18, 2
	;; [unrolled: 1-line block ×3, first 2 shown]
	v_dual_add_nc_u32 v30, s34, v24 :: v_dual_add_nc_u32 v27, s30, v24
	v_lshl_add_u32 v29, s31, 6, v24
	v_lshl_add_u32 v28, s49, 6, v24
	ds_load_b64 v[0:1], v30
	ds_load_b64 v[22:23], v29
	;; [unrolled: 1-line block ×4, first 2 shown]
	v_mov_b32_e32 v2, v24
	s_cmp_eq_u32 s18, 0
	s_mov_b32 s30, s3
	s_mov_b32 s35, s18
	s_cbranch_scc1 .LBB142_27
.LBB142_26:                             ;   Parent Loop BB142_3 Depth=1
                                        ;     Parent Loop BB142_25 Depth=2
                                        ; =>    This Inner Loop Header: Depth=3
	v_mov_b32_e32 v3, s30
	s_add_co_i32 s35, s35, -1
	s_add_co_i32 s30, s30, 64
	s_cmp_eq_u32 s35, 0
	ds_load_b64 v[20:21], v2
	ds_load_b128 v[32:35], v3
	ds_load_b128 v[36:39], v3 offset:16
	s_wait_dscnt 0x1
	v_dual_mul_f32 v3, v33, v21 :: v_dual_add_nc_u32 v2, 64, v2
	v_dual_mul_f32 v31, v32, v21 :: v_dual_mul_f32 v44, v35, v21
	v_mul_f32_e32 v45, v35, v20
	s_wait_dscnt 0x0
	v_pk_mul_f32 v[40:41], v[36:37], v[20:21] op_sel:[0,1]
	v_pk_mul_f32 v[42:43], v[38:39], v[20:21] op_sel:[0,1]
	v_dual_fma_f32 v3, v32, v20, -v3 :: v_dual_fma_f32 v44, v34, v20, -v44
	v_dual_fmac_f32 v31, v33, v20 :: v_dual_fmac_f32 v45, v34, v21
	s_delay_alu instid0(VALU_DEP_4) | instskip(NEXT) | instid1(VALU_DEP_4)
	v_pk_fma_f32 v[32:33], v[36:37], v[20:21], v[40:41] op_sel:[0,0,1] op_sel_hi:[1,0,0]
	v_pk_fma_f32 v[34:35], v[38:39], v[20:21], v[42:43] op_sel:[0,0,1] op_sel_hi:[1,0,0]
	v_pk_fma_f32 v[36:37], v[36:37], v[20:21], v[40:41] op_sel:[0,0,1] op_sel_hi:[1,1,0] neg_lo:[0,0,1] neg_hi:[0,0,1]
	v_pk_fma_f32 v[20:21], v[38:39], v[20:21], v[42:43] op_sel:[0,0,1] op_sel_hi:[1,1,0] neg_lo:[0,0,1] neg_hi:[0,0,1]
	s_delay_alu instid0(VALU_DEP_4) | instskip(NEXT) | instid1(VALU_DEP_4)
	v_dual_sub_f32 v0, v0, v3 :: v_dual_mov_b32 v37, v33
	v_dual_mov_b32 v21, v35 :: v_dual_sub_f32 v1, v1, v31
	v_dual_sub_f32 v22, v22, v44 :: v_dual_sub_f32 v23, v23, v45
	s_delay_alu instid0(VALU_DEP_3) | instskip(NEXT) | instid1(VALU_DEP_3)
	v_pk_add_f32 v[18:19], v[18:19], v[36:37] neg_lo:[0,1] neg_hi:[0,1]
	v_pk_add_f32 v[16:17], v[16:17], v[20:21] neg_lo:[0,1] neg_hi:[0,1]
	s_cbranch_scc0 .LBB142_26
.LBB142_27:                             ;   in Loop: Header=BB142_25 Depth=2
	s_lshl_b32 s30, s18, 3
	s_lshl_b32 s35, s31, 3
	s_add_co_i32 s34, s30, s34
	s_lshl_b32 s31, s49, 3
	v_mov_b32_e32 v2, s34
	s_mov_b32 s49, -1
	ds_load_b64 v[2:3], v2
	s_wait_dscnt 0x0
	v_and_b32_e32 v20, 0x7fffffff, v2
	v_and_b32_e32 v21, 0x7fffffff, v3
	s_delay_alu instid0(VALU_DEP_1)
	v_cmp_ngt_f32_e32 vcc_lo, v20, v21
                                        ; implicit-def: $vgpr21
	s_cbranch_vccz .LBB142_29
; %bb.28:                               ;   in Loop: Header=BB142_25 Depth=2
	v_div_scale_f32 v20, null, v3, v3, v2
	v_div_scale_f32 v32, vcc_lo, v2, v3, v2
	s_mov_b32 s49, 0
	v_rcp_f32_e32 v21, v20
	v_nop
	v_xor_b32_e32 v20, 0x80000000, v20
	s_delay_alu instid0(TRANS32_DEP_1) | instid1(VALU_DEP_1)
	v_fma_f32 v31, v20, v21, 1.0
	s_delay_alu instid0(VALU_DEP_1) | instskip(NEXT) | instid1(VALU_DEP_1)
	v_fmac_f32_e32 v21, v31, v21
	v_mul_f32_e32 v31, v32, v21
	s_delay_alu instid0(VALU_DEP_1) | instskip(NEXT) | instid1(VALU_DEP_1)
	v_fma_f32 v33, v20, v31, v32
	v_fmac_f32_e32 v31, v33, v21
	s_delay_alu instid0(VALU_DEP_1) | instskip(NEXT) | instid1(VALU_DEP_1)
	v_fmac_f32_e32 v32, v20, v31
	v_div_fmas_f32 v20, v32, v21, v31
	s_delay_alu instid0(VALU_DEP_1) | instskip(NEXT) | instid1(VALU_DEP_1)
	v_div_fixup_f32 v20, v20, v3, v2
	v_fma_f32 v21, v2, v20, v3
	s_delay_alu instid0(VALU_DEP_1) | instskip(SKIP_1) | instid1(VALU_DEP_2)
	v_div_scale_f32 v31, null, v21, v21, 1.0
	v_div_scale_f32 v34, vcc_lo, 1.0, v21, 1.0
	v_rcp_f32_e32 v32, v31
	v_nop
	v_xor_b32_e32 v31, 0x80000000, v31
	s_delay_alu instid0(TRANS32_DEP_1) | instid1(VALU_DEP_1)
	v_fma_f32 v33, v31, v32, 1.0
	s_delay_alu instid0(VALU_DEP_1) | instskip(NEXT) | instid1(VALU_DEP_1)
	v_fmac_f32_e32 v32, v33, v32
	v_mul_f32_e32 v33, v34, v32
	s_delay_alu instid0(VALU_DEP_1) | instskip(NEXT) | instid1(VALU_DEP_1)
	v_fma_f32 v35, v31, v33, v34
	v_fmac_f32_e32 v33, v35, v32
	s_delay_alu instid0(VALU_DEP_1) | instskip(NEXT) | instid1(VALU_DEP_1)
	v_fmac_f32_e32 v34, v31, v33
	v_div_fmas_f32 v31, v34, v32, v33
	v_fma_f32 v32, v0, v20, v1
	s_delay_alu instid0(VALU_DEP_2) | instskip(NEXT) | instid1(VALU_DEP_1)
	v_div_fixup_f32 v21, v31, v21, 1.0
	v_dual_fma_f32 v31, v1, v20, -v0 :: v_dual_mul_f32 v20, v32, v21
	s_delay_alu instid0(VALU_DEP_1)
	v_mul_f32_e32 v21, v31, v21
.LBB142_29:                             ;   in Loop: Header=BB142_25 Depth=2
	s_and_not1_b32 vcc_lo, exec_lo, s49
	s_cbranch_vccnz .LBB142_31
; %bb.30:                               ;   in Loop: Header=BB142_25 Depth=2
	v_div_scale_f32 v20, null, v2, v2, v3
	v_div_scale_f32 v32, vcc_lo, v3, v2, v3
	s_delay_alu instid0(VALU_DEP_2)
	v_rcp_f32_e32 v21, v20
	v_nop
	v_xor_b32_e32 v20, 0x80000000, v20
	s_delay_alu instid0(TRANS32_DEP_1) | instid1(VALU_DEP_1)
	v_fma_f32 v31, v20, v21, 1.0
	s_delay_alu instid0(VALU_DEP_1) | instskip(NEXT) | instid1(VALU_DEP_1)
	v_fmac_f32_e32 v21, v31, v21
	v_mul_f32_e32 v31, v32, v21
	s_delay_alu instid0(VALU_DEP_1) | instskip(NEXT) | instid1(VALU_DEP_1)
	v_fma_f32 v33, v20, v31, v32
	v_fmac_f32_e32 v31, v33, v21
	s_delay_alu instid0(VALU_DEP_1) | instskip(NEXT) | instid1(VALU_DEP_1)
	v_fmac_f32_e32 v32, v20, v31
	v_div_fmas_f32 v20, v32, v21, v31
	s_delay_alu instid0(VALU_DEP_1) | instskip(NEXT) | instid1(VALU_DEP_1)
	v_div_fixup_f32 v20, v20, v2, v3
	v_fmac_f32_e32 v2, v3, v20
	s_delay_alu instid0(VALU_DEP_1) | instskip(SKIP_1) | instid1(VALU_DEP_2)
	v_div_scale_f32 v3, null, v2, v2, 1.0
	v_div_scale_f32 v32, vcc_lo, 1.0, v2, 1.0
	v_rcp_f32_e32 v21, v3
	v_nop
	v_xor_b32_e32 v3, 0x80000000, v3
	s_delay_alu instid0(TRANS32_DEP_1) | instid1(VALU_DEP_1)
	v_fma_f32 v31, v3, v21, 1.0
	s_delay_alu instid0(VALU_DEP_1) | instskip(NEXT) | instid1(VALU_DEP_1)
	v_fmac_f32_e32 v21, v31, v21
	v_mul_f32_e32 v31, v32, v21
	s_delay_alu instid0(VALU_DEP_1) | instskip(NEXT) | instid1(VALU_DEP_1)
	v_fma_f32 v33, v3, v31, v32
	v_fmac_f32_e32 v31, v33, v21
	s_delay_alu instid0(VALU_DEP_1) | instskip(NEXT) | instid1(VALU_DEP_1)
	v_fmac_f32_e32 v32, v3, v31
	v_div_fmas_f32 v3, v32, v21, v31
	v_dual_fma_f32 v21, v1, v20, v0 :: v_dual_fma_f32 v0, -v0, v20, v1
	s_delay_alu instid0(VALU_DEP_2) | instskip(NEXT) | instid1(VALU_DEP_1)
	v_div_fixup_f32 v2, v3, v2, 1.0
	v_dual_mul_f32 v20, v21, v2 :: v_dual_mul_f32 v21, v0, v2
.LBB142_31:                             ;   in Loop: Header=BB142_25 Depth=2
	s_sub_co_i32 s34, s34, s30
	s_mov_b32 s49, -1
	s_add_co_i32 s34, s34, s30
	ds_store_b64 v30, v[20:21]
	v_mov_b32_e32 v0, s34
	ds_load_2addr_b64 v[0:3], v0 offset0:1 offset1:9
	s_wait_dscnt 0x0
	v_dual_mul_f32 v31, v21, v1 :: v_dual_mul_f32 v1, v20, v1
	v_and_b32_e32 v32, 0x7fffffff, v2
	v_and_b32_e32 v33, 0x7fffffff, v3
	s_delay_alu instid0(VALU_DEP_3) | instskip(NEXT) | instid1(VALU_DEP_2)
	v_dual_fma_f32 v31, v20, v0, -v31 :: v_dual_fmac_f32 v1, v21, v0
	v_cmp_ngt_f32_e32 vcc_lo, v32, v33
	s_delay_alu instid0(VALU_DEP_2)
	v_dual_sub_f32 v0, v22, v31 :: v_dual_sub_f32 v1, v23, v1
                                        ; implicit-def: $vgpr23
	s_cbranch_vccz .LBB142_33
; %bb.32:                               ;   in Loop: Header=BB142_25 Depth=2
	v_div_scale_f32 v22, null, v3, v3, v2
	v_div_scale_f32 v31, vcc_lo, v2, v3, v2
	s_mov_b32 s49, 0
	v_rcp_f32_e32 v23, v22
	v_nop
	v_xor_b32_e32 v22, 0x80000000, v22
	s_delay_alu instid0(TRANS32_DEP_1) | instid1(VALU_DEP_1)
	v_fma_f32 v30, v22, v23, 1.0
	s_delay_alu instid0(VALU_DEP_1) | instskip(NEXT) | instid1(VALU_DEP_1)
	v_fmac_f32_e32 v23, v30, v23
	v_mul_f32_e32 v30, v31, v23
	s_delay_alu instid0(VALU_DEP_1) | instskip(NEXT) | instid1(VALU_DEP_1)
	v_fma_f32 v32, v22, v30, v31
	v_fmac_f32_e32 v30, v32, v23
	s_delay_alu instid0(VALU_DEP_1) | instskip(NEXT) | instid1(VALU_DEP_1)
	v_fmac_f32_e32 v31, v22, v30
	v_div_fmas_f32 v22, v31, v23, v30
	s_delay_alu instid0(VALU_DEP_1) | instskip(NEXT) | instid1(VALU_DEP_1)
	v_div_fixup_f32 v22, v22, v3, v2
	v_fma_f32 v23, v2, v22, v3
	s_delay_alu instid0(VALU_DEP_1) | instskip(SKIP_1) | instid1(VALU_DEP_2)
	v_div_scale_f32 v30, null, v23, v23, 1.0
	v_div_scale_f32 v33, vcc_lo, 1.0, v23, 1.0
	v_rcp_f32_e32 v31, v30
	v_nop
	v_xor_b32_e32 v30, 0x80000000, v30
	s_delay_alu instid0(TRANS32_DEP_1) | instid1(VALU_DEP_1)
	v_fma_f32 v32, v30, v31, 1.0
	s_delay_alu instid0(VALU_DEP_1) | instskip(NEXT) | instid1(VALU_DEP_1)
	v_fmac_f32_e32 v31, v32, v31
	v_mul_f32_e32 v32, v33, v31
	s_delay_alu instid0(VALU_DEP_1) | instskip(NEXT) | instid1(VALU_DEP_1)
	v_fma_f32 v34, v30, v32, v33
	v_fmac_f32_e32 v32, v34, v31
	s_delay_alu instid0(VALU_DEP_1) | instskip(NEXT) | instid1(VALU_DEP_1)
	v_fmac_f32_e32 v33, v30, v32
	v_div_fmas_f32 v30, v33, v31, v32
	v_fma_f32 v31, v22, v0, v1
	s_delay_alu instid0(VALU_DEP_2) | instskip(NEXT) | instid1(VALU_DEP_1)
	v_div_fixup_f32 v23, v30, v23, 1.0
	v_dual_fma_f32 v30, v22, v1, -v0 :: v_dual_mul_f32 v22, v31, v23
	s_delay_alu instid0(VALU_DEP_1)
	v_mul_f32_e32 v23, v30, v23
.LBB142_33:                             ;   in Loop: Header=BB142_25 Depth=2
	s_and_not1_b32 vcc_lo, exec_lo, s49
	s_cbranch_vccnz .LBB142_35
; %bb.34:                               ;   in Loop: Header=BB142_25 Depth=2
	v_div_scale_f32 v22, null, v2, v2, v3
	v_div_scale_f32 v31, vcc_lo, v3, v2, v3
	s_delay_alu instid0(VALU_DEP_2)
	v_rcp_f32_e32 v23, v22
	v_nop
	v_xor_b32_e32 v22, 0x80000000, v22
	s_delay_alu instid0(TRANS32_DEP_1) | instid1(VALU_DEP_1)
	v_fma_f32 v30, v22, v23, 1.0
	s_delay_alu instid0(VALU_DEP_1) | instskip(NEXT) | instid1(VALU_DEP_1)
	v_fmac_f32_e32 v23, v30, v23
	v_mul_f32_e32 v30, v31, v23
	s_delay_alu instid0(VALU_DEP_1) | instskip(NEXT) | instid1(VALU_DEP_1)
	v_fma_f32 v32, v22, v30, v31
	v_fmac_f32_e32 v30, v32, v23
	s_delay_alu instid0(VALU_DEP_1) | instskip(NEXT) | instid1(VALU_DEP_1)
	v_fmac_f32_e32 v31, v22, v30
	v_div_fmas_f32 v22, v31, v23, v30
	s_delay_alu instid0(VALU_DEP_1) | instskip(NEXT) | instid1(VALU_DEP_1)
	v_div_fixup_f32 v22, v22, v2, v3
	v_fmac_f32_e32 v2, v3, v22
	s_delay_alu instid0(VALU_DEP_1) | instskip(SKIP_1) | instid1(VALU_DEP_2)
	v_div_scale_f32 v3, null, v2, v2, 1.0
	v_div_scale_f32 v31, vcc_lo, 1.0, v2, 1.0
	v_rcp_f32_e32 v23, v3
	v_nop
	v_xor_b32_e32 v3, 0x80000000, v3
	s_delay_alu instid0(TRANS32_DEP_1) | instid1(VALU_DEP_1)
	v_fma_f32 v30, v3, v23, 1.0
	s_delay_alu instid0(VALU_DEP_1) | instskip(NEXT) | instid1(VALU_DEP_1)
	v_fmac_f32_e32 v23, v30, v23
	v_mul_f32_e32 v30, v31, v23
	s_delay_alu instid0(VALU_DEP_1) | instskip(NEXT) | instid1(VALU_DEP_1)
	v_fma_f32 v32, v3, v30, v31
	v_fmac_f32_e32 v30, v32, v23
	s_delay_alu instid0(VALU_DEP_1) | instskip(NEXT) | instid1(VALU_DEP_1)
	v_fmac_f32_e32 v31, v3, v30
	v_div_fmas_f32 v3, v31, v23, v30
	v_dual_fma_f32 v23, v22, v1, v0 :: v_dual_fma_f32 v0, -v22, v0, v1
	s_delay_alu instid0(VALU_DEP_2) | instskip(NEXT) | instid1(VALU_DEP_1)
	v_div_fixup_f32 v2, v3, v2, 1.0
	v_dual_mul_f32 v22, v23, v2 :: v_dual_mul_f32 v23, v0, v2
.LBB142_35:                             ;   in Loop: Header=BB142_25 Depth=2
	s_add_co_i32 s49, s34, 0x48
	s_delay_alu instid0(VALU_DEP_1) | instskip(SKIP_3) | instid1(SALU_CYCLE_1)
	v_dual_mov_b32 v32, v21 :: v_dual_mov_b32 v34, v23
	s_sub_co_i32 s35, s49, s35
	s_mov_b32 s50, -1
	s_add_co_i32 s35, s35, s30
	v_dual_mov_b32 v0, s34 :: v_dual_mov_b32 v30, s35
	ds_store_b64 v29, v[22:23]
	ds_load_2addr_b64 v[0:3], v0 offset0:2 offset1:18
	ds_load_b64 v[30:31], v30 offset:16
	s_wait_dscnt 0x1
	v_pk_mul_f32 v[32:33], v[32:33], v[0:1] op_sel_hi:[0,1]
	s_wait_dscnt 0x0
	v_pk_mul_f32 v[34:35], v[34:35], v[30:31] op_sel_hi:[0,1]
	s_delay_alu instid0(VALU_DEP_2) | instskip(SKIP_1) | instid1(VALU_DEP_3)
	v_pk_fma_f32 v[36:37], v[20:21], v[0:1], v[32:33] op_sel:[0,0,1] op_sel_hi:[0,1,0]
	v_pk_fma_f32 v[0:1], v[20:21], v[0:1], v[32:33] op_sel:[0,0,1] op_sel_hi:[1,1,0] neg_lo:[0,0,1] neg_hi:[0,0,1]
	v_pk_fma_f32 v[32:33], v[22:23], v[30:31], v[34:35] op_sel:[0,0,1] op_sel_hi:[0,1,0]
	v_and_b32_e32 v32, 0x7fffffff, v2
	v_and_b32_e32 v36, 0x7fffffff, v3
	v_mov_b32_e32 v1, v37
	s_delay_alu instid0(VALU_DEP_2) | instskip(NEXT) | instid1(VALU_DEP_2)
	v_cmp_ngt_f32_e32 vcc_lo, v32, v36
	v_pk_add_f32 v[0:1], v[18:19], v[0:1] neg_lo:[0,1] neg_hi:[0,1]
	v_pk_fma_f32 v[18:19], v[22:23], v[30:31], v[34:35] op_sel:[0,0,1] op_sel_hi:[1,1,0] neg_lo:[0,0,1] neg_hi:[0,0,1]
	v_mov_b32_e32 v19, v33
	s_delay_alu instid0(VALU_DEP_1)
	v_pk_add_f32 v[0:1], v[0:1], v[18:19] neg_lo:[0,1] neg_hi:[0,1]
                                        ; implicit-def: $vgpr18_vgpr19
	s_cbranch_vccz .LBB142_37
; %bb.36:                               ;   in Loop: Header=BB142_25 Depth=2
	v_div_scale_f32 v18, null, v3, v3, v2
	v_div_scale_f32 v30, vcc_lo, v2, v3, v2
	s_mov_b32 s50, 0
	v_rcp_f32_e32 v19, v18
	v_nop
	v_xor_b32_e32 v18, 0x80000000, v18
	s_delay_alu instid0(TRANS32_DEP_1) | instid1(VALU_DEP_1)
	v_fma_f32 v29, v18, v19, 1.0
	s_delay_alu instid0(VALU_DEP_1) | instskip(NEXT) | instid1(VALU_DEP_1)
	v_fmac_f32_e32 v19, v29, v19
	v_mul_f32_e32 v29, v30, v19
	s_delay_alu instid0(VALU_DEP_1) | instskip(NEXT) | instid1(VALU_DEP_1)
	v_fma_f32 v31, v18, v29, v30
	v_fmac_f32_e32 v29, v31, v19
	s_delay_alu instid0(VALU_DEP_1) | instskip(NEXT) | instid1(VALU_DEP_1)
	v_fmac_f32_e32 v30, v18, v29
	v_div_fmas_f32 v18, v30, v19, v29
	s_delay_alu instid0(VALU_DEP_1) | instskip(NEXT) | instid1(VALU_DEP_1)
	v_div_fixup_f32 v18, v18, v3, v2
	v_fma_f32 v19, v2, v18, v3
	s_delay_alu instid0(VALU_DEP_1) | instskip(SKIP_1) | instid1(VALU_DEP_2)
	v_div_scale_f32 v29, null, v19, v19, 1.0
	v_div_scale_f32 v32, vcc_lo, 1.0, v19, 1.0
	v_rcp_f32_e32 v31, v29
	v_nop
	v_xor_b32_e32 v29, 0x80000000, v29
	s_delay_alu instid0(TRANS32_DEP_1) | instid1(VALU_DEP_1)
	v_fma_f32 v30, v29, v31, 1.0
	s_delay_alu instid0(VALU_DEP_1) | instskip(NEXT) | instid1(VALU_DEP_1)
	v_fmac_f32_e32 v31, v30, v31
	v_mul_f32_e32 v33, v32, v31
	s_delay_alu instid0(VALU_DEP_1) | instskip(NEXT) | instid1(VALU_DEP_1)
	v_fma_f32 v30, v29, v33, v32
	v_dual_fmac_f32 v33, v30, v31 :: v_dual_mov_b32 v30, v1
	s_delay_alu instid0(VALU_DEP_1) | instskip(NEXT) | instid1(VALU_DEP_1)
	v_fmac_f32_e32 v32, v29, v33
	v_div_fmas_f32 v29, v32, v31, v33
	s_delay_alu instid0(VALU_DEP_3) | instskip(NEXT) | instid1(VALU_DEP_2)
	v_pk_fma_f32 v[30:31], v[18:19], v[0:1], v[30:31]
	v_div_fixup_f32 v31, v29, v19, 1.0
	s_delay_alu instid0(VALU_DEP_1) | instskip(NEXT) | instid1(VALU_DEP_1)
	v_dual_fma_f32 v19, v18, v1, -v0 :: v_dual_mov_b32 v18, v31
	v_pk_mul_f32 v[18:19], v[30:31], v[18:19]
.LBB142_37:                             ;   in Loop: Header=BB142_25 Depth=2
	s_and_not1_b32 vcc_lo, exec_lo, s50
	s_cbranch_vccnz .LBB142_39
; %bb.38:                               ;   in Loop: Header=BB142_25 Depth=2
	v_div_scale_f32 v18, null, v2, v2, v3
	v_div_scale_f32 v30, vcc_lo, v3, v2, v3
	s_delay_alu instid0(VALU_DEP_2)
	v_rcp_f32_e32 v19, v18
	v_nop
	v_xor_b32_e32 v18, 0x80000000, v18
	s_delay_alu instid0(TRANS32_DEP_1) | instid1(VALU_DEP_1)
	v_fma_f32 v29, v18, v19, 1.0
	s_delay_alu instid0(VALU_DEP_1) | instskip(NEXT) | instid1(VALU_DEP_1)
	v_fmac_f32_e32 v19, v29, v19
	v_mul_f32_e32 v29, v30, v19
	s_delay_alu instid0(VALU_DEP_1) | instskip(NEXT) | instid1(VALU_DEP_1)
	v_fma_f32 v31, v18, v29, v30
	v_fmac_f32_e32 v29, v31, v19
	s_delay_alu instid0(VALU_DEP_1) | instskip(NEXT) | instid1(VALU_DEP_1)
	v_fmac_f32_e32 v30, v18, v29
	v_div_fmas_f32 v18, v30, v19, v29
	s_delay_alu instid0(VALU_DEP_1) | instskip(NEXT) | instid1(VALU_DEP_1)
	v_div_fixup_f32 v18, v18, v2, v3
	v_fma_f32 v19, v3, v18, v2
	s_delay_alu instid0(VALU_DEP_1) | instskip(SKIP_1) | instid1(VALU_DEP_2)
	v_div_scale_f32 v2, null, v19, v19, 1.0
	v_div_scale_f32 v30, vcc_lo, 1.0, v19, 1.0
	v_rcp_f32_e32 v3, v2
	v_nop
	v_xor_b32_e32 v2, 0x80000000, v2
	s_delay_alu instid0(TRANS32_DEP_1) | instid1(VALU_DEP_1)
	v_fma_f32 v29, v2, v3, 1.0
	s_delay_alu instid0(VALU_DEP_1) | instskip(NEXT) | instid1(VALU_DEP_1)
	v_fmac_f32_e32 v3, v29, v3
	v_mul_f32_e32 v29, v30, v3
	s_delay_alu instid0(VALU_DEP_1) | instskip(NEXT) | instid1(VALU_DEP_1)
	v_fma_f32 v31, v2, v29, v30
	v_fmac_f32_e32 v29, v31, v3
	s_delay_alu instid0(VALU_DEP_1) | instskip(NEXT) | instid1(VALU_DEP_1)
	v_fmac_f32_e32 v30, v2, v29
	v_div_fmas_f32 v29, v30, v3, v29
	v_pk_fma_f32 v[2:3], v[18:19], v[0:1], v[0:1] op_sel:[0,1,0] op_sel_hi:[0,0,1] neg_lo:[1,0,0] neg_hi:[1,0,0]
	v_pk_fma_f32 v[0:1], v[18:19], v[0:1], v[0:1] op_sel:[0,1,0] op_sel_hi:[1,0,1]
	s_delay_alu instid0(VALU_DEP_3) | instskip(NEXT) | instid1(VALU_DEP_3)
	v_div_fixup_f32 v2, v29, v19, 1.0
	v_mov_b32_e32 v1, v3
	s_delay_alu instid0(VALU_DEP_1)
	v_pk_mul_f32 v[18:19], v[0:1], v[2:3] op_sel_hi:[1,0]
.LBB142_39:                             ;   in Loop: Header=BB142_25 Depth=2
	v_dual_mov_b32 v0, s34 :: v_dual_mov_b32 v29, s35
	s_sub_co_i32 s31, s49, s31
	v_mov_b32_e32 v35, v21
	s_add_co_i32 s30, s31, s30
	ds_load_2addr_b64 v[0:3], v0 offset0:3 offset1:27
	ds_load_b64 v[30:31], v29 offset:24
	v_dual_mov_b32 v29, s30 :: v_dual_mov_b32 v34, v21
	v_dual_mov_b32 v21, v20 :: v_dual_mov_b32 v36, v23
	v_mov_b32_e32 v37, v23
	ds_load_b64 v[32:33], v29 offset:96
	s_mov_b32 s30, -1
	ds_store_b64 v28, v[18:19]
	s_wait_dscnt 0x3
	v_pk_mul_f32 v[34:35], v[34:35], v[0:1]
	s_wait_dscnt 0x2
	v_pk_mul_f32 v[36:37], v[36:37], v[30:31]
	v_and_b32_e32 v29, 0x7fffffff, v3
	s_delay_alu instid0(VALU_DEP_3)
	v_pk_fma_f32 v[38:39], v[20:21], v[0:1], v[34:35] op_sel:[0,0,1] op_sel_hi:[1,1,0]
	v_mov_b32_e32 v23, v22
	v_pk_fma_f32 v[0:1], v[20:21], v[0:1], v[34:35] op_sel:[0,0,1] op_sel_hi:[1,1,0] neg_lo:[0,0,1] neg_hi:[0,0,1]
	s_wait_dscnt 0x1
	v_pk_mul_f32 v[34:35], v[18:19], v[32:33] op_sel:[1,1] op_sel_hi:[1,0]
	v_mov_b32_e32 v1, v39
	v_pk_fma_f32 v[20:21], v[22:23], v[30:31], v[36:37] op_sel:[0,0,1] op_sel_hi:[1,1,0]
	v_pk_fma_f32 v[22:23], v[22:23], v[30:31], v[36:37] op_sel:[0,0,1] op_sel_hi:[1,1,0] neg_lo:[0,0,1] neg_hi:[0,0,1]
	s_delay_alu instid0(VALU_DEP_3) | instskip(SKIP_1) | instid1(VALU_DEP_4)
	v_pk_add_f32 v[0:1], v[16:17], v[0:1] neg_lo:[0,1] neg_hi:[0,1]
	v_pk_fma_f32 v[16:17], v[18:19], v[32:33], v[34:35] op_sel_hi:[0,1,1]
	v_mov_b32_e32 v23, v21
	v_and_b32_e32 v16, 0x7fffffff, v2
	v_pk_fma_f32 v[20:21], v[18:19], v[32:33], v[34:35] neg_lo:[0,0,1] neg_hi:[0,0,1]
	s_delay_alu instid0(VALU_DEP_4) | instskip(NEXT) | instid1(VALU_DEP_4)
	v_mov_b32_e32 v21, v17
	v_pk_add_f32 v[0:1], v[0:1], v[22:23] neg_lo:[0,1] neg_hi:[0,1]
	s_delay_alu instid0(VALU_DEP_4) | instskip(NEXT) | instid1(VALU_DEP_2)
	v_cmp_ngt_f32_e32 vcc_lo, v16, v29
                                        ; implicit-def: $vgpr16_vgpr17
	v_pk_add_f32 v[0:1], v[0:1], v[20:21] neg_lo:[0,1] neg_hi:[0,1]
	s_cbranch_vccz .LBB142_41
; %bb.40:                               ;   in Loop: Header=BB142_25 Depth=2
	v_div_scale_f32 v16, null, v3, v3, v2
	v_div_scale_f32 v19, vcc_lo, v2, v3, v2
	s_mov_b32 s30, 0
	v_rcp_f32_e32 v17, v16
	v_nop
	v_xor_b32_e32 v16, 0x80000000, v16
	s_delay_alu instid0(TRANS32_DEP_1) | instid1(VALU_DEP_1)
	v_fma_f32 v18, v16, v17, 1.0
	s_delay_alu instid0(VALU_DEP_1) | instskip(NEXT) | instid1(VALU_DEP_1)
	v_fmac_f32_e32 v17, v18, v17
	v_mul_f32_e32 v18, v19, v17
	s_delay_alu instid0(VALU_DEP_1) | instskip(NEXT) | instid1(VALU_DEP_1)
	v_fma_f32 v20, v16, v18, v19
	v_fmac_f32_e32 v18, v20, v17
	s_delay_alu instid0(VALU_DEP_1) | instskip(NEXT) | instid1(VALU_DEP_1)
	v_fmac_f32_e32 v19, v16, v18
	v_div_fmas_f32 v16, v19, v17, v18
	s_delay_alu instid0(VALU_DEP_1) | instskip(NEXT) | instid1(VALU_DEP_1)
	v_div_fixup_f32 v16, v16, v3, v2
	v_fma_f32 v17, v2, v16, v3
	s_delay_alu instid0(VALU_DEP_1) | instskip(NEXT) | instid1(VALU_DEP_1)
	v_div_scale_f32 v18, null, v17, v17, 1.0
	v_rcp_f32_e32 v19, v18
	v_nop
	v_xor_b32_e32 v18, 0x80000000, v18
	s_delay_alu instid0(TRANS32_DEP_1) | instid1(VALU_DEP_1)
	v_fma_f32 v20, v18, v19, 1.0
	s_delay_alu instid0(VALU_DEP_1) | instskip(SKIP_1) | instid1(VALU_DEP_1)
	v_fmac_f32_e32 v19, v20, v19
	v_div_scale_f32 v20, vcc_lo, 1.0, v17, 1.0
	v_mul_f32_e32 v21, v20, v19
	s_delay_alu instid0(VALU_DEP_1) | instskip(NEXT) | instid1(VALU_DEP_1)
	v_fma_f32 v22, v18, v21, v20
	v_fmac_f32_e32 v21, v22, v19
	s_delay_alu instid0(VALU_DEP_1) | instskip(NEXT) | instid1(VALU_DEP_1)
	v_dual_fmac_f32 v20, v18, v21 :: v_dual_mov_b32 v18, v1
	v_div_fmas_f32 v20, v20, v19, v21
	s_delay_alu instid0(VALU_DEP_2) | instskip(NEXT) | instid1(VALU_DEP_2)
	v_pk_fma_f32 v[18:19], v[16:17], v[0:1], v[18:19]
	v_div_fixup_f32 v19, v20, v17, 1.0
	s_delay_alu instid0(VALU_DEP_1) | instskip(NEXT) | instid1(VALU_DEP_1)
	v_dual_fma_f32 v17, v16, v1, -v0 :: v_dual_mov_b32 v16, v19
	v_pk_mul_f32 v[16:17], v[18:19], v[16:17]
.LBB142_41:                             ;   in Loop: Header=BB142_25 Depth=2
	s_and_not1_b32 vcc_lo, exec_lo, s30
	s_cbranch_vccnz .LBB142_43
; %bb.42:                               ;   in Loop: Header=BB142_25 Depth=2
	v_div_scale_f32 v16, null, v2, v2, v3
	v_div_scale_f32 v19, vcc_lo, v3, v2, v3
	s_delay_alu instid0(VALU_DEP_2)
	v_rcp_f32_e32 v17, v16
	v_nop
	v_xor_b32_e32 v16, 0x80000000, v16
	s_delay_alu instid0(TRANS32_DEP_1) | instid1(VALU_DEP_1)
	v_fma_f32 v18, v16, v17, 1.0
	s_delay_alu instid0(VALU_DEP_1) | instskip(NEXT) | instid1(VALU_DEP_1)
	v_fmac_f32_e32 v17, v18, v17
	v_mul_f32_e32 v18, v19, v17
	s_delay_alu instid0(VALU_DEP_1) | instskip(NEXT) | instid1(VALU_DEP_1)
	v_fma_f32 v20, v16, v18, v19
	v_fmac_f32_e32 v18, v20, v17
	s_delay_alu instid0(VALU_DEP_1) | instskip(NEXT) | instid1(VALU_DEP_1)
	v_fmac_f32_e32 v19, v16, v18
	v_div_fmas_f32 v16, v19, v17, v18
	s_delay_alu instid0(VALU_DEP_1) | instskip(NEXT) | instid1(VALU_DEP_1)
	v_div_fixup_f32 v16, v16, v2, v3
	v_fma_f32 v17, v3, v16, v2
	s_delay_alu instid0(VALU_DEP_1) | instskip(SKIP_1) | instid1(VALU_DEP_2)
	v_div_scale_f32 v2, null, v17, v17, 1.0
	v_div_scale_f32 v19, vcc_lo, 1.0, v17, 1.0
	v_rcp_f32_e32 v3, v2
	v_nop
	v_xor_b32_e32 v2, 0x80000000, v2
	s_delay_alu instid0(TRANS32_DEP_1) | instid1(VALU_DEP_1)
	v_fma_f32 v18, v2, v3, 1.0
	s_delay_alu instid0(VALU_DEP_1) | instskip(NEXT) | instid1(VALU_DEP_1)
	v_fmac_f32_e32 v3, v18, v3
	v_mul_f32_e32 v18, v19, v3
	s_delay_alu instid0(VALU_DEP_1) | instskip(NEXT) | instid1(VALU_DEP_1)
	v_fma_f32 v20, v2, v18, v19
	v_fmac_f32_e32 v18, v20, v3
	s_delay_alu instid0(VALU_DEP_1) | instskip(NEXT) | instid1(VALU_DEP_1)
	v_fmac_f32_e32 v19, v2, v18
	v_div_fmas_f32 v18, v19, v3, v18
	v_pk_fma_f32 v[2:3], v[16:17], v[0:1], v[0:1] op_sel:[0,1,0] op_sel_hi:[0,0,1] neg_lo:[1,0,0] neg_hi:[1,0,0]
	v_pk_fma_f32 v[0:1], v[16:17], v[0:1], v[0:1] op_sel:[0,1,0] op_sel_hi:[1,0,1]
	s_delay_alu instid0(VALU_DEP_3) | instskip(NEXT) | instid1(VALU_DEP_3)
	v_div_fixup_f32 v2, v18, v17, 1.0
	v_mov_b32_e32 v1, v3
	s_delay_alu instid0(VALU_DEP_1)
	v_pk_mul_f32 v[16:17], v[0:1], v[2:3] op_sel_hi:[1,0]
.LBB142_43:                             ;   in Loop: Header=BB142_25 Depth=2
	s_add_co_i32 s30, s18, 4
	s_add_co_i32 s18, s18, 7
	;; [unrolled: 1-line block ×3, first 2 shown]
	s_cmp_ge_i32 s18, s37
	ds_store_b64 v27, v[16:17]
	s_cbranch_scc1 .LBB142_45
; %bb.44:                               ;   in Loop: Header=BB142_25 Depth=2
	s_mov_b32 s18, s30
	s_branch .LBB142_25
.LBB142_45:                             ;   in Loop: Header=BB142_3 Depth=1
	s_cmp_ge_i32 s30, s37
	s_cbranch_scc1 .LBB142_54
; %bb.46:                               ;   in Loop: Header=BB142_3 Depth=1
	s_lshl_b32 s3, s30, 3
	s_branch .LBB142_48
.LBB142_47:                             ;   in Loop: Header=BB142_48 Depth=2
	s_add_co_i32 s30, s30, 1
	s_add_co_i32 s3, s3, 8
	s_cmp_ge_i32 s30, s37
	ds_store_b64 v18, v[16:17]
	s_cbranch_scc1 .LBB142_54
.LBB142_48:                             ;   Parent Loop BB142_3 Depth=1
                                        ; =>  This Loop Header: Depth=2
                                        ;       Child Loop BB142_49 Depth 3
	s_lshl_b32 s18, s30, 6
	s_cmp_eq_u32 s30, 0
	v_dual_add_nc_u32 v18, s18, v24 :: v_dual_mov_b32 v2, v24
	s_mov_b32 s31, s3
	s_mov_b32 s34, s30
	ds_load_b64 v[0:1], v18
	s_cbranch_scc1 .LBB142_50
.LBB142_49:                             ;   Parent Loop BB142_3 Depth=1
                                        ;     Parent Loop BB142_48 Depth=2
                                        ; =>    This Inner Loop Header: Depth=3
	v_mov_b32_e32 v3, s31
	s_add_co_i32 s34, s34, -1
	s_add_co_i32 s31, s31, 64
	s_cmp_eq_u32 s34, 0
	ds_load_b64 v[16:17], v2
	ds_load_b64 v[20:21], v3
	v_add_nc_u32_e32 v2, 64, v2
	s_wait_dscnt 0x0
	v_pk_mul_f32 v[22:23], v[20:21], v[16:17] op_sel:[1,1] op_sel_hi:[0,1]
	s_delay_alu instid0(VALU_DEP_1) | instskip(SKIP_1) | instid1(VALU_DEP_2)
	v_pk_fma_f32 v[28:29], v[20:21], v[16:17], v[22:23] op_sel_hi:[1,0,1]
	v_pk_fma_f32 v[16:17], v[20:21], v[16:17], v[22:23] op_sel_hi:[1,0,1] neg_lo:[0,0,1] neg_hi:[0,0,1]
	v_mov_b32_e32 v17, v29
	s_delay_alu instid0(VALU_DEP_1)
	v_pk_add_f32 v[0:1], v[0:1], v[16:17] neg_lo:[0,1] neg_hi:[0,1]
	s_cbranch_scc0 .LBB142_49
.LBB142_50:                             ;   in Loop: Header=BB142_48 Depth=2
	s_lshl_b32 s31, s30, 3
	s_delay_alu instid0(SALU_CYCLE_1) | instskip(NEXT) | instid1(SALU_CYCLE_1)
	s_add_co_i32 s18, s31, s18
	v_mov_b32_e32 v2, s18
	s_mov_b32 s18, -1
	ds_load_b64 v[2:3], v2
	s_wait_dscnt 0x0
	v_and_b32_e32 v16, 0x7fffffff, v2
	v_and_b32_e32 v17, 0x7fffffff, v3
	s_delay_alu instid0(VALU_DEP_1)
	v_cmp_ngt_f32_e32 vcc_lo, v16, v17
                                        ; implicit-def: $vgpr16_vgpr17
	s_cbranch_vccz .LBB142_52
; %bb.51:                               ;   in Loop: Header=BB142_48 Depth=2
	v_div_scale_f32 v16, null, v3, v3, v2
	v_div_scale_f32 v20, vcc_lo, v2, v3, v2
	s_mov_b32 s18, 0
	v_rcp_f32_e32 v17, v16
	v_nop
	v_xor_b32_e32 v16, 0x80000000, v16
	s_delay_alu instid0(TRANS32_DEP_1) | instid1(VALU_DEP_1)
	v_fma_f32 v19, v16, v17, 1.0
	s_delay_alu instid0(VALU_DEP_1) | instskip(NEXT) | instid1(VALU_DEP_1)
	v_fmac_f32_e32 v17, v19, v17
	v_mul_f32_e32 v19, v20, v17
	s_delay_alu instid0(VALU_DEP_1) | instskip(NEXT) | instid1(VALU_DEP_1)
	v_fma_f32 v21, v16, v19, v20
	v_fmac_f32_e32 v19, v21, v17
	s_delay_alu instid0(VALU_DEP_1) | instskip(NEXT) | instid1(VALU_DEP_1)
	v_fmac_f32_e32 v20, v16, v19
	v_div_fmas_f32 v16, v20, v17, v19
	s_delay_alu instid0(VALU_DEP_1) | instskip(NEXT) | instid1(VALU_DEP_1)
	v_div_fixup_f32 v16, v16, v3, v2
	v_fma_f32 v19, v2, v16, v3
	s_delay_alu instid0(VALU_DEP_1) | instskip(SKIP_1) | instid1(VALU_DEP_2)
	v_div_scale_f32 v17, null, v19, v19, 1.0
	v_div_scale_f32 v22, vcc_lo, 1.0, v19, 1.0
	v_rcp_f32_e32 v20, v17
	v_nop
	v_xor_b32_e32 v17, 0x80000000, v17
	s_delay_alu instid0(TRANS32_DEP_1) | instid1(VALU_DEP_1)
	v_fma_f32 v21, v17, v20, 1.0
	s_delay_alu instid0(VALU_DEP_1) | instskip(NEXT) | instid1(VALU_DEP_1)
	v_fmac_f32_e32 v20, v21, v20
	v_mul_f32_e32 v21, v22, v20
	s_delay_alu instid0(VALU_DEP_1) | instskip(NEXT) | instid1(VALU_DEP_1)
	v_fma_f32 v23, v17, v21, v22
	v_fmac_f32_e32 v21, v23, v20
	s_delay_alu instid0(VALU_DEP_1) | instskip(NEXT) | instid1(VALU_DEP_1)
	v_fmac_f32_e32 v22, v17, v21
	v_div_fmas_f32 v22, v22, v20, v21
	v_pk_fma_f32 v[20:21], v[0:1], v[16:17], v[0:1] op_sel:[0,0,1] op_sel_hi:[1,0,0] neg_lo:[0,0,1] neg_hi:[0,0,1]
	v_pk_fma_f32 v[16:17], v[0:1], v[16:17], v[0:1] op_sel:[0,0,1] op_sel_hi:[1,0,0]
	s_delay_alu instid0(VALU_DEP_3) | instskip(NEXT) | instid1(VALU_DEP_3)
	v_div_fixup_f32 v20, v22, v19, 1.0
	v_mov_b32_e32 v17, v21
	s_delay_alu instid0(VALU_DEP_1)
	v_pk_mul_f32 v[16:17], v[16:17], v[20:21] op_sel_hi:[1,0]
.LBB142_52:                             ;   in Loop: Header=BB142_48 Depth=2
	s_and_not1_b32 vcc_lo, exec_lo, s18
	s_cbranch_vccnz .LBB142_47
; %bb.53:                               ;   in Loop: Header=BB142_48 Depth=2
	v_div_scale_f32 v16, null, v2, v2, v3
	v_div_scale_f32 v20, vcc_lo, v3, v2, v3
	s_delay_alu instid0(VALU_DEP_2)
	v_rcp_f32_e32 v17, v16
	v_nop
	v_xor_b32_e32 v16, 0x80000000, v16
	s_delay_alu instid0(TRANS32_DEP_1) | instid1(VALU_DEP_1)
	v_fma_f32 v19, v16, v17, 1.0
	s_delay_alu instid0(VALU_DEP_1) | instskip(NEXT) | instid1(VALU_DEP_1)
	v_fmac_f32_e32 v17, v19, v17
	v_mul_f32_e32 v19, v20, v17
	s_delay_alu instid0(VALU_DEP_1) | instskip(NEXT) | instid1(VALU_DEP_1)
	v_fma_f32 v21, v16, v19, v20
	v_fmac_f32_e32 v19, v21, v17
	s_delay_alu instid0(VALU_DEP_1) | instskip(NEXT) | instid1(VALU_DEP_1)
	v_fmac_f32_e32 v20, v16, v19
	v_div_fmas_f32 v16, v20, v17, v19
	s_delay_alu instid0(VALU_DEP_1) | instskip(NEXT) | instid1(VALU_DEP_1)
	v_div_fixup_f32 v16, v16, v2, v3
	v_fmac_f32_e32 v2, v3, v16
	s_delay_alu instid0(VALU_DEP_1) | instskip(SKIP_1) | instid1(VALU_DEP_2)
	v_div_scale_f32 v3, null, v2, v2, 1.0
	v_div_scale_f32 v20, vcc_lo, 1.0, v2, 1.0
	v_rcp_f32_e32 v17, v3
	v_nop
	v_xor_b32_e32 v3, 0x80000000, v3
	s_delay_alu instid0(TRANS32_DEP_1) | instid1(VALU_DEP_1)
	v_fma_f32 v19, v3, v17, 1.0
	s_delay_alu instid0(VALU_DEP_1) | instskip(NEXT) | instid1(VALU_DEP_1)
	v_fmac_f32_e32 v17, v19, v17
	v_mul_f32_e32 v19, v20, v17
	s_delay_alu instid0(VALU_DEP_1) | instskip(NEXT) | instid1(VALU_DEP_1)
	v_fma_f32 v21, v3, v19, v20
	v_fmac_f32_e32 v19, v21, v17
	s_delay_alu instid0(VALU_DEP_1) | instskip(NEXT) | instid1(VALU_DEP_1)
	v_fmac_f32_e32 v20, v3, v19
	v_div_fmas_f32 v3, v20, v17, v19
	v_pk_fma_f32 v[20:21], v[0:1], v[16:17], v[0:1] op_sel:[1,0,0] op_sel_hi:[0,0,1] neg_lo:[1,0,0] neg_hi:[1,0,0]
	v_pk_fma_f32 v[0:1], v[0:1], v[16:17], v[0:1] op_sel:[1,0,0] op_sel_hi:[0,0,1]
	s_delay_alu instid0(VALU_DEP_3) | instskip(NEXT) | instid1(VALU_DEP_3)
	v_div_fixup_f32 v2, v3, v2, 1.0
	v_mov_b32_e32 v1, v21
	s_delay_alu instid0(VALU_DEP_1)
	v_pk_mul_f32 v[16:17], v[0:1], v[2:3] op_sel_hi:[1,0]
	s_branch .LBB142_47
.LBB142_54:                             ;   in Loop: Header=BB142_3 Depth=1
	s_mov_b32 s3, 0
.LBB142_55:                             ;   in Loop: Header=BB142_3 Depth=1
	s_delay_alu instid0(SALU_CYCLE_1)
	s_and_b32 vcc_lo, exec_lo, s3
	s_cbranch_vccz .LBB142_87
; %bb.56:                               ;   in Loop: Header=BB142_3 Depth=1
	s_mov_b32 s30, s38
	s_and_not1_b32 vcc_lo, exec_lo, s42
	s_mov_b32 s3, s1
	s_mov_b32 s18, s38
	s_cbranch_vccnz .LBB142_78
.LBB142_57:                             ;   Parent Loop BB142_3 Depth=1
                                        ; =>  This Loop Header: Depth=2
                                        ;       Child Loop BB142_58 Depth 3
	s_add_co_i32 s52, s18, -1
	s_add_co_i32 s31, s18, -3
	v_lshl_add_u32 v30, s18, 6, v24
	s_add_co_i32 s50, s18, -2
	v_lshl_add_u32 v29, s52, 6, v24
	s_lshl_b32 s30, s31, 6
	v_lshl_add_u32 v28, s50, 6, v24
	v_dual_mov_b32 v16, v5 :: v_dual_add_nc_u32 v27, s30, v24
	ds_load_b64 v[20:21], v30
	ds_load_b64 v[18:19], v29
	;; [unrolled: 1-line block ×4, first 2 shown]
	s_cmp_le_i32 s38, s18
	s_mov_b32 s34, s3
	s_mov_b32 s35, s38
	s_cbranch_scc1 .LBB142_59
.LBB142_58:                             ;   Parent Loop BB142_3 Depth=1
                                        ;     Parent Loop BB142_57 Depth=2
                                        ; =>    This Inner Loop Header: Depth=3
	s_add_co_i32 s49, s34, 0xffffffb0
	s_add_co_i32 s51, s34, 0xffffffa0
	s_delay_alu instid0(SALU_CYCLE_1)
	v_dual_mov_b32 v17, s49 :: v_dual_mov_b32 v31, s51
	ds_load_b64 v[22:23], v16
	v_subrev_nc_u32_e32 v16, 64, v16
	s_add_co_i32 s35, s35, -1
	ds_load_2addr_b64 v[32:35], v17 offset1:1
	ds_load_2addr_b64 v[36:39], v31 offset1:1
	s_sub_co_i32 s34, s34, 64
	s_cmp_le_i32 s35, s18
	s_wait_dscnt 0x1
	v_dual_mul_f32 v17, v35, v23 :: v_dual_mul_f32 v31, v34, v23
	v_dual_mul_f32 v44, v33, v23 :: v_dual_mul_f32 v45, v33, v22
	s_wait_dscnt 0x0
	v_pk_mul_f32 v[40:41], v[38:39], v[22:23] op_sel:[0,1]
	v_pk_mul_f32 v[42:43], v[36:37], v[22:23] op_sel:[0,1]
	v_dual_fma_f32 v17, v34, v22, -v17 :: v_dual_fmac_f32 v31, v35, v22
	v_dual_fma_f32 v44, v32, v22, -v44 :: v_dual_fmac_f32 v45, v32, v23
	s_delay_alu instid0(VALU_DEP_4) | instskip(NEXT) | instid1(VALU_DEP_4)
	v_pk_fma_f32 v[32:33], v[38:39], v[22:23], v[40:41] op_sel:[0,0,1] op_sel_hi:[1,0,0]
	v_pk_fma_f32 v[34:35], v[36:37], v[22:23], v[42:43] op_sel:[0,0,1] op_sel_hi:[1,0,0]
	v_pk_fma_f32 v[38:39], v[38:39], v[22:23], v[40:41] op_sel:[0,0,1] op_sel_hi:[1,1,0] neg_lo:[0,0,1] neg_hi:[0,0,1]
	v_pk_fma_f32 v[22:23], v[36:37], v[22:23], v[42:43] op_sel:[0,0,1] op_sel_hi:[1,1,0] neg_lo:[0,0,1] neg_hi:[0,0,1]
	s_delay_alu instid0(VALU_DEP_4) | instskip(NEXT) | instid1(VALU_DEP_4)
	v_dual_sub_f32 v20, v20, v17 :: v_dual_mov_b32 v39, v33
	v_dual_mov_b32 v23, v35 :: v_dual_sub_f32 v21, v21, v31
	v_dual_sub_f32 v18, v18, v44 :: v_dual_sub_f32 v19, v19, v45
	s_delay_alu instid0(VALU_DEP_3) | instskip(NEXT) | instid1(VALU_DEP_3)
	v_pk_add_f32 v[2:3], v[2:3], v[38:39] neg_lo:[0,1] neg_hi:[0,1]
	v_pk_add_f32 v[0:1], v[0:1], v[22:23] neg_lo:[0,1] neg_hi:[0,1]
	s_cbranch_scc0 .LBB142_58
.LBB142_59:                             ;   in Loop: Header=BB142_57 Depth=2
	s_lshl_b32 s51, s52, 3
	s_lshl_b32 s35, s50, 3
; %bb.60:                               ;   in Loop: Header=BB142_57 Depth=2
	s_lshl_b32 s34, s18, 3
	s_lshl_b32 s49, s18, 6
	s_mov_b32 s53, -1
	s_add_co_i32 s49, s34, s49
	s_delay_alu instid0(SALU_CYCLE_1) | instskip(SKIP_4) | instid1(VALU_DEP_1)
	v_mov_b32_e32 v16, s49
	ds_load_b64 v[22:23], v16
	s_wait_dscnt 0x0
	v_and_b32_e32 v16, 0x7fffffff, v22
	v_and_b32_e32 v17, 0x7fffffff, v23
	v_cmp_ngt_f32_e32 vcc_lo, v16, v17
                                        ; implicit-def: $vgpr17
	s_cbranch_vccz .LBB142_62
; %bb.61:                               ;   in Loop: Header=BB142_57 Depth=2
	v_div_scale_f32 v16, null, v23, v23, v22
	v_div_scale_f32 v32, vcc_lo, v22, v23, v22
	s_mov_b32 s53, 0
	v_rcp_f32_e32 v17, v16
	v_nop
	v_xor_b32_e32 v16, 0x80000000, v16
	s_delay_alu instid0(TRANS32_DEP_1) | instid1(VALU_DEP_1)
	v_fma_f32 v31, v16, v17, 1.0
	s_delay_alu instid0(VALU_DEP_1) | instskip(NEXT) | instid1(VALU_DEP_1)
	v_fmac_f32_e32 v17, v31, v17
	v_mul_f32_e32 v31, v32, v17
	s_delay_alu instid0(VALU_DEP_1) | instskip(NEXT) | instid1(VALU_DEP_1)
	v_fma_f32 v33, v16, v31, v32
	v_fmac_f32_e32 v31, v33, v17
	s_delay_alu instid0(VALU_DEP_1) | instskip(NEXT) | instid1(VALU_DEP_1)
	v_fmac_f32_e32 v32, v16, v31
	v_div_fmas_f32 v16, v32, v17, v31
	s_delay_alu instid0(VALU_DEP_1) | instskip(NEXT) | instid1(VALU_DEP_1)
	v_div_fixup_f32 v16, v16, v23, v22
	v_fma_f32 v17, v22, v16, v23
	s_delay_alu instid0(VALU_DEP_1) | instskip(SKIP_1) | instid1(VALU_DEP_2)
	v_div_scale_f32 v31, null, v17, v17, 1.0
	v_div_scale_f32 v34, vcc_lo, 1.0, v17, 1.0
	v_rcp_f32_e32 v32, v31
	v_nop
	v_xor_b32_e32 v31, 0x80000000, v31
	s_delay_alu instid0(TRANS32_DEP_1) | instid1(VALU_DEP_1)
	v_fma_f32 v33, v31, v32, 1.0
	s_delay_alu instid0(VALU_DEP_1) | instskip(NEXT) | instid1(VALU_DEP_1)
	v_fmac_f32_e32 v32, v33, v32
	v_mul_f32_e32 v33, v34, v32
	s_delay_alu instid0(VALU_DEP_1) | instskip(NEXT) | instid1(VALU_DEP_1)
	v_fma_f32 v35, v31, v33, v34
	v_fmac_f32_e32 v33, v35, v32
	s_delay_alu instid0(VALU_DEP_1) | instskip(NEXT) | instid1(VALU_DEP_1)
	v_fmac_f32_e32 v34, v31, v33
	v_div_fmas_f32 v31, v34, v32, v33
	v_fma_f32 v32, v20, v16, v21
	s_delay_alu instid0(VALU_DEP_2) | instskip(NEXT) | instid1(VALU_DEP_1)
	v_div_fixup_f32 v17, v31, v17, 1.0
	v_dual_fma_f32 v31, v21, v16, -v20 :: v_dual_mul_f32 v16, v32, v17
	s_delay_alu instid0(VALU_DEP_1)
	v_mul_f32_e32 v17, v31, v17
.LBB142_62:                             ;   in Loop: Header=BB142_57 Depth=2
	s_and_not1_b32 vcc_lo, exec_lo, s53
	s_cbranch_vccnz .LBB142_64
; %bb.63:                               ;   in Loop: Header=BB142_57 Depth=2
	v_div_scale_f32 v16, null, v22, v22, v23
	v_div_scale_f32 v32, vcc_lo, v23, v22, v23
	s_delay_alu instid0(VALU_DEP_2)
	v_rcp_f32_e32 v17, v16
	v_nop
	v_xor_b32_e32 v16, 0x80000000, v16
	s_delay_alu instid0(TRANS32_DEP_1) | instid1(VALU_DEP_1)
	v_fma_f32 v31, v16, v17, 1.0
	s_delay_alu instid0(VALU_DEP_1) | instskip(NEXT) | instid1(VALU_DEP_1)
	v_fmac_f32_e32 v17, v31, v17
	v_mul_f32_e32 v31, v32, v17
	s_delay_alu instid0(VALU_DEP_1) | instskip(NEXT) | instid1(VALU_DEP_1)
	v_fma_f32 v33, v16, v31, v32
	v_fmac_f32_e32 v31, v33, v17
	s_delay_alu instid0(VALU_DEP_1) | instskip(NEXT) | instid1(VALU_DEP_1)
	v_fmac_f32_e32 v32, v16, v31
	v_div_fmas_f32 v16, v32, v17, v31
	s_delay_alu instid0(VALU_DEP_1) | instskip(NEXT) | instid1(VALU_DEP_1)
	v_div_fixup_f32 v16, v16, v22, v23
	v_fmac_f32_e32 v22, v23, v16
	s_delay_alu instid0(VALU_DEP_1) | instskip(SKIP_1) | instid1(VALU_DEP_2)
	v_div_scale_f32 v17, null, v22, v22, 1.0
	v_div_scale_f32 v32, vcc_lo, 1.0, v22, 1.0
	v_rcp_f32_e32 v23, v17
	v_nop
	v_xor_b32_e32 v17, 0x80000000, v17
	s_delay_alu instid0(TRANS32_DEP_1) | instid1(VALU_DEP_1)
	v_fma_f32 v31, v17, v23, 1.0
	s_delay_alu instid0(VALU_DEP_1) | instskip(NEXT) | instid1(VALU_DEP_1)
	v_fmac_f32_e32 v23, v31, v23
	v_mul_f32_e32 v31, v32, v23
	s_delay_alu instid0(VALU_DEP_1) | instskip(NEXT) | instid1(VALU_DEP_1)
	v_fma_f32 v33, v17, v31, v32
	v_fmac_f32_e32 v31, v33, v23
	s_delay_alu instid0(VALU_DEP_1) | instskip(NEXT) | instid1(VALU_DEP_1)
	v_fmac_f32_e32 v32, v17, v31
	v_div_fmas_f32 v17, v32, v23, v31
	v_dual_fma_f32 v23, v21, v16, v20 :: v_dual_fma_f32 v20, -v20, v16, v21
	s_delay_alu instid0(VALU_DEP_2) | instskip(NEXT) | instid1(VALU_DEP_1)
	v_div_fixup_f32 v17, v17, v22, 1.0
	v_dual_mul_f32 v16, v23, v17 :: v_dual_mul_f32 v17, v20, v17
.LBB142_64:                             ;   in Loop: Header=BB142_57 Depth=2
	s_lshl_b32 s52, s52, 6
	s_add_co_i32 s53, s49, -8
	s_add_co_i32 s52, s34, s52
	s_delay_alu instid0(SALU_CYCLE_1) | instskip(NEXT) | instid1(SALU_CYCLE_1)
	s_add_co_i32 s52, s52, -8
	v_dual_mov_b32 v20, s53 :: v_dual_mov_b32 v21, s52
	s_mov_b32 s53, -1
	ds_load_b64 v[22:23], v20
	ds_load_b64 v[20:21], v21
	ds_store_b64 v30, v[16:17]
	s_wait_dscnt 0x2
	v_dual_mul_f32 v31, v17, v23 :: v_dual_mul_f32 v23, v16, v23
	s_wait_dscnt 0x1
	v_and_b32_e32 v32, 0x7fffffff, v20
	v_and_b32_e32 v33, 0x7fffffff, v21
	s_delay_alu instid0(VALU_DEP_3) | instskip(SKIP_1) | instid1(VALU_DEP_3)
	v_fmac_f32_e32 v23, v17, v22
	v_fma_f32 v31, v16, v22, -v31
	v_cmp_ngt_f32_e32 vcc_lo, v32, v33
	s_delay_alu instid0(VALU_DEP_3) | instskip(NEXT) | instid1(VALU_DEP_3)
	v_sub_f32_e32 v23, v19, v23
	v_sub_f32_e32 v22, v18, v31
                                        ; implicit-def: $vgpr19
	s_cbranch_vccz .LBB142_66
; %bb.65:                               ;   in Loop: Header=BB142_57 Depth=2
	v_div_scale_f32 v18, null, v21, v21, v20
	v_div_scale_f32 v31, vcc_lo, v20, v21, v20
	s_mov_b32 s53, 0
	v_rcp_f32_e32 v19, v18
	v_nop
	v_xor_b32_e32 v18, 0x80000000, v18
	s_delay_alu instid0(TRANS32_DEP_1) | instid1(VALU_DEP_1)
	v_fma_f32 v30, v18, v19, 1.0
	s_delay_alu instid0(VALU_DEP_1) | instskip(NEXT) | instid1(VALU_DEP_1)
	v_fmac_f32_e32 v19, v30, v19
	v_mul_f32_e32 v30, v31, v19
	s_delay_alu instid0(VALU_DEP_1) | instskip(NEXT) | instid1(VALU_DEP_1)
	v_fma_f32 v32, v18, v30, v31
	v_fmac_f32_e32 v30, v32, v19
	s_delay_alu instid0(VALU_DEP_1) | instskip(NEXT) | instid1(VALU_DEP_1)
	v_fmac_f32_e32 v31, v18, v30
	v_div_fmas_f32 v18, v31, v19, v30
	s_delay_alu instid0(VALU_DEP_1) | instskip(NEXT) | instid1(VALU_DEP_1)
	v_div_fixup_f32 v18, v18, v21, v20
	v_fma_f32 v19, v20, v18, v21
	s_delay_alu instid0(VALU_DEP_1) | instskip(SKIP_1) | instid1(VALU_DEP_2)
	v_div_scale_f32 v30, null, v19, v19, 1.0
	v_div_scale_f32 v33, vcc_lo, 1.0, v19, 1.0
	v_rcp_f32_e32 v31, v30
	v_nop
	v_xor_b32_e32 v30, 0x80000000, v30
	s_delay_alu instid0(TRANS32_DEP_1) | instid1(VALU_DEP_1)
	v_fma_f32 v32, v30, v31, 1.0
	s_delay_alu instid0(VALU_DEP_1) | instskip(NEXT) | instid1(VALU_DEP_1)
	v_fmac_f32_e32 v31, v32, v31
	v_mul_f32_e32 v32, v33, v31
	s_delay_alu instid0(VALU_DEP_1) | instskip(NEXT) | instid1(VALU_DEP_1)
	v_fma_f32 v34, v30, v32, v33
	v_fmac_f32_e32 v32, v34, v31
	s_delay_alu instid0(VALU_DEP_1) | instskip(NEXT) | instid1(VALU_DEP_1)
	v_fmac_f32_e32 v33, v30, v32
	v_div_fmas_f32 v30, v33, v31, v32
	v_fma_f32 v31, v18, v22, v23
	s_delay_alu instid0(VALU_DEP_2) | instskip(SKIP_1) | instid1(VALU_DEP_1)
	v_div_fixup_f32 v19, v30, v19, 1.0
	v_fma_f32 v30, v18, v23, -v22
	v_dual_mul_f32 v18, v31, v19 :: v_dual_mul_f32 v19, v30, v19
.LBB142_66:                             ;   in Loop: Header=BB142_57 Depth=2
	s_and_not1_b32 vcc_lo, exec_lo, s53
	s_cbranch_vccnz .LBB142_68
; %bb.67:                               ;   in Loop: Header=BB142_57 Depth=2
	v_div_scale_f32 v18, null, v20, v20, v21
	v_div_scale_f32 v31, vcc_lo, v21, v20, v21
	s_delay_alu instid0(VALU_DEP_2)
	v_rcp_f32_e32 v19, v18
	v_nop
	v_xor_b32_e32 v18, 0x80000000, v18
	s_delay_alu instid0(TRANS32_DEP_1) | instid1(VALU_DEP_1)
	v_fma_f32 v30, v18, v19, 1.0
	s_delay_alu instid0(VALU_DEP_1) | instskip(NEXT) | instid1(VALU_DEP_1)
	v_fmac_f32_e32 v19, v30, v19
	v_mul_f32_e32 v30, v31, v19
	s_delay_alu instid0(VALU_DEP_1) | instskip(NEXT) | instid1(VALU_DEP_1)
	v_fma_f32 v32, v18, v30, v31
	v_fmac_f32_e32 v30, v32, v19
	s_delay_alu instid0(VALU_DEP_1) | instskip(NEXT) | instid1(VALU_DEP_1)
	v_fmac_f32_e32 v31, v18, v30
	v_div_fmas_f32 v18, v31, v19, v30
	s_delay_alu instid0(VALU_DEP_1) | instskip(NEXT) | instid1(VALU_DEP_1)
	v_div_fixup_f32 v18, v18, v20, v21
	v_fmac_f32_e32 v20, v21, v18
	s_delay_alu instid0(VALU_DEP_1) | instskip(SKIP_1) | instid1(VALU_DEP_2)
	v_div_scale_f32 v19, null, v20, v20, 1.0
	v_div_scale_f32 v31, vcc_lo, 1.0, v20, 1.0
	v_rcp_f32_e32 v21, v19
	v_nop
	v_xor_b32_e32 v19, 0x80000000, v19
	s_delay_alu instid0(TRANS32_DEP_1) | instid1(VALU_DEP_1)
	v_fma_f32 v30, v19, v21, 1.0
	s_delay_alu instid0(VALU_DEP_1) | instskip(NEXT) | instid1(VALU_DEP_1)
	v_fmac_f32_e32 v21, v30, v21
	v_mul_f32_e32 v30, v31, v21
	s_delay_alu instid0(VALU_DEP_1) | instskip(NEXT) | instid1(VALU_DEP_1)
	v_fma_f32 v32, v19, v30, v31
	v_fmac_f32_e32 v30, v32, v21
	s_delay_alu instid0(VALU_DEP_1) | instskip(NEXT) | instid1(VALU_DEP_1)
	v_fmac_f32_e32 v31, v19, v30
	v_div_fmas_f32 v19, v31, v21, v30
	v_fma_f32 v21, v18, v23, v22
	s_delay_alu instid0(VALU_DEP_2) | instskip(NEXT) | instid1(VALU_DEP_1)
	v_div_fixup_f32 v19, v19, v20, 1.0
	v_dual_fma_f32 v20, -v18, v22, v23 :: v_dual_mul_f32 v18, v21, v19
	s_delay_alu instid0(VALU_DEP_1)
	v_mul_f32_e32 v19, v20, v19
.LBB142_68:                             ;   in Loop: Header=BB142_57 Depth=2
	s_add_co_i32 s53, s49, -16
	s_sub_co_i32 s51, s52, s51
	s_lshl_b32 s50, s50, 6
	s_add_co_i32 s52, s51, s35
	s_delay_alu instid0(SALU_CYCLE_1)
	v_dual_mov_b32 v20, s53 :: v_dual_mov_b32 v21, s52
	s_add_co_i32 s50, s34, s50
	s_mov_b32 s52, -1
	s_add_co_i32 s50, s50, -16
	ds_load_b64 v[22:23], v20
	ds_load_b64 v[30:31], v21
	v_dual_mov_b32 v20, s50 :: v_dual_mov_b32 v32, v17
	ds_store_b64 v29, v[18:19]
	ds_load_b64 v[20:21], v20
	s_wait_dscnt 0x3
	v_pk_mul_f32 v[32:33], v[32:33], v[22:23] op_sel_hi:[0,1]
	s_delay_alu instid0(VALU_DEP_1)
	v_pk_fma_f32 v[36:37], v[16:17], v[22:23], v[32:33] op_sel:[0,0,1] op_sel_hi:[0,1,0]
	v_mov_b32_e32 v34, v19
	v_pk_fma_f32 v[22:23], v[16:17], v[22:23], v[32:33] op_sel:[0,0,1] op_sel_hi:[1,1,0] neg_lo:[0,0,1] neg_hi:[0,0,1]
	s_wait_dscnt 0x0
	v_and_b32_e32 v36, 0x7fffffff, v21
	v_mov_b32_e32 v23, v37
	v_pk_mul_f32 v[34:35], v[34:35], v[30:31] op_sel_hi:[0,1]
	s_delay_alu instid0(VALU_DEP_2) | instskip(NEXT) | instid1(VALU_DEP_2)
	v_pk_add_f32 v[2:3], v[2:3], v[22:23] neg_lo:[0,1] neg_hi:[0,1]
	v_pk_fma_f32 v[32:33], v[18:19], v[30:31], v[34:35] op_sel:[0,0,1] op_sel_hi:[0,1,0]
	v_and_b32_e32 v32, 0x7fffffff, v20
	v_pk_fma_f32 v[30:31], v[18:19], v[30:31], v[34:35] op_sel:[0,0,1] op_sel_hi:[1,1,0] neg_lo:[0,0,1] neg_hi:[0,0,1]
                                        ; implicit-def: $vgpr22_vgpr23
	s_delay_alu instid0(VALU_DEP_3) | instskip(NEXT) | instid1(VALU_DEP_3)
	v_mov_b32_e32 v31, v33
	v_cmp_ngt_f32_e32 vcc_lo, v32, v36
	s_delay_alu instid0(VALU_DEP_2)
	v_pk_add_f32 v[2:3], v[2:3], v[30:31] neg_lo:[0,1] neg_hi:[0,1]
	s_cbranch_vccz .LBB142_70
; %bb.69:                               ;   in Loop: Header=BB142_57 Depth=2
	v_div_scale_f32 v22, null, v21, v21, v20
	v_div_scale_f32 v30, vcc_lo, v20, v21, v20
	s_mov_b32 s52, 0
	v_rcp_f32_e32 v23, v22
	v_nop
	v_xor_b32_e32 v22, 0x80000000, v22
	s_delay_alu instid0(TRANS32_DEP_1) | instid1(VALU_DEP_1)
	v_fma_f32 v29, v22, v23, 1.0
	s_delay_alu instid0(VALU_DEP_1) | instskip(NEXT) | instid1(VALU_DEP_1)
	v_fmac_f32_e32 v23, v29, v23
	v_mul_f32_e32 v29, v30, v23
	s_delay_alu instid0(VALU_DEP_1) | instskip(NEXT) | instid1(VALU_DEP_1)
	v_fma_f32 v31, v22, v29, v30
	v_fmac_f32_e32 v29, v31, v23
	s_delay_alu instid0(VALU_DEP_1) | instskip(NEXT) | instid1(VALU_DEP_1)
	v_fmac_f32_e32 v30, v22, v29
	v_div_fmas_f32 v22, v30, v23, v29
	s_delay_alu instid0(VALU_DEP_1) | instskip(NEXT) | instid1(VALU_DEP_1)
	v_div_fixup_f32 v22, v22, v21, v20
	v_fma_f32 v23, v20, v22, v21
	s_delay_alu instid0(VALU_DEP_1) | instskip(SKIP_1) | instid1(VALU_DEP_2)
	v_div_scale_f32 v29, null, v23, v23, 1.0
	v_div_scale_f32 v32, vcc_lo, 1.0, v23, 1.0
	v_rcp_f32_e32 v31, v29
	v_nop
	v_xor_b32_e32 v29, 0x80000000, v29
	s_delay_alu instid0(TRANS32_DEP_1) | instid1(VALU_DEP_1)
	v_fma_f32 v30, v29, v31, 1.0
	s_delay_alu instid0(VALU_DEP_1) | instskip(NEXT) | instid1(VALU_DEP_1)
	v_fmac_f32_e32 v31, v30, v31
	v_mul_f32_e32 v33, v32, v31
	s_delay_alu instid0(VALU_DEP_1) | instskip(NEXT) | instid1(VALU_DEP_1)
	v_fma_f32 v30, v29, v33, v32
	v_dual_fmac_f32 v33, v30, v31 :: v_dual_mov_b32 v30, v3
	s_delay_alu instid0(VALU_DEP_1) | instskip(NEXT) | instid1(VALU_DEP_1)
	v_fmac_f32_e32 v32, v29, v33
	v_div_fmas_f32 v29, v32, v31, v33
	s_delay_alu instid0(VALU_DEP_3) | instskip(NEXT) | instid1(VALU_DEP_2)
	v_pk_fma_f32 v[30:31], v[22:23], v[2:3], v[30:31]
	v_div_fixup_f32 v31, v29, v23, 1.0
	s_delay_alu instid0(VALU_DEP_1) | instskip(NEXT) | instid1(VALU_DEP_1)
	v_dual_fma_f32 v23, v22, v3, -v2 :: v_dual_mov_b32 v22, v31
	v_pk_mul_f32 v[22:23], v[30:31], v[22:23]
.LBB142_70:                             ;   in Loop: Header=BB142_57 Depth=2
	s_and_not1_b32 vcc_lo, exec_lo, s52
	s_cbranch_vccnz .LBB142_72
; %bb.71:                               ;   in Loop: Header=BB142_57 Depth=2
	v_div_scale_f32 v22, null, v20, v20, v21
	v_div_scale_f32 v30, vcc_lo, v21, v20, v21
	s_delay_alu instid0(VALU_DEP_2)
	v_rcp_f32_e32 v23, v22
	v_nop
	v_xor_b32_e32 v22, 0x80000000, v22
	s_delay_alu instid0(TRANS32_DEP_1) | instid1(VALU_DEP_1)
	v_fma_f32 v29, v22, v23, 1.0
	s_delay_alu instid0(VALU_DEP_1) | instskip(NEXT) | instid1(VALU_DEP_1)
	v_fmac_f32_e32 v23, v29, v23
	v_mul_f32_e32 v29, v30, v23
	s_delay_alu instid0(VALU_DEP_1) | instskip(NEXT) | instid1(VALU_DEP_1)
	v_fma_f32 v31, v22, v29, v30
	v_fmac_f32_e32 v29, v31, v23
	s_delay_alu instid0(VALU_DEP_1) | instskip(NEXT) | instid1(VALU_DEP_1)
	v_fmac_f32_e32 v30, v22, v29
	v_div_fmas_f32 v22, v30, v23, v29
	s_delay_alu instid0(VALU_DEP_1) | instskip(NEXT) | instid1(VALU_DEP_1)
	v_div_fixup_f32 v22, v22, v20, v21
	v_fmac_f32_e32 v20, v21, v22
	s_delay_alu instid0(VALU_DEP_1) | instskip(SKIP_1) | instid1(VALU_DEP_2)
	v_div_scale_f32 v21, null, v20, v20, 1.0
	v_div_scale_f32 v30, vcc_lo, 1.0, v20, 1.0
	v_rcp_f32_e32 v23, v21
	v_nop
	v_xor_b32_e32 v21, 0x80000000, v21
	s_delay_alu instid0(TRANS32_DEP_1) | instid1(VALU_DEP_1)
	v_fma_f32 v29, v21, v23, 1.0
	s_delay_alu instid0(VALU_DEP_1) | instskip(NEXT) | instid1(VALU_DEP_1)
	v_fmac_f32_e32 v23, v29, v23
	v_mul_f32_e32 v29, v30, v23
	s_delay_alu instid0(VALU_DEP_1) | instskip(NEXT) | instid1(VALU_DEP_1)
	v_fma_f32 v31, v21, v29, v30
	v_fmac_f32_e32 v29, v31, v23
	s_delay_alu instid0(VALU_DEP_1) | instskip(NEXT) | instid1(VALU_DEP_1)
	v_fmac_f32_e32 v30, v21, v29
	v_div_fmas_f32 v21, v30, v23, v29
	v_pk_fma_f32 v[30:31], v[22:23], v[2:3], v[2:3] op_sel:[0,1,0] op_sel_hi:[0,0,1] neg_lo:[1,0,0] neg_hi:[1,0,0]
	v_pk_fma_f32 v[2:3], v[22:23], v[2:3], v[2:3] op_sel:[0,1,0] op_sel_hi:[1,0,1]
	s_delay_alu instid0(VALU_DEP_3) | instskip(NEXT) | instid1(VALU_DEP_3)
	v_div_fixup_f32 v20, v21, v20, 1.0
	v_mov_b32_e32 v3, v31
	s_delay_alu instid0(VALU_DEP_1)
	v_pk_mul_f32 v[22:23], v[2:3], v[20:21] op_sel_hi:[1,0]
.LBB142_72:                             ;   in Loop: Header=BB142_57 Depth=2
	s_sub_co_i32 s49, s49, 24
	s_lshl_b32 s31, s31, 3
	v_mov_b32_e32 v2, s49
	s_add_co_i32 s49, s51, s31
	s_sub_co_i32 s35, s50, s35
	v_mov_b32_e32 v3, s49
	s_add_co_i32 s31, s35, s31
	ds_load_b64 v[20:21], v2
	s_add_co_i32 s34, s34, s30
	v_mov_b32_e32 v34, v17
	ds_load_b64 v[30:31], v3
	v_mov_b32_e32 v2, s31
	s_sub_co_i32 s30, s34, 24
	v_dual_mov_b32 v37, v19 :: v_dual_mov_b32 v35, v17
	v_dual_mov_b32 v17, v16 :: v_dual_mov_b32 v36, v19
	ds_load_b64 v[32:33], v2
	v_dual_mov_b32 v2, s30 :: v_dual_mov_b32 v19, v18
	s_mov_b32 s30, -1
	ds_store_b64 v28, v[22:23]
	ds_load_b64 v[2:3], v2
	s_wait_dscnt 0x4
	v_pk_mul_f32 v[34:35], v[34:35], v[20:21]
	s_wait_dscnt 0x3
	v_pk_mul_f32 v[36:37], v[36:37], v[30:31]
	s_delay_alu instid0(VALU_DEP_2) | instskip(SKIP_1) | instid1(VALU_DEP_3)
	v_pk_fma_f32 v[38:39], v[16:17], v[20:21], v[34:35] op_sel:[0,0,1] op_sel_hi:[1,1,0]
	v_pk_fma_f32 v[16:17], v[16:17], v[20:21], v[34:35] op_sel:[0,0,1] op_sel_hi:[1,1,0] neg_lo:[0,0,1] neg_hi:[0,0,1]
	v_pk_fma_f32 v[20:21], v[18:19], v[30:31], v[36:37] op_sel:[0,0,1] op_sel_hi:[1,1,0]
	v_pk_fma_f32 v[18:19], v[18:19], v[30:31], v[36:37] op_sel:[0,0,1] op_sel_hi:[1,1,0] neg_lo:[0,0,1] neg_hi:[0,0,1]
	s_delay_alu instid0(VALU_DEP_4) | instskip(SKIP_3) | instid1(VALU_DEP_3)
	v_mov_b32_e32 v17, v39
	s_wait_dscnt 0x2
	v_pk_mul_f32 v[34:35], v[22:23], v[32:33] op_sel:[1,1] op_sel_hi:[1,0]
	v_mov_b32_e32 v19, v21
	v_pk_add_f32 v[0:1], v[0:1], v[16:17] neg_lo:[0,1] neg_hi:[0,1]
	s_delay_alu instid0(VALU_DEP_3)
	v_pk_fma_f32 v[16:17], v[22:23], v[32:33], v[34:35] op_sel_hi:[0,1,1]
	s_wait_dscnt 0x0
	v_and_b32_e32 v16, 0x7fffffff, v2
	v_and_b32_e32 v29, 0x7fffffff, v3
	v_pk_fma_f32 v[20:21], v[22:23], v[32:33], v[34:35] neg_lo:[0,0,1] neg_hi:[0,0,1]
	v_pk_add_f32 v[0:1], v[0:1], v[18:19] neg_lo:[0,1] neg_hi:[0,1]
	v_mov_b32_e32 v21, v17
	s_delay_alu instid0(VALU_DEP_4) | instskip(NEXT) | instid1(VALU_DEP_2)
	v_cmp_ngt_f32_e32 vcc_lo, v16, v29
                                        ; implicit-def: $vgpr16_vgpr17
	v_pk_add_f32 v[0:1], v[0:1], v[20:21] neg_lo:[0,1] neg_hi:[0,1]
	s_cbranch_vccz .LBB142_74
; %bb.73:                               ;   in Loop: Header=BB142_57 Depth=2
	v_div_scale_f32 v16, null, v3, v3, v2
	v_div_scale_f32 v19, vcc_lo, v2, v3, v2
	s_mov_b32 s30, 0
	v_rcp_f32_e32 v17, v16
	v_nop
	v_xor_b32_e32 v16, 0x80000000, v16
	s_delay_alu instid0(TRANS32_DEP_1) | instid1(VALU_DEP_1)
	v_fma_f32 v18, v16, v17, 1.0
	s_delay_alu instid0(VALU_DEP_1) | instskip(NEXT) | instid1(VALU_DEP_1)
	v_fmac_f32_e32 v17, v18, v17
	v_mul_f32_e32 v18, v19, v17
	s_delay_alu instid0(VALU_DEP_1) | instskip(NEXT) | instid1(VALU_DEP_1)
	v_fma_f32 v20, v16, v18, v19
	v_fmac_f32_e32 v18, v20, v17
	s_delay_alu instid0(VALU_DEP_1) | instskip(NEXT) | instid1(VALU_DEP_1)
	v_fmac_f32_e32 v19, v16, v18
	v_div_fmas_f32 v16, v19, v17, v18
	s_delay_alu instid0(VALU_DEP_1) | instskip(NEXT) | instid1(VALU_DEP_1)
	v_div_fixup_f32 v16, v16, v3, v2
	v_fma_f32 v17, v2, v16, v3
	s_delay_alu instid0(VALU_DEP_1) | instskip(NEXT) | instid1(VALU_DEP_1)
	v_div_scale_f32 v18, null, v17, v17, 1.0
	v_rcp_f32_e32 v19, v18
	v_nop
	v_xor_b32_e32 v18, 0x80000000, v18
	s_delay_alu instid0(TRANS32_DEP_1) | instid1(VALU_DEP_1)
	v_fma_f32 v20, v18, v19, 1.0
	s_delay_alu instid0(VALU_DEP_1) | instskip(SKIP_1) | instid1(VALU_DEP_1)
	v_fmac_f32_e32 v19, v20, v19
	v_div_scale_f32 v20, vcc_lo, 1.0, v17, 1.0
	v_mul_f32_e32 v21, v20, v19
	s_delay_alu instid0(VALU_DEP_1) | instskip(NEXT) | instid1(VALU_DEP_1)
	v_fma_f32 v22, v18, v21, v20
	v_fmac_f32_e32 v21, v22, v19
	s_delay_alu instid0(VALU_DEP_1) | instskip(NEXT) | instid1(VALU_DEP_1)
	v_dual_fmac_f32 v20, v18, v21 :: v_dual_mov_b32 v18, v1
	v_div_fmas_f32 v20, v20, v19, v21
	s_delay_alu instid0(VALU_DEP_2) | instskip(NEXT) | instid1(VALU_DEP_2)
	v_pk_fma_f32 v[18:19], v[16:17], v[0:1], v[18:19]
	v_div_fixup_f32 v19, v20, v17, 1.0
	s_delay_alu instid0(VALU_DEP_1) | instskip(NEXT) | instid1(VALU_DEP_1)
	v_dual_fma_f32 v17, v16, v1, -v0 :: v_dual_mov_b32 v16, v19
	v_pk_mul_f32 v[16:17], v[18:19], v[16:17]
.LBB142_74:                             ;   in Loop: Header=BB142_57 Depth=2
	s_and_not1_b32 vcc_lo, exec_lo, s30
	s_cbranch_vccnz .LBB142_76
; %bb.75:                               ;   in Loop: Header=BB142_57 Depth=2
	v_div_scale_f32 v16, null, v2, v2, v3
	v_div_scale_f32 v19, vcc_lo, v3, v2, v3
	s_delay_alu instid0(VALU_DEP_2)
	v_rcp_f32_e32 v17, v16
	v_nop
	v_xor_b32_e32 v16, 0x80000000, v16
	s_delay_alu instid0(TRANS32_DEP_1) | instid1(VALU_DEP_1)
	v_fma_f32 v18, v16, v17, 1.0
	s_delay_alu instid0(VALU_DEP_1) | instskip(NEXT) | instid1(VALU_DEP_1)
	v_fmac_f32_e32 v17, v18, v17
	v_mul_f32_e32 v18, v19, v17
	s_delay_alu instid0(VALU_DEP_1) | instskip(NEXT) | instid1(VALU_DEP_1)
	v_fma_f32 v20, v16, v18, v19
	v_fmac_f32_e32 v18, v20, v17
	s_delay_alu instid0(VALU_DEP_1) | instskip(NEXT) | instid1(VALU_DEP_1)
	v_fmac_f32_e32 v19, v16, v18
	v_div_fmas_f32 v16, v19, v17, v18
	s_delay_alu instid0(VALU_DEP_1) | instskip(NEXT) | instid1(VALU_DEP_1)
	v_div_fixup_f32 v16, v16, v2, v3
	v_fmac_f32_e32 v2, v3, v16
	s_delay_alu instid0(VALU_DEP_1) | instskip(SKIP_1) | instid1(VALU_DEP_2)
	v_div_scale_f32 v3, null, v2, v2, 1.0
	v_div_scale_f32 v19, vcc_lo, 1.0, v2, 1.0
	v_rcp_f32_e32 v17, v3
	v_nop
	v_xor_b32_e32 v3, 0x80000000, v3
	s_delay_alu instid0(TRANS32_DEP_1) | instid1(VALU_DEP_1)
	v_fma_f32 v18, v3, v17, 1.0
	s_delay_alu instid0(VALU_DEP_1) | instskip(NEXT) | instid1(VALU_DEP_1)
	v_fmac_f32_e32 v17, v18, v17
	v_mul_f32_e32 v18, v19, v17
	s_delay_alu instid0(VALU_DEP_1) | instskip(NEXT) | instid1(VALU_DEP_1)
	v_fma_f32 v20, v3, v18, v19
	v_fmac_f32_e32 v18, v20, v17
	s_delay_alu instid0(VALU_DEP_1) | instskip(NEXT) | instid1(VALU_DEP_1)
	v_fmac_f32_e32 v19, v3, v18
	v_div_fmas_f32 v3, v19, v17, v18
	v_pk_fma_f32 v[18:19], v[16:17], v[0:1], v[0:1] op_sel:[0,1,0] op_sel_hi:[0,0,1] neg_lo:[1,0,0] neg_hi:[1,0,0]
	v_pk_fma_f32 v[0:1], v[16:17], v[0:1], v[0:1] op_sel:[0,1,0] op_sel_hi:[1,0,1]
	s_delay_alu instid0(VALU_DEP_3) | instskip(NEXT) | instid1(VALU_DEP_3)
	v_div_fixup_f32 v2, v3, v2, 1.0
	v_mov_b32_e32 v1, v19
	s_delay_alu instid0(VALU_DEP_1)
	v_pk_mul_f32 v[16:17], v[0:1], v[2:3] op_sel_hi:[1,0]
.LBB142_76:                             ;   in Loop: Header=BB142_57 Depth=2
	s_add_co_i32 s30, s18, -4
	s_sub_co_i32 s3, s3, 32
	s_cmp_lt_i32 s18, 7
	ds_store_b64 v27, v[16:17]
	s_cbranch_scc1 .LBB142_78
; %bb.77:                               ;   in Loop: Header=BB142_57 Depth=2
	s_mov_b32 s18, s30
	s_branch .LBB142_57
.LBB142_78:                             ;   in Loop: Header=BB142_3 Depth=1
	s_cmp_lt_i32 s30, 0
	s_cbranch_scc1 .LBB142_87
; %bb.79:                               ;   in Loop: Header=BB142_3 Depth=1
	s_lshl_b32 s3, s30, 3
	s_delay_alu instid0(SALU_CYCLE_1)
	s_add_co_i32 s3, s46, s3
	s_branch .LBB142_81
.LBB142_80:                             ;   in Loop: Header=BB142_81 Depth=2
	s_add_co_i32 s18, s30, -1
	s_add_co_i32 s3, s3, -8
	s_cmp_lt_i32 s30, 1
	s_mov_b32 s30, s18
	ds_store_b64 v18, v[16:17]
	s_cbranch_scc1 .LBB142_87
.LBB142_81:                             ;   Parent Loop BB142_3 Depth=1
                                        ; =>  This Loop Header: Depth=2
                                        ;       Child Loop BB142_82 Depth 3
	s_lshl_b32 s18, s30, 6
	s_cmp_le_i32 s38, s30
	v_dual_add_nc_u32 v18, s18, v24 :: v_dual_mov_b32 v2, v5
	s_mov_b32 s31, s3
	s_mov_b32 s34, s38
	ds_load_b64 v[0:1], v18
	s_cbranch_scc1 .LBB142_83
.LBB142_82:                             ;   Parent Loop BB142_3 Depth=1
                                        ;     Parent Loop BB142_81 Depth=2
                                        ; =>    This Inner Loop Header: Depth=3
	v_mov_b32_e32 v3, s31
	s_add_co_i32 s34, s34, -1
	s_sub_co_i32 s31, s31, 64
	s_cmp_le_i32 s34, s30
	ds_load_b64 v[16:17], v2
	ds_load_b64 v[20:21], v3
	v_subrev_nc_u32_e32 v2, 64, v2
	s_wait_dscnt 0x0
	v_pk_mul_f32 v[22:23], v[20:21], v[16:17] op_sel:[1,1] op_sel_hi:[0,1]
	s_delay_alu instid0(VALU_DEP_1) | instskip(SKIP_1) | instid1(VALU_DEP_2)
	v_pk_fma_f32 v[28:29], v[20:21], v[16:17], v[22:23] op_sel_hi:[1,0,1]
	v_pk_fma_f32 v[16:17], v[20:21], v[16:17], v[22:23] op_sel_hi:[1,0,1] neg_lo:[0,0,1] neg_hi:[0,0,1]
	v_mov_b32_e32 v17, v29
	s_delay_alu instid0(VALU_DEP_1)
	v_pk_add_f32 v[0:1], v[0:1], v[16:17] neg_lo:[0,1] neg_hi:[0,1]
	s_cbranch_scc0 .LBB142_82
.LBB142_83:                             ;   in Loop: Header=BB142_81 Depth=2
	s_lshl_b32 s31, s30, 3
	s_delay_alu instid0(SALU_CYCLE_1) | instskip(NEXT) | instid1(SALU_CYCLE_1)
	s_add_co_i32 s18, s31, s18
	v_mov_b32_e32 v2, s18
	s_mov_b32 s18, -1
	ds_load_b64 v[2:3], v2
	s_wait_dscnt 0x0
	v_and_b32_e32 v16, 0x7fffffff, v2
	v_and_b32_e32 v17, 0x7fffffff, v3
	s_delay_alu instid0(VALU_DEP_1)
	v_cmp_ngt_f32_e32 vcc_lo, v16, v17
                                        ; implicit-def: $vgpr16_vgpr17
	s_cbranch_vccz .LBB142_85
; %bb.84:                               ;   in Loop: Header=BB142_81 Depth=2
	v_div_scale_f32 v16, null, v3, v3, v2
	v_div_scale_f32 v20, vcc_lo, v2, v3, v2
	s_mov_b32 s18, 0
	v_rcp_f32_e32 v17, v16
	v_nop
	v_xor_b32_e32 v16, 0x80000000, v16
	s_delay_alu instid0(TRANS32_DEP_1) | instid1(VALU_DEP_1)
	v_fma_f32 v19, v16, v17, 1.0
	s_delay_alu instid0(VALU_DEP_1) | instskip(NEXT) | instid1(VALU_DEP_1)
	v_fmac_f32_e32 v17, v19, v17
	v_mul_f32_e32 v19, v20, v17
	s_delay_alu instid0(VALU_DEP_1) | instskip(NEXT) | instid1(VALU_DEP_1)
	v_fma_f32 v21, v16, v19, v20
	v_fmac_f32_e32 v19, v21, v17
	s_delay_alu instid0(VALU_DEP_1) | instskip(NEXT) | instid1(VALU_DEP_1)
	v_fmac_f32_e32 v20, v16, v19
	v_div_fmas_f32 v16, v20, v17, v19
	s_delay_alu instid0(VALU_DEP_1) | instskip(NEXT) | instid1(VALU_DEP_1)
	v_div_fixup_f32 v16, v16, v3, v2
	v_fma_f32 v19, v2, v16, v3
	s_delay_alu instid0(VALU_DEP_1) | instskip(SKIP_1) | instid1(VALU_DEP_2)
	v_div_scale_f32 v17, null, v19, v19, 1.0
	v_div_scale_f32 v22, vcc_lo, 1.0, v19, 1.0
	v_rcp_f32_e32 v20, v17
	v_nop
	v_xor_b32_e32 v17, 0x80000000, v17
	s_delay_alu instid0(TRANS32_DEP_1) | instid1(VALU_DEP_1)
	v_fma_f32 v21, v17, v20, 1.0
	s_delay_alu instid0(VALU_DEP_1) | instskip(NEXT) | instid1(VALU_DEP_1)
	v_fmac_f32_e32 v20, v21, v20
	v_mul_f32_e32 v21, v22, v20
	s_delay_alu instid0(VALU_DEP_1) | instskip(NEXT) | instid1(VALU_DEP_1)
	v_fma_f32 v23, v17, v21, v22
	v_fmac_f32_e32 v21, v23, v20
	s_delay_alu instid0(VALU_DEP_1) | instskip(NEXT) | instid1(VALU_DEP_1)
	v_fmac_f32_e32 v22, v17, v21
	v_div_fmas_f32 v22, v22, v20, v21
	v_pk_fma_f32 v[20:21], v[0:1], v[16:17], v[0:1] op_sel:[0,0,1] op_sel_hi:[1,0,0] neg_lo:[0,0,1] neg_hi:[0,0,1]
	v_pk_fma_f32 v[16:17], v[0:1], v[16:17], v[0:1] op_sel:[0,0,1] op_sel_hi:[1,0,0]
	s_delay_alu instid0(VALU_DEP_3) | instskip(NEXT) | instid1(VALU_DEP_3)
	v_div_fixup_f32 v20, v22, v19, 1.0
	v_mov_b32_e32 v17, v21
	s_delay_alu instid0(VALU_DEP_1)
	v_pk_mul_f32 v[16:17], v[16:17], v[20:21] op_sel_hi:[1,0]
.LBB142_85:                             ;   in Loop: Header=BB142_81 Depth=2
	s_and_not1_b32 vcc_lo, exec_lo, s18
	s_cbranch_vccnz .LBB142_80
; %bb.86:                               ;   in Loop: Header=BB142_81 Depth=2
	v_div_scale_f32 v16, null, v2, v2, v3
	v_div_scale_f32 v20, vcc_lo, v3, v2, v3
	s_delay_alu instid0(VALU_DEP_2)
	v_rcp_f32_e32 v17, v16
	v_nop
	v_xor_b32_e32 v16, 0x80000000, v16
	s_delay_alu instid0(TRANS32_DEP_1) | instid1(VALU_DEP_1)
	v_fma_f32 v19, v16, v17, 1.0
	s_delay_alu instid0(VALU_DEP_1) | instskip(NEXT) | instid1(VALU_DEP_1)
	v_fmac_f32_e32 v17, v19, v17
	v_mul_f32_e32 v19, v20, v17
	s_delay_alu instid0(VALU_DEP_1) | instskip(NEXT) | instid1(VALU_DEP_1)
	v_fma_f32 v21, v16, v19, v20
	v_fmac_f32_e32 v19, v21, v17
	s_delay_alu instid0(VALU_DEP_1) | instskip(NEXT) | instid1(VALU_DEP_1)
	v_fmac_f32_e32 v20, v16, v19
	v_div_fmas_f32 v16, v20, v17, v19
	s_delay_alu instid0(VALU_DEP_1) | instskip(NEXT) | instid1(VALU_DEP_1)
	v_div_fixup_f32 v16, v16, v2, v3
	v_fmac_f32_e32 v2, v3, v16
	s_delay_alu instid0(VALU_DEP_1) | instskip(SKIP_1) | instid1(VALU_DEP_2)
	v_div_scale_f32 v3, null, v2, v2, 1.0
	v_div_scale_f32 v20, vcc_lo, 1.0, v2, 1.0
	v_rcp_f32_e32 v17, v3
	v_nop
	v_xor_b32_e32 v3, 0x80000000, v3
	s_delay_alu instid0(TRANS32_DEP_1) | instid1(VALU_DEP_1)
	v_fma_f32 v19, v3, v17, 1.0
	s_delay_alu instid0(VALU_DEP_1) | instskip(NEXT) | instid1(VALU_DEP_1)
	v_fmac_f32_e32 v17, v19, v17
	v_mul_f32_e32 v19, v20, v17
	s_delay_alu instid0(VALU_DEP_1) | instskip(NEXT) | instid1(VALU_DEP_1)
	v_fma_f32 v21, v3, v19, v20
	v_fmac_f32_e32 v19, v21, v17
	s_delay_alu instid0(VALU_DEP_1) | instskip(NEXT) | instid1(VALU_DEP_1)
	v_fmac_f32_e32 v20, v3, v19
	v_div_fmas_f32 v3, v20, v17, v19
	v_pk_fma_f32 v[20:21], v[0:1], v[16:17], v[0:1] op_sel:[1,0,0] op_sel_hi:[0,0,1] neg_lo:[1,0,0] neg_hi:[1,0,0]
	v_pk_fma_f32 v[0:1], v[0:1], v[16:17], v[0:1] op_sel:[1,0,0] op_sel_hi:[0,0,1]
	s_delay_alu instid0(VALU_DEP_3) | instskip(NEXT) | instid1(VALU_DEP_3)
	v_div_fixup_f32 v2, v3, v2, 1.0
	v_mov_b32_e32 v1, v21
	s_delay_alu instid0(VALU_DEP_1)
	v_pk_mul_f32 v[16:17], v[0:1], v[2:3] op_sel_hi:[1,0]
	s_branch .LBB142_80
.LBB142_87:                             ;   in Loop: Header=BB142_3 Depth=1
	s_mov_b32 s3, 0
.LBB142_88:                             ;   in Loop: Header=BB142_3 Depth=1
	s_delay_alu instid0(SALU_CYCLE_1)
	s_and_not1_b32 vcc_lo, exec_lo, s3
	s_cbranch_vccnz .LBB142_120
; %bb.89:                               ;   in Loop: Header=BB142_3 Depth=1
	s_mov_b32 s30, s38
	s_and_not1_b32 vcc_lo, exec_lo, s42
	s_mov_b32 s3, s47
	s_mov_b32 s18, s38
	s_cbranch_vccnz .LBB142_111
.LBB142_90:                             ;   Parent Loop BB142_3 Depth=1
                                        ; =>  This Loop Header: Depth=2
                                        ;       Child Loop BB142_91 Depth 3
	s_add_co_i32 s30, s18, -1
	v_lshl_add_u32 v30, s18, 6, v24
	s_add_co_i32 s31, s18, -2
	v_lshl_add_u32 v29, s30, 6, v24
	s_add_co_i32 s35, s18, -3
	v_lshl_add_u32 v28, s31, 6, v24
	v_lshl_add_u32 v27, s35, 6, v24
	ds_load_b64 v[0:1], v30
	ds_load_b64 v[22:23], v29
	;; [unrolled: 1-line block ×4, first 2 shown]
	v_mov_b32_e32 v2, v5
	s_cmp_le_i32 s38, s18
	s_mov_b32 s34, s3
	s_mov_b32 s49, s38
	s_cbranch_scc1 .LBB142_92
.LBB142_91:                             ;   Parent Loop BB142_3 Depth=1
                                        ;     Parent Loop BB142_90 Depth=2
                                        ; =>    This Inner Loop Header: Depth=3
	v_mov_b32_e32 v3, s34
	s_add_co_i32 s49, s49, -1
	s_add_co_i32 s34, s34, -8
	s_cmp_le_i32 s49, s18
	ds_load_b64 v[20:21], v2
	ds_load_2addr_b64 v[32:35], v3 offset1:8
	ds_load_2addr_b64 v[36:39], v3 offset0:16 offset1:24
	v_subrev_nc_u32_e32 v2, 64, v2
	s_wait_dscnt 0x1
	v_pk_mul_f32 v[40:41], v[34:35], v[20:21] op_sel:[0,1]
	s_wait_dscnt 0x0
	v_dual_mul_f32 v3, v39, v21 :: v_dual_mul_f32 v44, v37, v21
	v_dual_mul_f32 v31, v38, v21 :: v_dual_mul_f32 v45, v37, v20
	v_pk_mul_f32 v[42:43], v[32:33], v[20:21] op_sel:[0,1]
	s_delay_alu instid0(VALU_DEP_3) | instskip(NEXT) | instid1(VALU_DEP_3)
	v_dual_fma_f32 v3, v38, v20, -v3 :: v_dual_fma_f32 v44, v36, v20, -v44
	v_dual_fmac_f32 v31, v39, v20 :: v_dual_fmac_f32 v45, v36, v21
	v_pk_fma_f32 v[36:37], v[34:35], v[20:21], v[40:41] op_sel:[0,0,1] op_sel_hi:[1,0,0]
	s_delay_alu instid0(VALU_DEP_4) | instskip(SKIP_2) | instid1(VALU_DEP_4)
	v_pk_fma_f32 v[38:39], v[32:33], v[20:21], v[42:43] op_sel:[0,0,1] op_sel_hi:[1,0,0]
	v_pk_fma_f32 v[34:35], v[34:35], v[20:21], v[40:41] op_sel:[0,0,1] op_sel_hi:[1,1,0] neg_lo:[0,0,1] neg_hi:[0,0,1]
	v_pk_fma_f32 v[20:21], v[32:33], v[20:21], v[42:43] op_sel:[0,0,1] op_sel_hi:[1,1,0] neg_lo:[0,0,1] neg_hi:[0,0,1]
	v_dual_sub_f32 v0, v0, v3 :: v_dual_mov_b32 v35, v37
	s_delay_alu instid0(VALU_DEP_4) | instskip(SKIP_1) | instid1(VALU_DEP_3)
	v_dual_mov_b32 v21, v39 :: v_dual_sub_f32 v1, v1, v31
	v_dual_sub_f32 v22, v22, v44 :: v_dual_sub_f32 v23, v23, v45
	v_pk_add_f32 v[18:19], v[18:19], v[34:35] neg_lo:[0,1] neg_hi:[0,1]
	s_delay_alu instid0(VALU_DEP_3)
	v_pk_add_f32 v[16:17], v[16:17], v[20:21] neg_lo:[0,1] neg_hi:[0,1]
	s_cbranch_scc0 .LBB142_91
.LBB142_92:                             ;   in Loop: Header=BB142_90 Depth=2
	s_lshl_b32 s34, s30, 3
	s_lshl_b32 s31, s31, 3
	;; [unrolled: 1-line block ×3, first 2 shown]
; %bb.93:                               ;   in Loop: Header=BB142_90 Depth=2
	s_mul_i32 s35, s18, 0x48
	s_delay_alu instid0(SALU_CYCLE_1)
	v_mov_b32_e32 v2, s35
	s_mov_b32 s35, -1
	ds_load_b64 v[2:3], v2
	s_wait_dscnt 0x0
	v_and_b32_e32 v20, 0x7fffffff, v2
	v_and_b32_e32 v21, 0x7fffffff, v3
	s_delay_alu instid0(VALU_DEP_1)
	v_cmp_ngt_f32_e32 vcc_lo, v20, v21
                                        ; implicit-def: $vgpr21
	s_cbranch_vccz .LBB142_95
; %bb.94:                               ;   in Loop: Header=BB142_90 Depth=2
	v_div_scale_f32 v20, null, v3, v3, v2
	v_div_scale_f32 v32, vcc_lo, v2, v3, v2
	s_mov_b32 s35, 0
	v_rcp_f32_e32 v21, v20
	v_nop
	v_xor_b32_e32 v20, 0x80000000, v20
	s_delay_alu instid0(TRANS32_DEP_1) | instid1(VALU_DEP_1)
	v_fma_f32 v31, v20, v21, 1.0
	s_delay_alu instid0(VALU_DEP_1) | instskip(NEXT) | instid1(VALU_DEP_1)
	v_fmac_f32_e32 v21, v31, v21
	v_mul_f32_e32 v31, v32, v21
	s_delay_alu instid0(VALU_DEP_1) | instskip(NEXT) | instid1(VALU_DEP_1)
	v_fma_f32 v33, v20, v31, v32
	v_fmac_f32_e32 v31, v33, v21
	s_delay_alu instid0(VALU_DEP_1) | instskip(NEXT) | instid1(VALU_DEP_1)
	v_fmac_f32_e32 v32, v20, v31
	v_div_fmas_f32 v20, v32, v21, v31
	s_delay_alu instid0(VALU_DEP_1) | instskip(NEXT) | instid1(VALU_DEP_1)
	v_div_fixup_f32 v20, v20, v3, v2
	v_fma_f32 v21, v2, v20, v3
	s_delay_alu instid0(VALU_DEP_1) | instskip(SKIP_1) | instid1(VALU_DEP_2)
	v_div_scale_f32 v31, null, v21, v21, 1.0
	v_div_scale_f32 v34, vcc_lo, 1.0, v21, 1.0
	v_rcp_f32_e32 v32, v31
	v_nop
	v_xor_b32_e32 v31, 0x80000000, v31
	s_delay_alu instid0(TRANS32_DEP_1) | instid1(VALU_DEP_1)
	v_fma_f32 v33, v31, v32, 1.0
	s_delay_alu instid0(VALU_DEP_1) | instskip(NEXT) | instid1(VALU_DEP_1)
	v_fmac_f32_e32 v32, v33, v32
	v_mul_f32_e32 v33, v34, v32
	s_delay_alu instid0(VALU_DEP_1) | instskip(NEXT) | instid1(VALU_DEP_1)
	v_fma_f32 v35, v31, v33, v34
	v_fmac_f32_e32 v33, v35, v32
	s_delay_alu instid0(VALU_DEP_1) | instskip(NEXT) | instid1(VALU_DEP_1)
	v_fmac_f32_e32 v34, v31, v33
	v_div_fmas_f32 v31, v34, v32, v33
	v_fma_f32 v32, v0, v20, v1
	s_delay_alu instid0(VALU_DEP_2) | instskip(NEXT) | instid1(VALU_DEP_1)
	v_div_fixup_f32 v21, v31, v21, 1.0
	v_dual_fma_f32 v31, v1, v20, -v0 :: v_dual_mul_f32 v20, v32, v21
	s_delay_alu instid0(VALU_DEP_1)
	v_mul_f32_e32 v21, v31, v21
.LBB142_95:                             ;   in Loop: Header=BB142_90 Depth=2
	s_and_not1_b32 vcc_lo, exec_lo, s35
	s_cbranch_vccnz .LBB142_97
; %bb.96:                               ;   in Loop: Header=BB142_90 Depth=2
	v_div_scale_f32 v20, null, v2, v2, v3
	v_div_scale_f32 v32, vcc_lo, v3, v2, v3
	s_delay_alu instid0(VALU_DEP_2)
	v_rcp_f32_e32 v21, v20
	v_nop
	v_xor_b32_e32 v20, 0x80000000, v20
	s_delay_alu instid0(TRANS32_DEP_1) | instid1(VALU_DEP_1)
	v_fma_f32 v31, v20, v21, 1.0
	s_delay_alu instid0(VALU_DEP_1) | instskip(NEXT) | instid1(VALU_DEP_1)
	v_fmac_f32_e32 v21, v31, v21
	v_mul_f32_e32 v31, v32, v21
	s_delay_alu instid0(VALU_DEP_1) | instskip(NEXT) | instid1(VALU_DEP_1)
	v_fma_f32 v33, v20, v31, v32
	v_fmac_f32_e32 v31, v33, v21
	s_delay_alu instid0(VALU_DEP_1) | instskip(NEXT) | instid1(VALU_DEP_1)
	v_fmac_f32_e32 v32, v20, v31
	v_div_fmas_f32 v20, v32, v21, v31
	s_delay_alu instid0(VALU_DEP_1) | instskip(NEXT) | instid1(VALU_DEP_1)
	v_div_fixup_f32 v20, v20, v2, v3
	v_fmac_f32_e32 v2, v3, v20
	s_delay_alu instid0(VALU_DEP_1) | instskip(SKIP_1) | instid1(VALU_DEP_2)
	v_div_scale_f32 v3, null, v2, v2, 1.0
	v_div_scale_f32 v32, vcc_lo, 1.0, v2, 1.0
	v_rcp_f32_e32 v21, v3
	v_nop
	v_xor_b32_e32 v3, 0x80000000, v3
	s_delay_alu instid0(TRANS32_DEP_1) | instid1(VALU_DEP_1)
	v_fma_f32 v31, v3, v21, 1.0
	s_delay_alu instid0(VALU_DEP_1) | instskip(NEXT) | instid1(VALU_DEP_1)
	v_fmac_f32_e32 v21, v31, v21
	v_mul_f32_e32 v31, v32, v21
	s_delay_alu instid0(VALU_DEP_1) | instskip(NEXT) | instid1(VALU_DEP_1)
	v_fma_f32 v33, v3, v31, v32
	v_fmac_f32_e32 v31, v33, v21
	s_delay_alu instid0(VALU_DEP_1) | instskip(NEXT) | instid1(VALU_DEP_1)
	v_fmac_f32_e32 v32, v3, v31
	v_div_fmas_f32 v3, v32, v21, v31
	v_dual_fma_f32 v21, v1, v20, v0 :: v_dual_fma_f32 v0, -v0, v20, v1
	s_delay_alu instid0(VALU_DEP_2) | instskip(NEXT) | instid1(VALU_DEP_1)
	v_div_fixup_f32 v2, v3, v2, 1.0
	v_dual_mul_f32 v20, v21, v2 :: v_dual_mul_f32 v21, v0, v2
.LBB142_97:                             ;   in Loop: Header=BB142_90 Depth=2
	s_lshl_b32 s35, s34, 3
	ds_store_b64 v30, v[20:21]
	s_add_co_i32 s34, s35, s34
	s_delay_alu instid0(SALU_CYCLE_1)
	v_mov_b32_e32 v0, s34
	s_mov_b32 s34, -1
	ds_load_2addr_b64 v[0:3], v0 offset1:1
	s_wait_dscnt 0x0
	v_dual_mul_f32 v31, v21, v3 :: v_dual_mul_f32 v3, v20, v3
	v_and_b32_e32 v32, 0x7fffffff, v0
	v_and_b32_e32 v33, 0x7fffffff, v1
	s_delay_alu instid0(VALU_DEP_3) | instskip(NEXT) | instid1(VALU_DEP_4)
	v_fma_f32 v31, v20, v2, -v31
	v_fmac_f32_e32 v3, v21, v2
	s_delay_alu instid0(VALU_DEP_3) | instskip(NEXT) | instid1(VALU_DEP_3)
	v_cmp_ngt_f32_e32 vcc_lo, v32, v33
	v_sub_f32_e32 v2, v22, v31
	s_delay_alu instid0(VALU_DEP_3)
	v_sub_f32_e32 v3, v23, v3
                                        ; implicit-def: $vgpr23
	s_cbranch_vccz .LBB142_99
; %bb.98:                               ;   in Loop: Header=BB142_90 Depth=2
	v_div_scale_f32 v22, null, v1, v1, v0
	v_div_scale_f32 v31, vcc_lo, v0, v1, v0
	s_mov_b32 s34, 0
	v_rcp_f32_e32 v23, v22
	v_nop
	v_xor_b32_e32 v22, 0x80000000, v22
	s_delay_alu instid0(TRANS32_DEP_1) | instid1(VALU_DEP_1)
	v_fma_f32 v30, v22, v23, 1.0
	s_delay_alu instid0(VALU_DEP_1) | instskip(NEXT) | instid1(VALU_DEP_1)
	v_fmac_f32_e32 v23, v30, v23
	v_mul_f32_e32 v30, v31, v23
	s_delay_alu instid0(VALU_DEP_1) | instskip(NEXT) | instid1(VALU_DEP_1)
	v_fma_f32 v32, v22, v30, v31
	v_fmac_f32_e32 v30, v32, v23
	s_delay_alu instid0(VALU_DEP_1) | instskip(NEXT) | instid1(VALU_DEP_1)
	v_fmac_f32_e32 v31, v22, v30
	v_div_fmas_f32 v22, v31, v23, v30
	s_delay_alu instid0(VALU_DEP_1) | instskip(NEXT) | instid1(VALU_DEP_1)
	v_div_fixup_f32 v22, v22, v1, v0
	v_fma_f32 v23, v0, v22, v1
	s_delay_alu instid0(VALU_DEP_1) | instskip(SKIP_1) | instid1(VALU_DEP_2)
	v_div_scale_f32 v30, null, v23, v23, 1.0
	v_div_scale_f32 v33, vcc_lo, 1.0, v23, 1.0
	v_rcp_f32_e32 v31, v30
	v_nop
	v_xor_b32_e32 v30, 0x80000000, v30
	s_delay_alu instid0(TRANS32_DEP_1) | instid1(VALU_DEP_1)
	v_fma_f32 v32, v30, v31, 1.0
	s_delay_alu instid0(VALU_DEP_1) | instskip(NEXT) | instid1(VALU_DEP_1)
	v_fmac_f32_e32 v31, v32, v31
	v_mul_f32_e32 v32, v33, v31
	s_delay_alu instid0(VALU_DEP_1) | instskip(NEXT) | instid1(VALU_DEP_1)
	v_fma_f32 v34, v30, v32, v33
	v_fmac_f32_e32 v32, v34, v31
	s_delay_alu instid0(VALU_DEP_1) | instskip(NEXT) | instid1(VALU_DEP_1)
	v_fmac_f32_e32 v33, v30, v32
	v_div_fmas_f32 v30, v33, v31, v32
	v_fma_f32 v31, v22, v2, v3
	s_delay_alu instid0(VALU_DEP_2) | instskip(SKIP_1) | instid1(VALU_DEP_1)
	v_div_fixup_f32 v23, v30, v23, 1.0
	v_fma_f32 v30, v22, v3, -v2
	v_dual_mul_f32 v22, v31, v23 :: v_dual_mul_f32 v23, v30, v23
.LBB142_99:                             ;   in Loop: Header=BB142_90 Depth=2
	s_and_not1_b32 vcc_lo, exec_lo, s34
	s_cbranch_vccnz .LBB142_101
; %bb.100:                              ;   in Loop: Header=BB142_90 Depth=2
	v_div_scale_f32 v22, null, v0, v0, v1
	v_div_scale_f32 v31, vcc_lo, v1, v0, v1
	s_delay_alu instid0(VALU_DEP_2)
	v_rcp_f32_e32 v23, v22
	v_nop
	v_xor_b32_e32 v22, 0x80000000, v22
	s_delay_alu instid0(TRANS32_DEP_1) | instid1(VALU_DEP_1)
	v_fma_f32 v30, v22, v23, 1.0
	s_delay_alu instid0(VALU_DEP_1) | instskip(NEXT) | instid1(VALU_DEP_1)
	v_fmac_f32_e32 v23, v30, v23
	v_mul_f32_e32 v30, v31, v23
	s_delay_alu instid0(VALU_DEP_1) | instskip(NEXT) | instid1(VALU_DEP_1)
	v_fma_f32 v32, v22, v30, v31
	v_fmac_f32_e32 v30, v32, v23
	s_delay_alu instid0(VALU_DEP_1) | instskip(NEXT) | instid1(VALU_DEP_1)
	v_fmac_f32_e32 v31, v22, v30
	v_div_fmas_f32 v22, v31, v23, v30
	s_delay_alu instid0(VALU_DEP_1) | instskip(NEXT) | instid1(VALU_DEP_1)
	v_div_fixup_f32 v22, v22, v0, v1
	v_fmac_f32_e32 v0, v1, v22
	s_delay_alu instid0(VALU_DEP_1) | instskip(SKIP_1) | instid1(VALU_DEP_2)
	v_div_scale_f32 v1, null, v0, v0, 1.0
	v_div_scale_f32 v31, vcc_lo, 1.0, v0, 1.0
	v_rcp_f32_e32 v23, v1
	v_nop
	v_xor_b32_e32 v1, 0x80000000, v1
	s_delay_alu instid0(TRANS32_DEP_1) | instid1(VALU_DEP_1)
	v_fma_f32 v30, v1, v23, 1.0
	s_delay_alu instid0(VALU_DEP_1) | instskip(NEXT) | instid1(VALU_DEP_1)
	v_fmac_f32_e32 v23, v30, v23
	v_mul_f32_e32 v30, v31, v23
	s_delay_alu instid0(VALU_DEP_1) | instskip(NEXT) | instid1(VALU_DEP_1)
	v_fma_f32 v32, v1, v30, v31
	v_fmac_f32_e32 v30, v32, v23
	s_delay_alu instid0(VALU_DEP_1) | instskip(NEXT) | instid1(VALU_DEP_1)
	v_fmac_f32_e32 v31, v1, v30
	v_div_fmas_f32 v1, v31, v23, v30
	v_fma_f32 v23, v22, v3, v2
	s_delay_alu instid0(VALU_DEP_2) | instskip(NEXT) | instid1(VALU_DEP_1)
	v_div_fixup_f32 v0, v1, v0, 1.0
	v_dual_fma_f32 v1, -v22, v2, v3 :: v_dual_mul_f32 v22, v23, v0
	s_delay_alu instid0(VALU_DEP_1)
	v_mul_f32_e32 v23, v1, v0
.LBB142_101:                            ;   in Loop: Header=BB142_90 Depth=2
	s_lshl_b32 s35, s31, 3
	s_lshl_b32 s34, s18, 3
	s_add_co_i32 s31, s35, s31
	s_add_co_i32 s49, s35, s34
	s_delay_alu instid0(SALU_CYCLE_1)
	v_dual_mov_b32 v32, v21 :: v_dual_mov_b32 v0, s49
	ds_store_b64 v29, v[22:23]
	v_mov_b32_e32 v34, v23
	ds_load_b64 v[30:31], v0
	v_mov_b32_e32 v0, s31
	s_mov_b32 s31, -1
	ds_load_2addr_b64 v[0:3], v0 offset1:1
	s_wait_dscnt 0x1
	v_pk_mul_f32 v[32:33], v[32:33], v[30:31] op_sel_hi:[0,1]
	s_delay_alu instid0(VALU_DEP_1) | instskip(SKIP_4) | instid1(VALU_DEP_3)
	v_pk_fma_f32 v[36:37], v[20:21], v[30:31], v[32:33] op_sel:[0,0,1] op_sel_hi:[0,1,0]
	s_wait_dscnt 0x0
	v_pk_mul_f32 v[34:35], v[34:35], v[2:3] op_sel_hi:[0,1]
	v_pk_fma_f32 v[30:31], v[20:21], v[30:31], v[32:33] op_sel:[0,0,1] op_sel_hi:[1,1,0] neg_lo:[0,0,1] neg_hi:[0,0,1]
	v_and_b32_e32 v36, 0x7fffffff, v1
	v_pk_fma_f32 v[32:33], v[22:23], v[2:3], v[34:35] op_sel:[0,0,1] op_sel_hi:[0,1,0]
	v_mov_b32_e32 v31, v37
	v_and_b32_e32 v32, 0x7fffffff, v0
	v_pk_fma_f32 v[2:3], v[22:23], v[2:3], v[34:35] op_sel:[0,0,1] op_sel_hi:[1,1,0] neg_lo:[0,0,1] neg_hi:[0,0,1]
	s_delay_alu instid0(VALU_DEP_4) | instskip(NEXT) | instid1(VALU_DEP_4)
	v_mov_b32_e32 v3, v33
	v_pk_add_f32 v[18:19], v[18:19], v[30:31] neg_lo:[0,1] neg_hi:[0,1]
	s_delay_alu instid0(VALU_DEP_4) | instskip(NEXT) | instid1(VALU_DEP_2)
	v_cmp_ngt_f32_e32 vcc_lo, v32, v36
	v_pk_add_f32 v[2:3], v[18:19], v[2:3] neg_lo:[0,1] neg_hi:[0,1]
                                        ; implicit-def: $vgpr18_vgpr19
	s_cbranch_vccz .LBB142_103
; %bb.102:                              ;   in Loop: Header=BB142_90 Depth=2
	v_div_scale_f32 v18, null, v1, v1, v0
	v_div_scale_f32 v30, vcc_lo, v0, v1, v0
	s_mov_b32 s31, 0
	v_rcp_f32_e32 v19, v18
	v_nop
	v_xor_b32_e32 v18, 0x80000000, v18
	s_delay_alu instid0(TRANS32_DEP_1) | instid1(VALU_DEP_1)
	v_fma_f32 v29, v18, v19, 1.0
	s_delay_alu instid0(VALU_DEP_1) | instskip(NEXT) | instid1(VALU_DEP_1)
	v_fmac_f32_e32 v19, v29, v19
	v_mul_f32_e32 v29, v30, v19
	s_delay_alu instid0(VALU_DEP_1) | instskip(NEXT) | instid1(VALU_DEP_1)
	v_fma_f32 v31, v18, v29, v30
	v_fmac_f32_e32 v29, v31, v19
	s_delay_alu instid0(VALU_DEP_1) | instskip(NEXT) | instid1(VALU_DEP_1)
	v_fmac_f32_e32 v30, v18, v29
	v_div_fmas_f32 v18, v30, v19, v29
	s_delay_alu instid0(VALU_DEP_1) | instskip(NEXT) | instid1(VALU_DEP_1)
	v_div_fixup_f32 v18, v18, v1, v0
	v_fma_f32 v19, v0, v18, v1
	s_delay_alu instid0(VALU_DEP_1) | instskip(SKIP_1) | instid1(VALU_DEP_2)
	v_div_scale_f32 v29, null, v19, v19, 1.0
	v_div_scale_f32 v32, vcc_lo, 1.0, v19, 1.0
	v_rcp_f32_e32 v31, v29
	v_nop
	v_xor_b32_e32 v29, 0x80000000, v29
	s_delay_alu instid0(TRANS32_DEP_1) | instid1(VALU_DEP_1)
	v_fma_f32 v30, v29, v31, 1.0
	s_delay_alu instid0(VALU_DEP_1) | instskip(NEXT) | instid1(VALU_DEP_1)
	v_fmac_f32_e32 v31, v30, v31
	v_mul_f32_e32 v33, v32, v31
	s_delay_alu instid0(VALU_DEP_1) | instskip(NEXT) | instid1(VALU_DEP_1)
	v_fma_f32 v30, v29, v33, v32
	v_dual_fmac_f32 v33, v30, v31 :: v_dual_mov_b32 v30, v3
	s_delay_alu instid0(VALU_DEP_1) | instskip(NEXT) | instid1(VALU_DEP_1)
	v_fmac_f32_e32 v32, v29, v33
	v_div_fmas_f32 v29, v32, v31, v33
	s_delay_alu instid0(VALU_DEP_3) | instskip(NEXT) | instid1(VALU_DEP_2)
	v_pk_fma_f32 v[30:31], v[18:19], v[2:3], v[30:31]
	v_div_fixup_f32 v31, v29, v19, 1.0
	s_delay_alu instid0(VALU_DEP_1) | instskip(NEXT) | instid1(VALU_DEP_1)
	v_dual_fma_f32 v19, v18, v3, -v2 :: v_dual_mov_b32 v18, v31
	v_pk_mul_f32 v[18:19], v[30:31], v[18:19]
.LBB142_103:                            ;   in Loop: Header=BB142_90 Depth=2
	s_and_not1_b32 vcc_lo, exec_lo, s31
	s_cbranch_vccnz .LBB142_105
; %bb.104:                              ;   in Loop: Header=BB142_90 Depth=2
	v_div_scale_f32 v18, null, v0, v0, v1
	v_div_scale_f32 v30, vcc_lo, v1, v0, v1
	s_delay_alu instid0(VALU_DEP_2)
	v_rcp_f32_e32 v19, v18
	v_nop
	v_xor_b32_e32 v18, 0x80000000, v18
	s_delay_alu instid0(TRANS32_DEP_1) | instid1(VALU_DEP_1)
	v_fma_f32 v29, v18, v19, 1.0
	s_delay_alu instid0(VALU_DEP_1) | instskip(NEXT) | instid1(VALU_DEP_1)
	v_fmac_f32_e32 v19, v29, v19
	v_mul_f32_e32 v29, v30, v19
	s_delay_alu instid0(VALU_DEP_1) | instskip(NEXT) | instid1(VALU_DEP_1)
	v_fma_f32 v31, v18, v29, v30
	v_fmac_f32_e32 v29, v31, v19
	s_delay_alu instid0(VALU_DEP_1) | instskip(NEXT) | instid1(VALU_DEP_1)
	v_fmac_f32_e32 v30, v18, v29
	v_div_fmas_f32 v18, v30, v19, v29
	s_delay_alu instid0(VALU_DEP_1) | instskip(NEXT) | instid1(VALU_DEP_1)
	v_div_fixup_f32 v18, v18, v0, v1
	v_fmac_f32_e32 v0, v1, v18
	s_delay_alu instid0(VALU_DEP_1) | instskip(SKIP_1) | instid1(VALU_DEP_2)
	v_div_scale_f32 v1, null, v0, v0, 1.0
	v_div_scale_f32 v30, vcc_lo, 1.0, v0, 1.0
	v_rcp_f32_e32 v19, v1
	v_nop
	v_xor_b32_e32 v1, 0x80000000, v1
	s_delay_alu instid0(TRANS32_DEP_1) | instid1(VALU_DEP_1)
	v_fma_f32 v29, v1, v19, 1.0
	s_delay_alu instid0(VALU_DEP_1) | instskip(NEXT) | instid1(VALU_DEP_1)
	v_fmac_f32_e32 v19, v29, v19
	v_mul_f32_e32 v29, v30, v19
	s_delay_alu instid0(VALU_DEP_1) | instskip(NEXT) | instid1(VALU_DEP_1)
	v_fma_f32 v31, v1, v29, v30
	v_fmac_f32_e32 v29, v31, v19
	s_delay_alu instid0(VALU_DEP_1) | instskip(NEXT) | instid1(VALU_DEP_1)
	v_fmac_f32_e32 v30, v1, v29
	v_div_fmas_f32 v1, v30, v19, v29
	v_pk_fma_f32 v[30:31], v[18:19], v[2:3], v[2:3] op_sel:[0,1,0] op_sel_hi:[0,0,1] neg_lo:[1,0,0] neg_hi:[1,0,0]
	v_pk_fma_f32 v[2:3], v[18:19], v[2:3], v[2:3] op_sel:[0,1,0] op_sel_hi:[1,0,1]
	s_delay_alu instid0(VALU_DEP_3) | instskip(NEXT) | instid1(VALU_DEP_3)
	v_div_fixup_f32 v0, v1, v0, 1.0
	v_mov_b32_e32 v3, v31
	s_delay_alu instid0(VALU_DEP_1)
	v_pk_mul_f32 v[18:19], v[2:3], v[0:1] op_sel_hi:[1,0]
.LBB142_105:                            ;   in Loop: Header=BB142_90 Depth=2
	s_lshl_b32 s31, s30, 3
	v_dual_mov_b32 v34, v21 :: v_dual_mov_b32 v35, v21
	s_add_co_i32 s34, s31, s34
	s_add_co_i32 s30, s31, s30
	s_add_co_i32 s34, s34, -8
	s_delay_alu instid0(SALU_CYCLE_1)
	v_dual_mov_b32 v1, s30 :: v_dual_mov_b32 v0, s34
	v_dual_mov_b32 v36, v23 :: v_dual_mov_b32 v37, v23
	;; [unrolled: 1-line block ×3, first 2 shown]
	ds_load_2addr_b64 v[30:33], v0 offset1:1
	ds_load_2addr_b64 v[0:3], v1 offset1:1
	s_mov_b32 s30, -1
	ds_store_b64 v28, v[18:19]
	s_wait_dscnt 0x2
	v_pk_mul_f32 v[34:35], v[34:35], v[32:33]
	v_pk_mul_f32 v[36:37], v[36:37], v[30:31]
	s_wait_dscnt 0x1
	v_dual_mov_b32 v38, v3 :: v_dual_mov_b32 v39, v2
	v_and_b32_e32 v29, 0x7fffffff, v1
	v_pk_fma_f32 v[40:41], v[20:21], v[32:33], v[34:35] op_sel:[0,0,1] op_sel_hi:[1,1,0]
	v_pk_fma_f32 v[20:21], v[20:21], v[32:33], v[34:35] op_sel:[0,0,1] op_sel_hi:[1,1,0] neg_lo:[0,0,1] neg_hi:[0,0,1]
	v_pk_fma_f32 v[32:33], v[22:23], v[30:31], v[36:37] op_sel:[0,0,1] op_sel_hi:[1,1,0]
	v_pk_mul_f32 v[34:35], v[18:19], v[38:39] op_sel:[1,0]
	v_pk_fma_f32 v[22:23], v[22:23], v[30:31], v[36:37] op_sel:[0,0,1] op_sel_hi:[1,1,0] neg_lo:[0,0,1] neg_hi:[0,0,1]
	s_delay_alu instid0(VALU_DEP_3) | instskip(NEXT) | instid1(VALU_DEP_1)
	v_dual_mov_b32 v21, v41 :: v_dual_mov_b32 v23, v33
	v_pk_add_f32 v[16:17], v[16:17], v[20:21] neg_lo:[0,1] neg_hi:[0,1]
	s_delay_alu instid0(VALU_DEP_4) | instskip(SKIP_2) | instid1(VALU_DEP_4)
	v_pk_fma_f32 v[20:21], v[18:19], v[2:3], v[34:35] op_sel_hi:[0,1,1]
	v_and_b32_e32 v20, 0x7fffffff, v0
	v_pk_fma_f32 v[2:3], v[18:19], v[2:3], v[34:35] neg_lo:[0,0,1] neg_hi:[0,0,1]
	v_pk_add_f32 v[16:17], v[16:17], v[22:23] neg_lo:[0,1] neg_hi:[0,1]
	s_delay_alu instid0(VALU_DEP_4) | instskip(NEXT) | instid1(VALU_DEP_4)
	v_mov_b32_e32 v3, v21
	v_cmp_ngt_f32_e32 vcc_lo, v20, v29
	s_delay_alu instid0(VALU_DEP_2)
	v_pk_add_f32 v[2:3], v[16:17], v[2:3] neg_lo:[0,1] neg_hi:[0,1]
                                        ; implicit-def: $vgpr16_vgpr17
	s_cbranch_vccz .LBB142_107
; %bb.106:                              ;   in Loop: Header=BB142_90 Depth=2
	v_div_scale_f32 v16, null, v1, v1, v0
	v_div_scale_f32 v19, vcc_lo, v0, v1, v0
	s_mov_b32 s30, 0
	v_rcp_f32_e32 v17, v16
	v_nop
	v_xor_b32_e32 v16, 0x80000000, v16
	s_delay_alu instid0(TRANS32_DEP_1) | instid1(VALU_DEP_1)
	v_fma_f32 v18, v16, v17, 1.0
	s_delay_alu instid0(VALU_DEP_1) | instskip(NEXT) | instid1(VALU_DEP_1)
	v_fmac_f32_e32 v17, v18, v17
	v_mul_f32_e32 v18, v19, v17
	s_delay_alu instid0(VALU_DEP_1) | instskip(NEXT) | instid1(VALU_DEP_1)
	v_fma_f32 v20, v16, v18, v19
	v_fmac_f32_e32 v18, v20, v17
	s_delay_alu instid0(VALU_DEP_1) | instskip(NEXT) | instid1(VALU_DEP_1)
	v_fmac_f32_e32 v19, v16, v18
	v_div_fmas_f32 v16, v19, v17, v18
	s_delay_alu instid0(VALU_DEP_1) | instskip(NEXT) | instid1(VALU_DEP_1)
	v_div_fixup_f32 v16, v16, v1, v0
	v_fma_f32 v17, v0, v16, v1
	s_delay_alu instid0(VALU_DEP_1) | instskip(NEXT) | instid1(VALU_DEP_1)
	v_div_scale_f32 v18, null, v17, v17, 1.0
	v_rcp_f32_e32 v19, v18
	v_nop
	v_xor_b32_e32 v18, 0x80000000, v18
	s_delay_alu instid0(TRANS32_DEP_1) | instid1(VALU_DEP_1)
	v_fma_f32 v20, v18, v19, 1.0
	s_delay_alu instid0(VALU_DEP_1) | instskip(SKIP_1) | instid1(VALU_DEP_1)
	v_fmac_f32_e32 v19, v20, v19
	v_div_scale_f32 v20, vcc_lo, 1.0, v17, 1.0
	v_mul_f32_e32 v21, v20, v19
	s_delay_alu instid0(VALU_DEP_1) | instskip(NEXT) | instid1(VALU_DEP_1)
	v_fma_f32 v22, v18, v21, v20
	v_fmac_f32_e32 v21, v22, v19
	s_delay_alu instid0(VALU_DEP_1) | instskip(NEXT) | instid1(VALU_DEP_1)
	v_dual_fmac_f32 v20, v18, v21 :: v_dual_mov_b32 v18, v3
	v_div_fmas_f32 v20, v20, v19, v21
	s_delay_alu instid0(VALU_DEP_2) | instskip(NEXT) | instid1(VALU_DEP_2)
	v_pk_fma_f32 v[18:19], v[16:17], v[2:3], v[18:19]
	v_div_fixup_f32 v19, v20, v17, 1.0
	s_delay_alu instid0(VALU_DEP_1) | instskip(NEXT) | instid1(VALU_DEP_1)
	v_dual_fma_f32 v17, v16, v3, -v2 :: v_dual_mov_b32 v16, v19
	v_pk_mul_f32 v[16:17], v[18:19], v[16:17]
.LBB142_107:                            ;   in Loop: Header=BB142_90 Depth=2
	s_and_not1_b32 vcc_lo, exec_lo, s30
	s_cbranch_vccnz .LBB142_109
; %bb.108:                              ;   in Loop: Header=BB142_90 Depth=2
	v_div_scale_f32 v16, null, v0, v0, v1
	v_div_scale_f32 v19, vcc_lo, v1, v0, v1
	s_delay_alu instid0(VALU_DEP_2)
	v_rcp_f32_e32 v17, v16
	v_nop
	v_xor_b32_e32 v16, 0x80000000, v16
	s_delay_alu instid0(TRANS32_DEP_1) | instid1(VALU_DEP_1)
	v_fma_f32 v18, v16, v17, 1.0
	s_delay_alu instid0(VALU_DEP_1) | instskip(NEXT) | instid1(VALU_DEP_1)
	v_fmac_f32_e32 v17, v18, v17
	v_mul_f32_e32 v18, v19, v17
	s_delay_alu instid0(VALU_DEP_1) | instskip(NEXT) | instid1(VALU_DEP_1)
	v_fma_f32 v20, v16, v18, v19
	v_fmac_f32_e32 v18, v20, v17
	s_delay_alu instid0(VALU_DEP_1) | instskip(NEXT) | instid1(VALU_DEP_1)
	v_fmac_f32_e32 v19, v16, v18
	v_div_fmas_f32 v16, v19, v17, v18
	s_delay_alu instid0(VALU_DEP_1) | instskip(NEXT) | instid1(VALU_DEP_1)
	v_div_fixup_f32 v16, v16, v0, v1
	v_fmac_f32_e32 v0, v1, v16
	s_delay_alu instid0(VALU_DEP_1) | instskip(SKIP_1) | instid1(VALU_DEP_2)
	v_div_scale_f32 v1, null, v0, v0, 1.0
	v_div_scale_f32 v19, vcc_lo, 1.0, v0, 1.0
	v_rcp_f32_e32 v17, v1
	v_nop
	v_xor_b32_e32 v1, 0x80000000, v1
	s_delay_alu instid0(TRANS32_DEP_1) | instid1(VALU_DEP_1)
	v_fma_f32 v18, v1, v17, 1.0
	s_delay_alu instid0(VALU_DEP_1) | instskip(NEXT) | instid1(VALU_DEP_1)
	v_fmac_f32_e32 v17, v18, v17
	v_mul_f32_e32 v18, v19, v17
	s_delay_alu instid0(VALU_DEP_1) | instskip(NEXT) | instid1(VALU_DEP_1)
	v_fma_f32 v20, v1, v18, v19
	v_fmac_f32_e32 v18, v20, v17
	s_delay_alu instid0(VALU_DEP_1) | instskip(NEXT) | instid1(VALU_DEP_1)
	v_fmac_f32_e32 v19, v1, v18
	v_div_fmas_f32 v1, v19, v17, v18
	v_pk_fma_f32 v[18:19], v[16:17], v[2:3], v[2:3] op_sel:[0,1,0] op_sel_hi:[0,0,1] neg_lo:[1,0,0] neg_hi:[1,0,0]
	v_pk_fma_f32 v[2:3], v[16:17], v[2:3], v[2:3] op_sel:[0,1,0] op_sel_hi:[1,0,1]
	s_delay_alu instid0(VALU_DEP_3) | instskip(NEXT) | instid1(VALU_DEP_3)
	v_div_fixup_f32 v0, v1, v0, 1.0
	v_mov_b32_e32 v3, v19
	s_delay_alu instid0(VALU_DEP_1)
	v_pk_mul_f32 v[16:17], v[2:3], v[0:1] op_sel_hi:[1,0]
.LBB142_109:                            ;   in Loop: Header=BB142_90 Depth=2
	s_add_co_i32 s30, s18, -4
	s_addk_co_i32 s3, 0xff00
	s_cmp_lt_i32 s18, 7
	ds_store_b64 v27, v[16:17]
	s_cbranch_scc1 .LBB142_111
; %bb.110:                              ;   in Loop: Header=BB142_90 Depth=2
	s_mov_b32 s18, s30
	s_branch .LBB142_90
.LBB142_111:                            ;   in Loop: Header=BB142_3 Depth=1
	s_cmp_lt_i32 s30, 0
	s_cbranch_scc1 .LBB142_120
; %bb.112:                              ;   in Loop: Header=BB142_3 Depth=1
	s_lshl_b32 s3, s30, 6
	s_delay_alu instid0(SALU_CYCLE_1)
	s_add_co_i32 s3, s48, s3
	s_branch .LBB142_114
.LBB142_113:                            ;   in Loop: Header=BB142_114 Depth=2
	v_sub_co_u32 v0, s18, s30, 1
	s_and_b32 vcc_lo, exec_lo, s18
	s_sub_co_i32 s3, s3, 64
	ds_store_b64 v18, v[16:17]
	v_readfirstlane_b32 s30, v0
	s_cbranch_vccnz .LBB142_120
.LBB142_114:                            ;   Parent Loop BB142_3 Depth=1
                                        ; =>  This Loop Header: Depth=2
                                        ;       Child Loop BB142_115 Depth 3
	v_lshl_add_u32 v18, s30, 6, v24
	v_mov_b32_e32 v2, v5
	s_cmp_le_i32 s38, s30
	s_mov_b32 s18, s3
	s_mov_b32 s31, s38
	ds_load_b64 v[0:1], v18
	s_cbranch_scc1 .LBB142_116
.LBB142_115:                            ;   Parent Loop BB142_3 Depth=1
                                        ;     Parent Loop BB142_114 Depth=2
                                        ; =>    This Inner Loop Header: Depth=3
	v_mov_b32_e32 v3, s18
	s_add_co_i32 s31, s31, -1
	s_add_co_i32 s18, s18, -8
	s_cmp_le_u32 s31, s30
	ds_load_b64 v[16:17], v2
	ds_load_b64 v[20:21], v3
	v_subrev_nc_u32_e32 v2, 64, v2
	s_wait_dscnt 0x0
	v_pk_mul_f32 v[22:23], v[20:21], v[16:17] op_sel:[1,1] op_sel_hi:[0,1]
	s_delay_alu instid0(VALU_DEP_1) | instskip(SKIP_1) | instid1(VALU_DEP_2)
	v_pk_fma_f32 v[28:29], v[20:21], v[16:17], v[22:23] op_sel_hi:[1,0,1]
	v_pk_fma_f32 v[16:17], v[20:21], v[16:17], v[22:23] op_sel_hi:[1,0,1] neg_lo:[0,0,1] neg_hi:[0,0,1]
	v_mov_b32_e32 v17, v29
	s_delay_alu instid0(VALU_DEP_1)
	v_pk_add_f32 v[0:1], v[0:1], v[16:17] neg_lo:[0,1] neg_hi:[0,1]
	s_cbranch_scc0 .LBB142_115
.LBB142_116:                            ;   in Loop: Header=BB142_114 Depth=2
	s_mul_i32 s18, s30, 0x48
	s_delay_alu instid0(SALU_CYCLE_1)
	v_mov_b32_e32 v2, s18
	s_mov_b32 s18, -1
	ds_load_b64 v[2:3], v2
	s_wait_dscnt 0x0
	v_and_b32_e32 v16, 0x7fffffff, v2
	v_and_b32_e32 v17, 0x7fffffff, v3
	s_delay_alu instid0(VALU_DEP_1)
	v_cmp_ngt_f32_e32 vcc_lo, v16, v17
                                        ; implicit-def: $vgpr16_vgpr17
	s_cbranch_vccz .LBB142_118
; %bb.117:                              ;   in Loop: Header=BB142_114 Depth=2
	v_div_scale_f32 v16, null, v3, v3, v2
	v_div_scale_f32 v20, vcc_lo, v2, v3, v2
	s_mov_b32 s18, 0
	v_rcp_f32_e32 v17, v16
	v_nop
	v_xor_b32_e32 v16, 0x80000000, v16
	s_delay_alu instid0(TRANS32_DEP_1) | instid1(VALU_DEP_1)
	v_fma_f32 v19, v16, v17, 1.0
	s_delay_alu instid0(VALU_DEP_1) | instskip(NEXT) | instid1(VALU_DEP_1)
	v_fmac_f32_e32 v17, v19, v17
	v_mul_f32_e32 v19, v20, v17
	s_delay_alu instid0(VALU_DEP_1) | instskip(NEXT) | instid1(VALU_DEP_1)
	v_fma_f32 v21, v16, v19, v20
	v_fmac_f32_e32 v19, v21, v17
	s_delay_alu instid0(VALU_DEP_1) | instskip(NEXT) | instid1(VALU_DEP_1)
	v_fmac_f32_e32 v20, v16, v19
	v_div_fmas_f32 v16, v20, v17, v19
	s_delay_alu instid0(VALU_DEP_1) | instskip(NEXT) | instid1(VALU_DEP_1)
	v_div_fixup_f32 v16, v16, v3, v2
	v_fma_f32 v19, v2, v16, v3
	s_delay_alu instid0(VALU_DEP_1) | instskip(SKIP_1) | instid1(VALU_DEP_2)
	v_div_scale_f32 v17, null, v19, v19, 1.0
	v_div_scale_f32 v22, vcc_lo, 1.0, v19, 1.0
	v_rcp_f32_e32 v20, v17
	v_nop
	v_xor_b32_e32 v17, 0x80000000, v17
	s_delay_alu instid0(TRANS32_DEP_1) | instid1(VALU_DEP_1)
	v_fma_f32 v21, v17, v20, 1.0
	s_delay_alu instid0(VALU_DEP_1) | instskip(NEXT) | instid1(VALU_DEP_1)
	v_fmac_f32_e32 v20, v21, v20
	v_mul_f32_e32 v21, v22, v20
	s_delay_alu instid0(VALU_DEP_1) | instskip(NEXT) | instid1(VALU_DEP_1)
	v_fma_f32 v23, v17, v21, v22
	v_fmac_f32_e32 v21, v23, v20
	s_delay_alu instid0(VALU_DEP_1) | instskip(NEXT) | instid1(VALU_DEP_1)
	v_fmac_f32_e32 v22, v17, v21
	v_div_fmas_f32 v22, v22, v20, v21
	v_pk_fma_f32 v[20:21], v[0:1], v[16:17], v[0:1] op_sel:[0,0,1] op_sel_hi:[1,0,0] neg_lo:[0,0,1] neg_hi:[0,0,1]
	v_pk_fma_f32 v[16:17], v[0:1], v[16:17], v[0:1] op_sel:[0,0,1] op_sel_hi:[1,0,0]
	s_delay_alu instid0(VALU_DEP_3) | instskip(NEXT) | instid1(VALU_DEP_3)
	v_div_fixup_f32 v20, v22, v19, 1.0
	v_mov_b32_e32 v17, v21
	s_delay_alu instid0(VALU_DEP_1)
	v_pk_mul_f32 v[16:17], v[16:17], v[20:21] op_sel_hi:[1,0]
.LBB142_118:                            ;   in Loop: Header=BB142_114 Depth=2
	s_and_not1_b32 vcc_lo, exec_lo, s18
	s_cbranch_vccnz .LBB142_113
; %bb.119:                              ;   in Loop: Header=BB142_114 Depth=2
	v_div_scale_f32 v16, null, v2, v2, v3
	v_div_scale_f32 v20, vcc_lo, v3, v2, v3
	s_delay_alu instid0(VALU_DEP_2)
	v_rcp_f32_e32 v17, v16
	v_nop
	v_xor_b32_e32 v16, 0x80000000, v16
	s_delay_alu instid0(TRANS32_DEP_1) | instid1(VALU_DEP_1)
	v_fma_f32 v19, v16, v17, 1.0
	s_delay_alu instid0(VALU_DEP_1) | instskip(NEXT) | instid1(VALU_DEP_1)
	v_fmac_f32_e32 v17, v19, v17
	v_mul_f32_e32 v19, v20, v17
	s_delay_alu instid0(VALU_DEP_1) | instskip(NEXT) | instid1(VALU_DEP_1)
	v_fma_f32 v21, v16, v19, v20
	v_fmac_f32_e32 v19, v21, v17
	s_delay_alu instid0(VALU_DEP_1) | instskip(NEXT) | instid1(VALU_DEP_1)
	v_fmac_f32_e32 v20, v16, v19
	v_div_fmas_f32 v16, v20, v17, v19
	s_delay_alu instid0(VALU_DEP_1) | instskip(NEXT) | instid1(VALU_DEP_1)
	v_div_fixup_f32 v16, v16, v2, v3
	v_fmac_f32_e32 v2, v3, v16
	s_delay_alu instid0(VALU_DEP_1) | instskip(SKIP_1) | instid1(VALU_DEP_2)
	v_div_scale_f32 v3, null, v2, v2, 1.0
	v_div_scale_f32 v20, vcc_lo, 1.0, v2, 1.0
	v_rcp_f32_e32 v17, v3
	v_nop
	v_xor_b32_e32 v3, 0x80000000, v3
	s_delay_alu instid0(TRANS32_DEP_1) | instid1(VALU_DEP_1)
	v_fma_f32 v19, v3, v17, 1.0
	s_delay_alu instid0(VALU_DEP_1) | instskip(NEXT) | instid1(VALU_DEP_1)
	v_fmac_f32_e32 v17, v19, v17
	v_mul_f32_e32 v19, v20, v17
	s_delay_alu instid0(VALU_DEP_1) | instskip(NEXT) | instid1(VALU_DEP_1)
	v_fma_f32 v21, v3, v19, v20
	v_fmac_f32_e32 v19, v21, v17
	s_delay_alu instid0(VALU_DEP_1) | instskip(NEXT) | instid1(VALU_DEP_1)
	v_fmac_f32_e32 v20, v3, v19
	v_div_fmas_f32 v3, v20, v17, v19
	v_pk_fma_f32 v[20:21], v[0:1], v[16:17], v[0:1] op_sel:[1,0,0] op_sel_hi:[0,0,1] neg_lo:[1,0,0] neg_hi:[1,0,0]
	v_pk_fma_f32 v[0:1], v[0:1], v[16:17], v[0:1] op_sel:[1,0,0] op_sel_hi:[0,0,1]
	s_delay_alu instid0(VALU_DEP_3) | instskip(NEXT) | instid1(VALU_DEP_3)
	v_div_fixup_f32 v2, v3, v2, 1.0
	v_mov_b32_e32 v1, v21
	s_delay_alu instid0(VALU_DEP_1)
	v_pk_mul_f32 v[16:17], v[0:1], v[2:3] op_sel_hi:[1,0]
	s_branch .LBB142_113
.LBB142_120:                            ;   in Loop: Header=BB142_3 Depth=1
	s_mov_b32 s3, 0
.LBB142_121:                            ;   in Loop: Header=BB142_3 Depth=1
	s_delay_alu instid0(SALU_CYCLE_1)
	s_and_not1_b32 vcc_lo, exec_lo, s3
	s_cbranch_vccnz .LBB142_153
; %bb.122:                              ;   in Loop: Header=BB142_3 Depth=1
	s_and_not1_b32 vcc_lo, exec_lo, s42
	s_mov_b32 s30, 0
	s_cbranch_vccnz .LBB142_144
; %bb.123:                              ;   in Loop: Header=BB142_3 Depth=1
	s_mov_b32 s3, 0
	s_mov_b32 s18, 0
.LBB142_124:                            ;   Parent Loop BB142_3 Depth=1
                                        ; =>  This Loop Header: Depth=2
                                        ;       Child Loop BB142_125 Depth 3
	s_delay_alu instid0(SALU_CYCLE_1)
	s_or_b32 s31, s18, 1
	v_lshl_add_u32 v30, s18, 6, v24
	s_or_b32 s34, s18, 2
	s_or_b32 s30, s18, 3
	v_lshl_add_u32 v29, s31, 6, v24
	v_lshl_add_u32 v28, s34, 6, v24
	;; [unrolled: 1-line block ×3, first 2 shown]
	ds_load_b64 v[0:1], v30
	ds_load_b64 v[22:23], v29
	;; [unrolled: 1-line block ×4, first 2 shown]
	v_mov_b32_e32 v2, v24
	s_cmp_eq_u32 s18, 0
	s_mov_b32 s35, s3
	s_mov_b32 s49, s18
	s_cbranch_scc1 .LBB142_126
.LBB142_125:                            ;   Parent Loop BB142_3 Depth=1
                                        ;     Parent Loop BB142_124 Depth=2
                                        ; =>    This Inner Loop Header: Depth=3
	v_mov_b32_e32 v3, s35
	s_add_co_i32 s49, s49, -1
	s_add_co_i32 s35, s35, 8
	s_cmp_eq_u32 s49, 0
	ds_load_b64 v[20:21], v2
	ds_load_2addr_b64 v[32:35], v3 offset0:16 offset1:24
	ds_load_2addr_b64 v[36:39], v3 offset1:8
	v_add_nc_u32_e32 v2, 64, v2
	s_wait_dscnt 0x1
	v_pk_mul_f32 v[40:41], v[32:33], v[20:21] op_sel:[0,1]
	s_wait_dscnt 0x0
	v_dual_mul_f32 v3, v37, v21 :: v_dual_mul_f32 v31, v36, v21
	v_dual_mul_f32 v44, v39, v21 :: v_dual_mul_f32 v45, v39, v20
	v_pk_mul_f32 v[42:43], v[34:35], v[20:21] op_sel:[0,1]
	s_delay_alu instid0(VALU_DEP_3) | instskip(NEXT) | instid1(VALU_DEP_3)
	v_fma_f32 v3, v36, v20, -v3
	v_dual_fmac_f32 v31, v37, v20 :: v_dual_fma_f32 v44, v38, v20, -v44
	s_delay_alu instid0(VALU_DEP_4) | instskip(SKIP_4) | instid1(VALU_DEP_4)
	v_fmac_f32_e32 v45, v38, v21
	v_pk_fma_f32 v[36:37], v[32:33], v[20:21], v[40:41] op_sel:[0,0,1] op_sel_hi:[1,0,0]
	v_pk_fma_f32 v[38:39], v[34:35], v[20:21], v[42:43] op_sel:[0,0,1] op_sel_hi:[1,0,0]
	v_pk_fma_f32 v[32:33], v[32:33], v[20:21], v[40:41] op_sel:[0,0,1] op_sel_hi:[1,1,0] neg_lo:[0,0,1] neg_hi:[0,0,1]
	v_pk_fma_f32 v[20:21], v[34:35], v[20:21], v[42:43] op_sel:[0,0,1] op_sel_hi:[1,1,0] neg_lo:[0,0,1] neg_hi:[0,0,1]
	v_dual_sub_f32 v0, v0, v3 :: v_dual_mov_b32 v33, v37
	s_delay_alu instid0(VALU_DEP_4) | instskip(SKIP_1) | instid1(VALU_DEP_3)
	v_dual_mov_b32 v21, v39 :: v_dual_sub_f32 v1, v1, v31
	v_dual_sub_f32 v22, v22, v44 :: v_dual_sub_f32 v23, v23, v45
	v_pk_add_f32 v[18:19], v[18:19], v[32:33] neg_lo:[0,1] neg_hi:[0,1]
	s_delay_alu instid0(VALU_DEP_3)
	v_pk_add_f32 v[16:17], v[16:17], v[20:21] neg_lo:[0,1] neg_hi:[0,1]
	s_cbranch_scc0 .LBB142_125
.LBB142_126:                            ;   in Loop: Header=BB142_124 Depth=2
	s_mul_i32 s35, s18, 0x48
	s_lshl_b32 s31, s31, 3
	v_mov_b32_e32 v2, s35
	s_lshl_b32 s34, s34, 3
	s_lshl_b32 s30, s30, 3
	s_mov_b32 s35, -1
	ds_load_b64 v[2:3], v2
	s_wait_dscnt 0x0
	v_and_b32_e32 v20, 0x7fffffff, v2
	v_and_b32_e32 v21, 0x7fffffff, v3
	s_delay_alu instid0(VALU_DEP_1)
	v_cmp_ngt_f32_e32 vcc_lo, v20, v21
                                        ; implicit-def: $vgpr21
	s_cbranch_vccz .LBB142_128
; %bb.127:                              ;   in Loop: Header=BB142_124 Depth=2
	v_div_scale_f32 v20, null, v3, v3, v2
	v_div_scale_f32 v32, vcc_lo, v2, v3, v2
	s_mov_b32 s35, 0
	v_rcp_f32_e32 v21, v20
	v_nop
	v_xor_b32_e32 v20, 0x80000000, v20
	s_delay_alu instid0(TRANS32_DEP_1) | instid1(VALU_DEP_1)
	v_fma_f32 v31, v20, v21, 1.0
	s_delay_alu instid0(VALU_DEP_1) | instskip(NEXT) | instid1(VALU_DEP_1)
	v_fmac_f32_e32 v21, v31, v21
	v_mul_f32_e32 v31, v32, v21
	s_delay_alu instid0(VALU_DEP_1) | instskip(NEXT) | instid1(VALU_DEP_1)
	v_fma_f32 v33, v20, v31, v32
	v_fmac_f32_e32 v31, v33, v21
	s_delay_alu instid0(VALU_DEP_1) | instskip(NEXT) | instid1(VALU_DEP_1)
	v_fmac_f32_e32 v32, v20, v31
	v_div_fmas_f32 v20, v32, v21, v31
	s_delay_alu instid0(VALU_DEP_1) | instskip(NEXT) | instid1(VALU_DEP_1)
	v_div_fixup_f32 v20, v20, v3, v2
	v_fma_f32 v21, v2, v20, v3
	s_delay_alu instid0(VALU_DEP_1) | instskip(SKIP_1) | instid1(VALU_DEP_2)
	v_div_scale_f32 v31, null, v21, v21, 1.0
	v_div_scale_f32 v34, vcc_lo, 1.0, v21, 1.0
	v_rcp_f32_e32 v32, v31
	v_nop
	v_xor_b32_e32 v31, 0x80000000, v31
	s_delay_alu instid0(TRANS32_DEP_1) | instid1(VALU_DEP_1)
	v_fma_f32 v33, v31, v32, 1.0
	s_delay_alu instid0(VALU_DEP_1) | instskip(NEXT) | instid1(VALU_DEP_1)
	v_fmac_f32_e32 v32, v33, v32
	v_mul_f32_e32 v33, v34, v32
	s_delay_alu instid0(VALU_DEP_1) | instskip(NEXT) | instid1(VALU_DEP_1)
	v_fma_f32 v35, v31, v33, v34
	v_fmac_f32_e32 v33, v35, v32
	s_delay_alu instid0(VALU_DEP_1) | instskip(NEXT) | instid1(VALU_DEP_1)
	v_fmac_f32_e32 v34, v31, v33
	v_div_fmas_f32 v31, v34, v32, v33
	v_fma_f32 v32, v0, v20, v1
	s_delay_alu instid0(VALU_DEP_2) | instskip(NEXT) | instid1(VALU_DEP_1)
	v_div_fixup_f32 v21, v31, v21, 1.0
	v_dual_fma_f32 v31, v1, v20, -v0 :: v_dual_mul_f32 v20, v32, v21
	s_delay_alu instid0(VALU_DEP_1)
	v_mul_f32_e32 v21, v31, v21
.LBB142_128:                            ;   in Loop: Header=BB142_124 Depth=2
	s_and_not1_b32 vcc_lo, exec_lo, s35
	s_cbranch_vccnz .LBB142_130
; %bb.129:                              ;   in Loop: Header=BB142_124 Depth=2
	v_div_scale_f32 v20, null, v2, v2, v3
	v_div_scale_f32 v32, vcc_lo, v3, v2, v3
	s_delay_alu instid0(VALU_DEP_2)
	v_rcp_f32_e32 v21, v20
	v_nop
	v_xor_b32_e32 v20, 0x80000000, v20
	s_delay_alu instid0(TRANS32_DEP_1) | instid1(VALU_DEP_1)
	v_fma_f32 v31, v20, v21, 1.0
	s_delay_alu instid0(VALU_DEP_1) | instskip(NEXT) | instid1(VALU_DEP_1)
	v_fmac_f32_e32 v21, v31, v21
	v_mul_f32_e32 v31, v32, v21
	s_delay_alu instid0(VALU_DEP_1) | instskip(NEXT) | instid1(VALU_DEP_1)
	v_fma_f32 v33, v20, v31, v32
	v_fmac_f32_e32 v31, v33, v21
	s_delay_alu instid0(VALU_DEP_1) | instskip(NEXT) | instid1(VALU_DEP_1)
	v_fmac_f32_e32 v32, v20, v31
	v_div_fmas_f32 v20, v32, v21, v31
	s_delay_alu instid0(VALU_DEP_1) | instskip(NEXT) | instid1(VALU_DEP_1)
	v_div_fixup_f32 v20, v20, v2, v3
	v_fmac_f32_e32 v2, v3, v20
	s_delay_alu instid0(VALU_DEP_1) | instskip(SKIP_1) | instid1(VALU_DEP_2)
	v_div_scale_f32 v3, null, v2, v2, 1.0
	v_div_scale_f32 v32, vcc_lo, 1.0, v2, 1.0
	v_rcp_f32_e32 v21, v3
	v_nop
	v_xor_b32_e32 v3, 0x80000000, v3
	s_delay_alu instid0(TRANS32_DEP_1) | instid1(VALU_DEP_1)
	v_fma_f32 v31, v3, v21, 1.0
	s_delay_alu instid0(VALU_DEP_1) | instskip(NEXT) | instid1(VALU_DEP_1)
	v_fmac_f32_e32 v21, v31, v21
	v_mul_f32_e32 v31, v32, v21
	s_delay_alu instid0(VALU_DEP_1) | instskip(NEXT) | instid1(VALU_DEP_1)
	v_fma_f32 v33, v3, v31, v32
	v_fmac_f32_e32 v31, v33, v21
	s_delay_alu instid0(VALU_DEP_1) | instskip(NEXT) | instid1(VALU_DEP_1)
	v_fmac_f32_e32 v32, v3, v31
	v_div_fmas_f32 v3, v32, v21, v31
	v_dual_fma_f32 v21, v1, v20, v0 :: v_dual_fma_f32 v0, -v0, v20, v1
	s_delay_alu instid0(VALU_DEP_2) | instskip(NEXT) | instid1(VALU_DEP_1)
	v_div_fixup_f32 v2, v3, v2, 1.0
	v_dual_mul_f32 v20, v21, v2 :: v_dual_mul_f32 v21, v0, v2
.LBB142_130:                            ;   in Loop: Header=BB142_124 Depth=2
	s_lshl_b32 s35, s31, 3
	s_lshl_b32 s31, s18, 3
	ds_store_b64 v30, v[20:21]
	s_add_co_i32 s35, s35, s31
	s_delay_alu instid0(SALU_CYCLE_1)
	v_mov_b32_e32 v0, s35
	s_mov_b32 s35, -1
	ds_load_b128 v[0:3], v0
	s_wait_dscnt 0x0
	v_dual_mul_f32 v31, v21, v1 :: v_dual_mul_f32 v1, v20, v1
	v_and_b32_e32 v32, 0x7fffffff, v2
	v_and_b32_e32 v33, 0x7fffffff, v3
	s_delay_alu instid0(VALU_DEP_3) | instskip(NEXT) | instid1(VALU_DEP_2)
	v_dual_fma_f32 v31, v20, v0, -v31 :: v_dual_fmac_f32 v1, v21, v0
	v_cmp_ngt_f32_e32 vcc_lo, v32, v33
	s_delay_alu instid0(VALU_DEP_2)
	v_dual_sub_f32 v0, v22, v31 :: v_dual_sub_f32 v1, v23, v1
                                        ; implicit-def: $vgpr23
	s_cbranch_vccz .LBB142_132
; %bb.131:                              ;   in Loop: Header=BB142_124 Depth=2
	v_div_scale_f32 v22, null, v3, v3, v2
	v_div_scale_f32 v31, vcc_lo, v2, v3, v2
	s_mov_b32 s35, 0
	v_rcp_f32_e32 v23, v22
	v_nop
	v_xor_b32_e32 v22, 0x80000000, v22
	s_delay_alu instid0(TRANS32_DEP_1) | instid1(VALU_DEP_1)
	v_fma_f32 v30, v22, v23, 1.0
	s_delay_alu instid0(VALU_DEP_1) | instskip(NEXT) | instid1(VALU_DEP_1)
	v_fmac_f32_e32 v23, v30, v23
	v_mul_f32_e32 v30, v31, v23
	s_delay_alu instid0(VALU_DEP_1) | instskip(NEXT) | instid1(VALU_DEP_1)
	v_fma_f32 v32, v22, v30, v31
	v_fmac_f32_e32 v30, v32, v23
	s_delay_alu instid0(VALU_DEP_1) | instskip(NEXT) | instid1(VALU_DEP_1)
	v_fmac_f32_e32 v31, v22, v30
	v_div_fmas_f32 v22, v31, v23, v30
	s_delay_alu instid0(VALU_DEP_1) | instskip(NEXT) | instid1(VALU_DEP_1)
	v_div_fixup_f32 v22, v22, v3, v2
	v_fma_f32 v23, v2, v22, v3
	s_delay_alu instid0(VALU_DEP_1) | instskip(SKIP_1) | instid1(VALU_DEP_2)
	v_div_scale_f32 v30, null, v23, v23, 1.0
	v_div_scale_f32 v33, vcc_lo, 1.0, v23, 1.0
	v_rcp_f32_e32 v31, v30
	v_nop
	v_xor_b32_e32 v30, 0x80000000, v30
	s_delay_alu instid0(TRANS32_DEP_1) | instid1(VALU_DEP_1)
	v_fma_f32 v32, v30, v31, 1.0
	s_delay_alu instid0(VALU_DEP_1) | instskip(NEXT) | instid1(VALU_DEP_1)
	v_fmac_f32_e32 v31, v32, v31
	v_mul_f32_e32 v32, v33, v31
	s_delay_alu instid0(VALU_DEP_1) | instskip(NEXT) | instid1(VALU_DEP_1)
	v_fma_f32 v34, v30, v32, v33
	v_fmac_f32_e32 v32, v34, v31
	s_delay_alu instid0(VALU_DEP_1) | instskip(NEXT) | instid1(VALU_DEP_1)
	v_fmac_f32_e32 v33, v30, v32
	v_div_fmas_f32 v30, v33, v31, v32
	v_fma_f32 v31, v22, v0, v1
	s_delay_alu instid0(VALU_DEP_2) | instskip(NEXT) | instid1(VALU_DEP_1)
	v_div_fixup_f32 v23, v30, v23, 1.0
	v_dual_fma_f32 v30, v22, v1, -v0 :: v_dual_mul_f32 v22, v31, v23
	s_delay_alu instid0(VALU_DEP_1)
	v_mul_f32_e32 v23, v30, v23
.LBB142_132:                            ;   in Loop: Header=BB142_124 Depth=2
	s_and_not1_b32 vcc_lo, exec_lo, s35
	s_cbranch_vccnz .LBB142_134
; %bb.133:                              ;   in Loop: Header=BB142_124 Depth=2
	v_div_scale_f32 v22, null, v2, v2, v3
	v_div_scale_f32 v31, vcc_lo, v3, v2, v3
	s_delay_alu instid0(VALU_DEP_2)
	v_rcp_f32_e32 v23, v22
	v_nop
	v_xor_b32_e32 v22, 0x80000000, v22
	s_delay_alu instid0(TRANS32_DEP_1) | instid1(VALU_DEP_1)
	v_fma_f32 v30, v22, v23, 1.0
	s_delay_alu instid0(VALU_DEP_1) | instskip(NEXT) | instid1(VALU_DEP_1)
	v_fmac_f32_e32 v23, v30, v23
	v_mul_f32_e32 v30, v31, v23
	s_delay_alu instid0(VALU_DEP_1) | instskip(NEXT) | instid1(VALU_DEP_1)
	v_fma_f32 v32, v22, v30, v31
	v_fmac_f32_e32 v30, v32, v23
	s_delay_alu instid0(VALU_DEP_1) | instskip(NEXT) | instid1(VALU_DEP_1)
	v_fmac_f32_e32 v31, v22, v30
	v_div_fmas_f32 v22, v31, v23, v30
	s_delay_alu instid0(VALU_DEP_1) | instskip(NEXT) | instid1(VALU_DEP_1)
	v_div_fixup_f32 v22, v22, v2, v3
	v_fmac_f32_e32 v2, v3, v22
	s_delay_alu instid0(VALU_DEP_1) | instskip(SKIP_1) | instid1(VALU_DEP_2)
	v_div_scale_f32 v3, null, v2, v2, 1.0
	v_div_scale_f32 v31, vcc_lo, 1.0, v2, 1.0
	v_rcp_f32_e32 v23, v3
	v_nop
	v_xor_b32_e32 v3, 0x80000000, v3
	s_delay_alu instid0(TRANS32_DEP_1) | instid1(VALU_DEP_1)
	v_fma_f32 v30, v3, v23, 1.0
	s_delay_alu instid0(VALU_DEP_1) | instskip(NEXT) | instid1(VALU_DEP_1)
	v_fmac_f32_e32 v23, v30, v23
	v_mul_f32_e32 v30, v31, v23
	s_delay_alu instid0(VALU_DEP_1) | instskip(NEXT) | instid1(VALU_DEP_1)
	v_fma_f32 v32, v3, v30, v31
	v_fmac_f32_e32 v30, v32, v23
	s_delay_alu instid0(VALU_DEP_1) | instskip(NEXT) | instid1(VALU_DEP_1)
	v_fmac_f32_e32 v31, v3, v30
	v_div_fmas_f32 v3, v31, v23, v30
	v_dual_fma_f32 v23, v22, v1, v0 :: v_dual_fma_f32 v0, -v22, v0, v1
	s_delay_alu instid0(VALU_DEP_2) | instskip(NEXT) | instid1(VALU_DEP_1)
	v_div_fixup_f32 v2, v3, v2, 1.0
	v_dual_mul_f32 v22, v23, v2 :: v_dual_mul_f32 v23, v0, v2
.LBB142_134:                            ;   in Loop: Header=BB142_124 Depth=2
	s_lshl_b32 s35, s34, 3
	ds_store_b64 v29, v[22:23]
	s_add_co_i32 s49, s35, s31
	s_add_co_i32 s34, s35, s34
	v_dual_mov_b32 v0, s49 :: v_dual_mov_b32 v2, v21
	v_mov_b32_e32 v34, v23
	ds_load_b128 v[30:33], v0
	v_mov_b32_e32 v0, s34
	s_mov_b32 s34, -1
	ds_load_b64 v[0:1], v0
	s_wait_dscnt 0x1
	v_pk_mul_f32 v[2:3], v[2:3], v[30:31] op_sel_hi:[0,1]
	v_pk_mul_f32 v[34:35], v[34:35], v[32:33] op_sel_hi:[0,1]
	s_delay_alu instid0(VALU_DEP_2) | instskip(SKIP_1) | instid1(VALU_DEP_3)
	v_pk_fma_f32 v[36:37], v[20:21], v[30:31], v[2:3] op_sel:[0,0,1] op_sel_hi:[0,1,0]
	v_pk_fma_f32 v[2:3], v[20:21], v[30:31], v[2:3] op_sel:[0,0,1] op_sel_hi:[1,1,0] neg_lo:[0,0,1] neg_hi:[0,0,1]
	v_pk_fma_f32 v[30:31], v[22:23], v[32:33], v[34:35] op_sel:[0,0,1] op_sel_hi:[0,1,0]
	s_wait_dscnt 0x0
	v_and_b32_e32 v30, 0x7fffffff, v0
	v_and_b32_e32 v36, 0x7fffffff, v1
	v_mov_b32_e32 v3, v37
	v_pk_fma_f32 v[32:33], v[22:23], v[32:33], v[34:35] op_sel:[0,0,1] op_sel_hi:[1,1,0] neg_lo:[0,0,1] neg_hi:[0,0,1]
	v_mov_b32_e32 v33, v31
	s_delay_alu instid0(VALU_DEP_4) | instskip(NEXT) | instid1(VALU_DEP_4)
	v_cmp_ngt_f32_e32 vcc_lo, v30, v36
	v_pk_add_f32 v[2:3], v[18:19], v[2:3] neg_lo:[0,1] neg_hi:[0,1]
                                        ; implicit-def: $vgpr18_vgpr19
	s_delay_alu instid0(VALU_DEP_1)
	v_pk_add_f32 v[2:3], v[2:3], v[32:33] neg_lo:[0,1] neg_hi:[0,1]
	s_cbranch_vccz .LBB142_136
; %bb.135:                              ;   in Loop: Header=BB142_124 Depth=2
	v_div_scale_f32 v18, null, v1, v1, v0
	v_div_scale_f32 v30, vcc_lo, v0, v1, v0
	s_mov_b32 s34, 0
	v_rcp_f32_e32 v19, v18
	v_nop
	v_xor_b32_e32 v18, 0x80000000, v18
	s_delay_alu instid0(TRANS32_DEP_1) | instid1(VALU_DEP_1)
	v_fma_f32 v29, v18, v19, 1.0
	s_delay_alu instid0(VALU_DEP_1) | instskip(NEXT) | instid1(VALU_DEP_1)
	v_fmac_f32_e32 v19, v29, v19
	v_mul_f32_e32 v29, v30, v19
	s_delay_alu instid0(VALU_DEP_1) | instskip(NEXT) | instid1(VALU_DEP_1)
	v_fma_f32 v31, v18, v29, v30
	v_fmac_f32_e32 v29, v31, v19
	s_delay_alu instid0(VALU_DEP_1) | instskip(NEXT) | instid1(VALU_DEP_1)
	v_fmac_f32_e32 v30, v18, v29
	v_div_fmas_f32 v18, v30, v19, v29
	s_delay_alu instid0(VALU_DEP_1) | instskip(NEXT) | instid1(VALU_DEP_1)
	v_div_fixup_f32 v18, v18, v1, v0
	v_fma_f32 v19, v0, v18, v1
	s_delay_alu instid0(VALU_DEP_1) | instskip(SKIP_1) | instid1(VALU_DEP_2)
	v_div_scale_f32 v29, null, v19, v19, 1.0
	v_div_scale_f32 v32, vcc_lo, 1.0, v19, 1.0
	v_rcp_f32_e32 v31, v29
	v_nop
	v_xor_b32_e32 v29, 0x80000000, v29
	s_delay_alu instid0(TRANS32_DEP_1) | instid1(VALU_DEP_1)
	v_fma_f32 v30, v29, v31, 1.0
	s_delay_alu instid0(VALU_DEP_1) | instskip(NEXT) | instid1(VALU_DEP_1)
	v_fmac_f32_e32 v31, v30, v31
	v_mul_f32_e32 v33, v32, v31
	s_delay_alu instid0(VALU_DEP_1) | instskip(NEXT) | instid1(VALU_DEP_1)
	v_fma_f32 v30, v29, v33, v32
	v_dual_fmac_f32 v33, v30, v31 :: v_dual_mov_b32 v30, v3
	s_delay_alu instid0(VALU_DEP_1) | instskip(NEXT) | instid1(VALU_DEP_1)
	v_fmac_f32_e32 v32, v29, v33
	v_div_fmas_f32 v29, v32, v31, v33
	s_delay_alu instid0(VALU_DEP_3) | instskip(NEXT) | instid1(VALU_DEP_2)
	v_pk_fma_f32 v[30:31], v[18:19], v[2:3], v[30:31]
	v_div_fixup_f32 v31, v29, v19, 1.0
	s_delay_alu instid0(VALU_DEP_1) | instskip(NEXT) | instid1(VALU_DEP_1)
	v_dual_fma_f32 v19, v18, v3, -v2 :: v_dual_mov_b32 v18, v31
	v_pk_mul_f32 v[18:19], v[30:31], v[18:19]
.LBB142_136:                            ;   in Loop: Header=BB142_124 Depth=2
	s_and_not1_b32 vcc_lo, exec_lo, s34
	s_cbranch_vccnz .LBB142_138
; %bb.137:                              ;   in Loop: Header=BB142_124 Depth=2
	v_div_scale_f32 v18, null, v0, v0, v1
	v_div_scale_f32 v30, vcc_lo, v1, v0, v1
	s_delay_alu instid0(VALU_DEP_2)
	v_rcp_f32_e32 v19, v18
	v_nop
	v_xor_b32_e32 v18, 0x80000000, v18
	s_delay_alu instid0(TRANS32_DEP_1) | instid1(VALU_DEP_1)
	v_fma_f32 v29, v18, v19, 1.0
	s_delay_alu instid0(VALU_DEP_1) | instskip(NEXT) | instid1(VALU_DEP_1)
	v_fmac_f32_e32 v19, v29, v19
	v_mul_f32_e32 v29, v30, v19
	s_delay_alu instid0(VALU_DEP_1) | instskip(NEXT) | instid1(VALU_DEP_1)
	v_fma_f32 v31, v18, v29, v30
	v_fmac_f32_e32 v29, v31, v19
	s_delay_alu instid0(VALU_DEP_1) | instskip(NEXT) | instid1(VALU_DEP_1)
	v_fmac_f32_e32 v30, v18, v29
	v_div_fmas_f32 v18, v30, v19, v29
	s_delay_alu instid0(VALU_DEP_1) | instskip(NEXT) | instid1(VALU_DEP_1)
	v_div_fixup_f32 v18, v18, v0, v1
	v_fmac_f32_e32 v0, v1, v18
	s_delay_alu instid0(VALU_DEP_1) | instskip(SKIP_1) | instid1(VALU_DEP_2)
	v_div_scale_f32 v1, null, v0, v0, 1.0
	v_div_scale_f32 v30, vcc_lo, 1.0, v0, 1.0
	v_rcp_f32_e32 v19, v1
	v_nop
	v_xor_b32_e32 v1, 0x80000000, v1
	s_delay_alu instid0(TRANS32_DEP_1) | instid1(VALU_DEP_1)
	v_fma_f32 v29, v1, v19, 1.0
	s_delay_alu instid0(VALU_DEP_1) | instskip(NEXT) | instid1(VALU_DEP_1)
	v_fmac_f32_e32 v19, v29, v19
	v_mul_f32_e32 v29, v30, v19
	s_delay_alu instid0(VALU_DEP_1) | instskip(NEXT) | instid1(VALU_DEP_1)
	v_fma_f32 v31, v1, v29, v30
	v_fmac_f32_e32 v29, v31, v19
	s_delay_alu instid0(VALU_DEP_1) | instskip(NEXT) | instid1(VALU_DEP_1)
	v_fmac_f32_e32 v30, v1, v29
	v_div_fmas_f32 v1, v30, v19, v29
	v_pk_fma_f32 v[30:31], v[18:19], v[2:3], v[2:3] op_sel:[0,1,0] op_sel_hi:[0,0,1] neg_lo:[1,0,0] neg_hi:[1,0,0]
	v_pk_fma_f32 v[2:3], v[18:19], v[2:3], v[2:3] op_sel:[0,1,0] op_sel_hi:[1,0,1]
	s_delay_alu instid0(VALU_DEP_3) | instskip(NEXT) | instid1(VALU_DEP_3)
	v_div_fixup_f32 v0, v1, v0, 1.0
	v_mov_b32_e32 v3, v31
	s_delay_alu instid0(VALU_DEP_1)
	v_pk_mul_f32 v[18:19], v[2:3], v[0:1] op_sel_hi:[1,0]
.LBB142_138:                            ;   in Loop: Header=BB142_124 Depth=2
	s_lshl_b32 s30, s30, 3
	v_mov_b32_e32 v35, v21
	s_add_co_i32 s30, s30, s31
	v_dual_mov_b32 v36, v23 :: v_dual_mov_b32 v37, v23
	v_dual_mov_b32 v0, s30 :: v_dual_mov_b32 v34, v21
	v_mov_b32_e32 v21, v20
	s_mov_b32 s30, -1
	ds_load_b128 v[30:33], v0
	ds_load_b128 v[0:3], v0 offset:16
	ds_store_b64 v28, v[18:19]
	s_wait_dscnt 0x2
	v_pk_mul_f32 v[34:35], v[34:35], v[30:31]
	v_pk_mul_f32 v[36:37], v[36:37], v[32:33]
	s_wait_dscnt 0x1
	v_and_b32_e32 v29, 0x7fffffff, v3
	s_delay_alu instid0(VALU_DEP_3) | instskip(SKIP_3) | instid1(VALU_DEP_4)
	v_pk_fma_f32 v[38:39], v[20:21], v[30:31], v[34:35] op_sel:[0,0,1] op_sel_hi:[1,1,0]
	v_mov_b32_e32 v23, v22
	v_pk_fma_f32 v[20:21], v[20:21], v[30:31], v[34:35] op_sel:[0,0,1] op_sel_hi:[1,1,0] neg_lo:[0,0,1] neg_hi:[0,0,1]
	v_pk_mul_f32 v[34:35], v[18:19], v[0:1] op_sel:[1,1] op_sel_hi:[1,0]
	v_mov_b32_e32 v21, v39
	s_delay_alu instid0(VALU_DEP_4) | instskip(SKIP_1) | instid1(VALU_DEP_3)
	v_pk_fma_f32 v[30:31], v[22:23], v[32:33], v[36:37] op_sel:[0,0,1] op_sel_hi:[1,1,0]
	v_pk_fma_f32 v[22:23], v[22:23], v[32:33], v[36:37] op_sel:[0,0,1] op_sel_hi:[1,1,0] neg_lo:[0,0,1] neg_hi:[0,0,1]
	v_pk_add_f32 v[16:17], v[16:17], v[20:21] neg_lo:[0,1] neg_hi:[0,1]
	v_pk_fma_f32 v[20:21], v[18:19], v[0:1], v[34:35] op_sel_hi:[0,1,1]
	s_delay_alu instid0(VALU_DEP_4) | instskip(SKIP_2) | instid1(VALU_DEP_4)
	v_mov_b32_e32 v23, v31
	v_and_b32_e32 v20, 0x7fffffff, v2
	v_pk_fma_f32 v[0:1], v[18:19], v[0:1], v[34:35] neg_lo:[0,0,1] neg_hi:[0,0,1]
	v_mov_b32_e32 v1, v21
	s_delay_alu instid0(VALU_DEP_4) | instskip(NEXT) | instid1(VALU_DEP_4)
	v_pk_add_f32 v[16:17], v[16:17], v[22:23] neg_lo:[0,1] neg_hi:[0,1]
	v_cmp_ngt_f32_e32 vcc_lo, v20, v29
	s_delay_alu instid0(VALU_DEP_2)
	v_pk_add_f32 v[0:1], v[16:17], v[0:1] neg_lo:[0,1] neg_hi:[0,1]
                                        ; implicit-def: $vgpr16_vgpr17
	s_cbranch_vccz .LBB142_140
; %bb.139:                              ;   in Loop: Header=BB142_124 Depth=2
	v_div_scale_f32 v16, null, v3, v3, v2
	v_div_scale_f32 v19, vcc_lo, v2, v3, v2
	s_mov_b32 s30, 0
	v_rcp_f32_e32 v17, v16
	v_nop
	v_xor_b32_e32 v16, 0x80000000, v16
	s_delay_alu instid0(TRANS32_DEP_1) | instid1(VALU_DEP_1)
	v_fma_f32 v18, v16, v17, 1.0
	s_delay_alu instid0(VALU_DEP_1) | instskip(NEXT) | instid1(VALU_DEP_1)
	v_fmac_f32_e32 v17, v18, v17
	v_mul_f32_e32 v18, v19, v17
	s_delay_alu instid0(VALU_DEP_1) | instskip(NEXT) | instid1(VALU_DEP_1)
	v_fma_f32 v20, v16, v18, v19
	v_fmac_f32_e32 v18, v20, v17
	s_delay_alu instid0(VALU_DEP_1) | instskip(NEXT) | instid1(VALU_DEP_1)
	v_fmac_f32_e32 v19, v16, v18
	v_div_fmas_f32 v16, v19, v17, v18
	s_delay_alu instid0(VALU_DEP_1) | instskip(NEXT) | instid1(VALU_DEP_1)
	v_div_fixup_f32 v16, v16, v3, v2
	v_fma_f32 v17, v2, v16, v3
	s_delay_alu instid0(VALU_DEP_1) | instskip(NEXT) | instid1(VALU_DEP_1)
	v_div_scale_f32 v18, null, v17, v17, 1.0
	v_rcp_f32_e32 v19, v18
	v_nop
	v_xor_b32_e32 v18, 0x80000000, v18
	s_delay_alu instid0(TRANS32_DEP_1) | instid1(VALU_DEP_1)
	v_fma_f32 v20, v18, v19, 1.0
	s_delay_alu instid0(VALU_DEP_1) | instskip(SKIP_1) | instid1(VALU_DEP_1)
	v_fmac_f32_e32 v19, v20, v19
	v_div_scale_f32 v20, vcc_lo, 1.0, v17, 1.0
	v_mul_f32_e32 v21, v20, v19
	s_delay_alu instid0(VALU_DEP_1) | instskip(NEXT) | instid1(VALU_DEP_1)
	v_fma_f32 v22, v18, v21, v20
	v_fmac_f32_e32 v21, v22, v19
	s_delay_alu instid0(VALU_DEP_1) | instskip(NEXT) | instid1(VALU_DEP_1)
	v_dual_fmac_f32 v20, v18, v21 :: v_dual_mov_b32 v18, v1
	v_div_fmas_f32 v20, v20, v19, v21
	s_delay_alu instid0(VALU_DEP_2) | instskip(NEXT) | instid1(VALU_DEP_2)
	v_pk_fma_f32 v[18:19], v[16:17], v[0:1], v[18:19]
	v_div_fixup_f32 v19, v20, v17, 1.0
	s_delay_alu instid0(VALU_DEP_1) | instskip(NEXT) | instid1(VALU_DEP_1)
	v_dual_fma_f32 v17, v16, v1, -v0 :: v_dual_mov_b32 v16, v19
	v_pk_mul_f32 v[16:17], v[18:19], v[16:17]
.LBB142_140:                            ;   in Loop: Header=BB142_124 Depth=2
	s_and_not1_b32 vcc_lo, exec_lo, s30
	s_cbranch_vccnz .LBB142_142
; %bb.141:                              ;   in Loop: Header=BB142_124 Depth=2
	v_div_scale_f32 v16, null, v2, v2, v3
	v_div_scale_f32 v19, vcc_lo, v3, v2, v3
	s_delay_alu instid0(VALU_DEP_2)
	v_rcp_f32_e32 v17, v16
	v_nop
	v_xor_b32_e32 v16, 0x80000000, v16
	s_delay_alu instid0(TRANS32_DEP_1) | instid1(VALU_DEP_1)
	v_fma_f32 v18, v16, v17, 1.0
	s_delay_alu instid0(VALU_DEP_1) | instskip(NEXT) | instid1(VALU_DEP_1)
	v_fmac_f32_e32 v17, v18, v17
	v_mul_f32_e32 v18, v19, v17
	s_delay_alu instid0(VALU_DEP_1) | instskip(NEXT) | instid1(VALU_DEP_1)
	v_fma_f32 v20, v16, v18, v19
	v_fmac_f32_e32 v18, v20, v17
	s_delay_alu instid0(VALU_DEP_1) | instskip(NEXT) | instid1(VALU_DEP_1)
	v_fmac_f32_e32 v19, v16, v18
	v_div_fmas_f32 v16, v19, v17, v18
	s_delay_alu instid0(VALU_DEP_1) | instskip(NEXT) | instid1(VALU_DEP_1)
	v_div_fixup_f32 v16, v16, v2, v3
	v_fmac_f32_e32 v2, v3, v16
	s_delay_alu instid0(VALU_DEP_1) | instskip(SKIP_1) | instid1(VALU_DEP_2)
	v_div_scale_f32 v3, null, v2, v2, 1.0
	v_div_scale_f32 v19, vcc_lo, 1.0, v2, 1.0
	v_rcp_f32_e32 v17, v3
	v_nop
	v_xor_b32_e32 v3, 0x80000000, v3
	s_delay_alu instid0(TRANS32_DEP_1) | instid1(VALU_DEP_1)
	v_fma_f32 v18, v3, v17, 1.0
	s_delay_alu instid0(VALU_DEP_1) | instskip(NEXT) | instid1(VALU_DEP_1)
	v_fmac_f32_e32 v17, v18, v17
	v_mul_f32_e32 v18, v19, v17
	s_delay_alu instid0(VALU_DEP_1) | instskip(NEXT) | instid1(VALU_DEP_1)
	v_fma_f32 v20, v3, v18, v19
	v_fmac_f32_e32 v18, v20, v17
	s_delay_alu instid0(VALU_DEP_1) | instskip(NEXT) | instid1(VALU_DEP_1)
	v_fmac_f32_e32 v19, v3, v18
	v_div_fmas_f32 v3, v19, v17, v18
	v_pk_fma_f32 v[18:19], v[16:17], v[0:1], v[0:1] op_sel:[0,1,0] op_sel_hi:[0,0,1] neg_lo:[1,0,0] neg_hi:[1,0,0]
	v_pk_fma_f32 v[0:1], v[16:17], v[0:1], v[0:1] op_sel:[0,1,0] op_sel_hi:[1,0,1]
	s_delay_alu instid0(VALU_DEP_3) | instskip(NEXT) | instid1(VALU_DEP_3)
	v_div_fixup_f32 v2, v3, v2, 1.0
	v_mov_b32_e32 v1, v19
	s_delay_alu instid0(VALU_DEP_1)
	v_pk_mul_f32 v[16:17], v[0:1], v[2:3] op_sel_hi:[1,0]
.LBB142_142:                            ;   in Loop: Header=BB142_124 Depth=2
	s_add_co_i32 s30, s18, 4
	s_add_co_i32 s18, s18, 7
	s_addk_co_i32 s3, 0x100
	s_cmp_ge_i32 s18, s37
	ds_store_b64 v27, v[16:17]
	s_cbranch_scc1 .LBB142_144
; %bb.143:                              ;   in Loop: Header=BB142_124 Depth=2
	s_mov_b32 s18, s30
	s_branch .LBB142_124
.LBB142_144:                            ;   in Loop: Header=BB142_3 Depth=1
	s_cmp_ge_i32 s30, s37
	s_cbranch_scc1 .LBB142_153
; %bb.145:                              ;   in Loop: Header=BB142_3 Depth=1
	s_lshl_b32 s3, s30, 6
	s_branch .LBB142_147
.LBB142_146:                            ;   in Loop: Header=BB142_147 Depth=2
	s_add_co_i32 s30, s30, 1
	s_add_co_i32 s3, s3, 64
	s_cmp_ge_i32 s30, s37
	ds_store_b64 v18, v[16:17]
	s_cbranch_scc1 .LBB142_153
.LBB142_147:                            ;   Parent Loop BB142_3 Depth=1
                                        ; =>  This Loop Header: Depth=2
                                        ;       Child Loop BB142_148 Depth 3
	v_lshl_add_u32 v18, s30, 6, v24
	v_mov_b32_e32 v2, v24
	s_cmp_eq_u32 s30, 0
	s_mov_b32 s18, s3
	s_mov_b32 s31, s30
	ds_load_b64 v[0:1], v18
	s_cbranch_scc1 .LBB142_149
.LBB142_148:                            ;   Parent Loop BB142_3 Depth=1
                                        ;     Parent Loop BB142_147 Depth=2
                                        ; =>    This Inner Loop Header: Depth=3
	v_mov_b32_e32 v3, s18
	s_add_co_i32 s31, s31, -1
	s_add_co_i32 s18, s18, 8
	s_cmp_eq_u32 s31, 0
	ds_load_b64 v[16:17], v2
	ds_load_b64 v[20:21], v3
	v_add_nc_u32_e32 v2, 64, v2
	s_wait_dscnt 0x0
	v_pk_mul_f32 v[22:23], v[20:21], v[16:17] op_sel:[1,1] op_sel_hi:[0,1]
	s_delay_alu instid0(VALU_DEP_1) | instskip(SKIP_1) | instid1(VALU_DEP_2)
	v_pk_fma_f32 v[28:29], v[20:21], v[16:17], v[22:23] op_sel_hi:[1,0,1]
	v_pk_fma_f32 v[16:17], v[20:21], v[16:17], v[22:23] op_sel_hi:[1,0,1] neg_lo:[0,0,1] neg_hi:[0,0,1]
	v_mov_b32_e32 v17, v29
	s_delay_alu instid0(VALU_DEP_1)
	v_pk_add_f32 v[0:1], v[0:1], v[16:17] neg_lo:[0,1] neg_hi:[0,1]
	s_cbranch_scc0 .LBB142_148
.LBB142_149:                            ;   in Loop: Header=BB142_147 Depth=2
	s_mul_i32 s18, s30, 0x48
	s_delay_alu instid0(SALU_CYCLE_1)
	v_mov_b32_e32 v2, s18
	s_mov_b32 s18, -1
	ds_load_b64 v[2:3], v2
	s_wait_dscnt 0x0
	v_and_b32_e32 v16, 0x7fffffff, v2
	v_and_b32_e32 v17, 0x7fffffff, v3
	s_delay_alu instid0(VALU_DEP_1)
	v_cmp_ngt_f32_e32 vcc_lo, v16, v17
                                        ; implicit-def: $vgpr16_vgpr17
	s_cbranch_vccz .LBB142_151
; %bb.150:                              ;   in Loop: Header=BB142_147 Depth=2
	v_div_scale_f32 v16, null, v3, v3, v2
	v_div_scale_f32 v20, vcc_lo, v2, v3, v2
	s_mov_b32 s18, 0
	v_rcp_f32_e32 v17, v16
	v_nop
	v_xor_b32_e32 v16, 0x80000000, v16
	s_delay_alu instid0(TRANS32_DEP_1) | instid1(VALU_DEP_1)
	v_fma_f32 v19, v16, v17, 1.0
	s_delay_alu instid0(VALU_DEP_1) | instskip(NEXT) | instid1(VALU_DEP_1)
	v_fmac_f32_e32 v17, v19, v17
	v_mul_f32_e32 v19, v20, v17
	s_delay_alu instid0(VALU_DEP_1) | instskip(NEXT) | instid1(VALU_DEP_1)
	v_fma_f32 v21, v16, v19, v20
	v_fmac_f32_e32 v19, v21, v17
	s_delay_alu instid0(VALU_DEP_1) | instskip(NEXT) | instid1(VALU_DEP_1)
	v_fmac_f32_e32 v20, v16, v19
	v_div_fmas_f32 v16, v20, v17, v19
	s_delay_alu instid0(VALU_DEP_1) | instskip(NEXT) | instid1(VALU_DEP_1)
	v_div_fixup_f32 v16, v16, v3, v2
	v_fma_f32 v19, v2, v16, v3
	s_delay_alu instid0(VALU_DEP_1) | instskip(SKIP_1) | instid1(VALU_DEP_2)
	v_div_scale_f32 v17, null, v19, v19, 1.0
	v_div_scale_f32 v22, vcc_lo, 1.0, v19, 1.0
	v_rcp_f32_e32 v20, v17
	v_nop
	v_xor_b32_e32 v17, 0x80000000, v17
	s_delay_alu instid0(TRANS32_DEP_1) | instid1(VALU_DEP_1)
	v_fma_f32 v21, v17, v20, 1.0
	s_delay_alu instid0(VALU_DEP_1) | instskip(NEXT) | instid1(VALU_DEP_1)
	v_fmac_f32_e32 v20, v21, v20
	v_mul_f32_e32 v21, v22, v20
	s_delay_alu instid0(VALU_DEP_1) | instskip(NEXT) | instid1(VALU_DEP_1)
	v_fma_f32 v23, v17, v21, v22
	v_fmac_f32_e32 v21, v23, v20
	s_delay_alu instid0(VALU_DEP_1) | instskip(NEXT) | instid1(VALU_DEP_1)
	v_fmac_f32_e32 v22, v17, v21
	v_div_fmas_f32 v22, v22, v20, v21
	v_pk_fma_f32 v[20:21], v[0:1], v[16:17], v[0:1] op_sel:[0,0,1] op_sel_hi:[1,0,0] neg_lo:[0,0,1] neg_hi:[0,0,1]
	v_pk_fma_f32 v[16:17], v[0:1], v[16:17], v[0:1] op_sel:[0,0,1] op_sel_hi:[1,0,0]
	s_delay_alu instid0(VALU_DEP_3) | instskip(NEXT) | instid1(VALU_DEP_3)
	v_div_fixup_f32 v20, v22, v19, 1.0
	v_mov_b32_e32 v17, v21
	s_delay_alu instid0(VALU_DEP_1)
	v_pk_mul_f32 v[16:17], v[16:17], v[20:21] op_sel_hi:[1,0]
.LBB142_151:                            ;   in Loop: Header=BB142_147 Depth=2
	s_and_not1_b32 vcc_lo, exec_lo, s18
	s_cbranch_vccnz .LBB142_146
; %bb.152:                              ;   in Loop: Header=BB142_147 Depth=2
	v_div_scale_f32 v16, null, v2, v2, v3
	v_div_scale_f32 v20, vcc_lo, v3, v2, v3
	s_delay_alu instid0(VALU_DEP_2)
	v_rcp_f32_e32 v17, v16
	v_nop
	v_xor_b32_e32 v16, 0x80000000, v16
	s_delay_alu instid0(TRANS32_DEP_1) | instid1(VALU_DEP_1)
	v_fma_f32 v19, v16, v17, 1.0
	s_delay_alu instid0(VALU_DEP_1) | instskip(NEXT) | instid1(VALU_DEP_1)
	v_fmac_f32_e32 v17, v19, v17
	v_mul_f32_e32 v19, v20, v17
	s_delay_alu instid0(VALU_DEP_1) | instskip(NEXT) | instid1(VALU_DEP_1)
	v_fma_f32 v21, v16, v19, v20
	v_fmac_f32_e32 v19, v21, v17
	s_delay_alu instid0(VALU_DEP_1) | instskip(NEXT) | instid1(VALU_DEP_1)
	v_fmac_f32_e32 v20, v16, v19
	v_div_fmas_f32 v16, v20, v17, v19
	s_delay_alu instid0(VALU_DEP_1) | instskip(NEXT) | instid1(VALU_DEP_1)
	v_div_fixup_f32 v16, v16, v2, v3
	v_fmac_f32_e32 v2, v3, v16
	s_delay_alu instid0(VALU_DEP_1) | instskip(SKIP_1) | instid1(VALU_DEP_2)
	v_div_scale_f32 v3, null, v2, v2, 1.0
	v_div_scale_f32 v20, vcc_lo, 1.0, v2, 1.0
	v_rcp_f32_e32 v17, v3
	v_nop
	v_xor_b32_e32 v3, 0x80000000, v3
	s_delay_alu instid0(TRANS32_DEP_1) | instid1(VALU_DEP_1)
	v_fma_f32 v19, v3, v17, 1.0
	s_delay_alu instid0(VALU_DEP_1) | instskip(NEXT) | instid1(VALU_DEP_1)
	v_fmac_f32_e32 v17, v19, v17
	v_mul_f32_e32 v19, v20, v17
	s_delay_alu instid0(VALU_DEP_1) | instskip(NEXT) | instid1(VALU_DEP_1)
	v_fma_f32 v21, v3, v19, v20
	v_fmac_f32_e32 v19, v21, v17
	s_delay_alu instid0(VALU_DEP_1) | instskip(NEXT) | instid1(VALU_DEP_1)
	v_fmac_f32_e32 v20, v3, v19
	v_div_fmas_f32 v3, v20, v17, v19
	v_pk_fma_f32 v[20:21], v[0:1], v[16:17], v[0:1] op_sel:[1,0,0] op_sel_hi:[0,0,1] neg_lo:[1,0,0] neg_hi:[1,0,0]
	v_pk_fma_f32 v[0:1], v[0:1], v[16:17], v[0:1] op_sel:[1,0,0] op_sel_hi:[0,0,1]
	s_delay_alu instid0(VALU_DEP_3) | instskip(NEXT) | instid1(VALU_DEP_3)
	v_div_fixup_f32 v2, v3, v2, 1.0
	v_mov_b32_e32 v1, v21
	s_delay_alu instid0(VALU_DEP_1)
	v_pk_mul_f32 v[16:17], v[0:1], v[2:3] op_sel_hi:[1,0]
	s_branch .LBB142_146
.LBB142_153:                            ;   in Loop: Header=BB142_3 Depth=1
	s_and_saveexec_b32 s3, s43
	s_cbranch_execz .LBB142_2
; %bb.154:                              ;   in Loop: Header=BB142_3 Depth=1
	v_add_nc_u64_e32 v[0:1], s[28:29], v[8:9]
	v_mov_b32_e32 v2, v24
	s_mov_b32 s18, s16
.LBB142_155:                            ;   Parent Loop BB142_3 Depth=1
                                        ; =>  This Inner Loop Header: Depth=2
	ds_load_b64 v[16:17], v2
	v_add_nc_u32_e32 v2, 64, v2
	s_add_co_i32 s18, s18, -1
	s_delay_alu instid0(SALU_CYCLE_1)
	s_cmp_lg_u32 s18, 0
	s_wait_dscnt 0x0
	global_store_b64 v[0:1], v[16:17], off
	s_wait_xcnt 0x0
	v_add_nc_u64_e32 v[0:1], s[10:11], v[0:1]
	s_cbranch_scc1 .LBB142_155
	s_branch .LBB142_2
.LBB142_156:
	s_endpgm
	.section	.rodata,"a",@progbits
	.p2align	6, 0x0
	.amdhsa_kernel _ZL31rocblas_trsm_small_right_deviceI19rocblas_complex_numIfES1_PKS1_PS1_Li8EEv13rocblas_fill_18rocblas_operation_17rocblas_diagonal_iiT0_T1_lilT2_lili
		.amdhsa_group_segment_fixed_size 1024
		.amdhsa_private_segment_fixed_size 0
		.amdhsa_kernarg_size 360
		.amdhsa_user_sgpr_count 2
		.amdhsa_user_sgpr_dispatch_ptr 0
		.amdhsa_user_sgpr_queue_ptr 0
		.amdhsa_user_sgpr_kernarg_segment_ptr 1
		.amdhsa_user_sgpr_dispatch_id 0
		.amdhsa_user_sgpr_kernarg_preload_length 0
		.amdhsa_user_sgpr_kernarg_preload_offset 0
		.amdhsa_user_sgpr_private_segment_size 0
		.amdhsa_wavefront_size32 1
		.amdhsa_uses_dynamic_stack 0
		.amdhsa_enable_private_segment 0
		.amdhsa_system_sgpr_workgroup_id_x 1
		.amdhsa_system_sgpr_workgroup_id_y 0
		.amdhsa_system_sgpr_workgroup_id_z 1
		.amdhsa_system_sgpr_workgroup_info 0
		.amdhsa_system_vgpr_workitem_id 0
		.amdhsa_next_free_vgpr 46
		.amdhsa_next_free_sgpr 54
		.amdhsa_named_barrier_count 0
		.amdhsa_reserve_vcc 1
		.amdhsa_float_round_mode_32 0
		.amdhsa_float_round_mode_16_64 0
		.amdhsa_float_denorm_mode_32 3
		.amdhsa_float_denorm_mode_16_64 3
		.amdhsa_fp16_overflow 0
		.amdhsa_memory_ordered 1
		.amdhsa_forward_progress 1
		.amdhsa_inst_pref_size 127
		.amdhsa_round_robin_scheduling 0
		.amdhsa_exception_fp_ieee_invalid_op 0
		.amdhsa_exception_fp_denorm_src 0
		.amdhsa_exception_fp_ieee_div_zero 0
		.amdhsa_exception_fp_ieee_overflow 0
		.amdhsa_exception_fp_ieee_underflow 0
		.amdhsa_exception_fp_ieee_inexact 0
		.amdhsa_exception_int_div_zero 0
	.end_amdhsa_kernel
	.section	.text._ZL31rocblas_trsm_small_right_deviceI19rocblas_complex_numIfES1_PKS1_PS1_Li8EEv13rocblas_fill_18rocblas_operation_17rocblas_diagonal_iiT0_T1_lilT2_lili,"axG",@progbits,_ZL31rocblas_trsm_small_right_deviceI19rocblas_complex_numIfES1_PKS1_PS1_Li8EEv13rocblas_fill_18rocblas_operation_17rocblas_diagonal_iiT0_T1_lilT2_lili,comdat
.Lfunc_end142:
	.size	_ZL31rocblas_trsm_small_right_deviceI19rocblas_complex_numIfES1_PKS1_PS1_Li8EEv13rocblas_fill_18rocblas_operation_17rocblas_diagonal_iiT0_T1_lilT2_lili, .Lfunc_end142-_ZL31rocblas_trsm_small_right_deviceI19rocblas_complex_numIfES1_PKS1_PS1_Li8EEv13rocblas_fill_18rocblas_operation_17rocblas_diagonal_iiT0_T1_lilT2_lili
                                        ; -- End function
	.set _ZL31rocblas_trsm_small_right_deviceI19rocblas_complex_numIfES1_PKS1_PS1_Li8EEv13rocblas_fill_18rocblas_operation_17rocblas_diagonal_iiT0_T1_lilT2_lili.num_vgpr, 46
	.set _ZL31rocblas_trsm_small_right_deviceI19rocblas_complex_numIfES1_PKS1_PS1_Li8EEv13rocblas_fill_18rocblas_operation_17rocblas_diagonal_iiT0_T1_lilT2_lili.num_agpr, 0
	.set _ZL31rocblas_trsm_small_right_deviceI19rocblas_complex_numIfES1_PKS1_PS1_Li8EEv13rocblas_fill_18rocblas_operation_17rocblas_diagonal_iiT0_T1_lilT2_lili.numbered_sgpr, 54
	.set _ZL31rocblas_trsm_small_right_deviceI19rocblas_complex_numIfES1_PKS1_PS1_Li8EEv13rocblas_fill_18rocblas_operation_17rocblas_diagonal_iiT0_T1_lilT2_lili.num_named_barrier, 0
	.set _ZL31rocblas_trsm_small_right_deviceI19rocblas_complex_numIfES1_PKS1_PS1_Li8EEv13rocblas_fill_18rocblas_operation_17rocblas_diagonal_iiT0_T1_lilT2_lili.private_seg_size, 0
	.set _ZL31rocblas_trsm_small_right_deviceI19rocblas_complex_numIfES1_PKS1_PS1_Li8EEv13rocblas_fill_18rocblas_operation_17rocblas_diagonal_iiT0_T1_lilT2_lili.uses_vcc, 1
	.set _ZL31rocblas_trsm_small_right_deviceI19rocblas_complex_numIfES1_PKS1_PS1_Li8EEv13rocblas_fill_18rocblas_operation_17rocblas_diagonal_iiT0_T1_lilT2_lili.uses_flat_scratch, 0
	.set _ZL31rocblas_trsm_small_right_deviceI19rocblas_complex_numIfES1_PKS1_PS1_Li8EEv13rocblas_fill_18rocblas_operation_17rocblas_diagonal_iiT0_T1_lilT2_lili.has_dyn_sized_stack, 0
	.set _ZL31rocblas_trsm_small_right_deviceI19rocblas_complex_numIfES1_PKS1_PS1_Li8EEv13rocblas_fill_18rocblas_operation_17rocblas_diagonal_iiT0_T1_lilT2_lili.has_recursion, 0
	.set _ZL31rocblas_trsm_small_right_deviceI19rocblas_complex_numIfES1_PKS1_PS1_Li8EEv13rocblas_fill_18rocblas_operation_17rocblas_diagonal_iiT0_T1_lilT2_lili.has_indirect_call, 0
	.section	.AMDGPU.csdata,"",@progbits
; Kernel info:
; codeLenInByte = 16140
; TotalNumSgprs: 56
; NumVgprs: 46
; ScratchSize: 0
; MemoryBound: 0
; FloatMode: 240
; IeeeMode: 1
; LDSByteSize: 1024 bytes/workgroup (compile time only)
; SGPRBlocks: 0
; VGPRBlocks: 2
; NumSGPRsForWavesPerEU: 56
; NumVGPRsForWavesPerEU: 46
; NamedBarCnt: 0
; Occupancy: 16
; WaveLimiterHint : 0
; COMPUTE_PGM_RSRC2:SCRATCH_EN: 0
; COMPUTE_PGM_RSRC2:USER_SGPR: 2
; COMPUTE_PGM_RSRC2:TRAP_HANDLER: 0
; COMPUTE_PGM_RSRC2:TGID_X_EN: 1
; COMPUTE_PGM_RSRC2:TGID_Y_EN: 0
; COMPUTE_PGM_RSRC2:TGID_Z_EN: 1
; COMPUTE_PGM_RSRC2:TIDIG_COMP_CNT: 0
	.section	.text._ZL38rocblas_trsm_small_left_device_sharedBILi12ELi12ELb0E19rocblas_complex_numIfES1_PKS1_PS1_Ev13rocblas_fill_18rocblas_operation_17rocblas_diagonal_iiT3_T4_lilT5_lili,"axG",@progbits,_ZL38rocblas_trsm_small_left_device_sharedBILi12ELi12ELb0E19rocblas_complex_numIfES1_PKS1_PS1_Ev13rocblas_fill_18rocblas_operation_17rocblas_diagonal_iiT3_T4_lilT5_lili,comdat
	.globl	_ZL38rocblas_trsm_small_left_device_sharedBILi12ELi12ELb0E19rocblas_complex_numIfES1_PKS1_PS1_Ev13rocblas_fill_18rocblas_operation_17rocblas_diagonal_iiT3_T4_lilT5_lili ; -- Begin function _ZL38rocblas_trsm_small_left_device_sharedBILi12ELi12ELb0E19rocblas_complex_numIfES1_PKS1_PS1_Ev13rocblas_fill_18rocblas_operation_17rocblas_diagonal_iiT3_T4_lilT5_lili
	.p2align	8
	.type	_ZL38rocblas_trsm_small_left_device_sharedBILi12ELi12ELb0E19rocblas_complex_numIfES1_PKS1_PS1_Ev13rocblas_fill_18rocblas_operation_17rocblas_diagonal_iiT3_T4_lilT5_lili,@function
_ZL38rocblas_trsm_small_left_device_sharedBILi12ELi12ELb0E19rocblas_complex_numIfES1_PKS1_PS1_Ev13rocblas_fill_18rocblas_operation_17rocblas_diagonal_iiT3_T4_lilT5_lili: ; @_ZL38rocblas_trsm_small_left_device_sharedBILi12ELi12ELb0E19rocblas_complex_numIfES1_PKS1_PS1_Ev13rocblas_fill_18rocblas_operation_17rocblas_diagonal_iiT3_T4_lilT5_lili
; %bb.0:
	s_load_b32 s15, s[2:3], 0x60
	s_bfe_u32 s4, ttmp6, 0x40014
	s_lshr_b32 s5, ttmp7, 16
	s_add_co_i32 s4, s4, 1
	s_bfe_u32 s7, ttmp6, 0x40008
	s_mul_i32 s6, s5, s4
	s_getreg_b32 s4, hwreg(HW_REG_IB_STS2, 6, 4)
	s_add_co_i32 s7, s7, s6
	s_cmp_eq_u32 s4, 0
	s_mov_b32 s17, 0
	s_cselect_b32 s16, s5, s7
	s_wait_kmcnt 0x0
	s_cmp_ge_u32 s16, s15
	s_cbranch_scc1 .LBB143_81
; %bb.1:
	s_clause 0x1
	s_load_b32 s20, s[2:3], 0x30
	s_load_b96 s[12:14], s[2:3], 0x48
	s_load_b64 s[26:27], s[0:1], 0x4
	s_clause 0x2
	s_load_b128 s[8:11], s[2:3], 0x4
	s_load_b32 s5, s[2:3], 0x68
	s_load_b64 s[18:19], s[2:3], 0x14
	v_and_b32_e32 v8, 0x3ff, v0
	v_mov_b32_e32 v3, 0
	v_bfe_u32 v1, v0, 10, 10
	v_bfe_u32 v9, v0, 20, 10
	s_delay_alu instid0(VALU_DEP_4) | instskip(SKIP_1) | instid1(VALU_DEP_2)
	v_lshlrev_b32_e32 v2, 3, v8
	v_mul_u32_u24_e32 v12, 0x60, v8
	v_add_nc_u32_e32 v20, 0x480, v2
	s_delay_alu instid0(VALU_DEP_2)
	v_add_nc_u32_e32 v21, v2, v12
	s_wait_kmcnt 0x0
	s_ashr_i32 s21, s20, 31
	s_ashr_i32 s0, s14, 31
	s_lshr_b32 s26, s26, 16
	s_cmp_lg_u32 s8, 0x71
	s_mul_i32 s26, s26, s27
	s_cselect_b32 s1, -1, 0
	s_bfe_u32 s6, ttmp6, 0x4000c
	s_min_i32 s22, s10, 12
	s_add_co_i32 s6, s6, 1
	s_add_co_i32 s24, s5, -1
	s_and_b32 s5, ttmp6, 15
	s_mul_i32 s6, ttmp9, s6
	s_add_co_i32 s23, s22, -1
	s_add_co_i32 s25, s5, s6
	s_cmp_eq_u32 s4, 0
	s_load_b128 s[4:7], s[2:3], 0x38
	s_cselect_b32 s25, ttmp9, s25
	v_mul_u32_u24_e32 v10, s26, v8
	s_mul_i32 s28, s25, -12
	s_delay_alu instid0(SALU_CYCLE_1)
	s_add_co_i32 s11, s11, s28
	s_cmp_ge_u32 s25, s24
	s_mul_i32 s28, s25, 12
	s_cselect_b32 s30, s11, 12
	s_ashr_i32 s29, s28, 31
	s_cmp_lg_u32 s9, 0x84
	v_lshl_add_u64 v[6:7], s[28:29], 3, v[2:3]
	s_cselect_b32 s24, -1, 0
	s_cmp_gt_i32 s10, 0
	v_cmp_gt_i32_e32 vcc_lo, s30, v8
	s_cselect_b32 s31, -1, 0
	s_cmp_lg_u32 s8, 0x6f
	s_cselect_b32 s25, -1, 0
	s_lshl_b64 s[8:9], s[12:13], 3
	s_wait_kmcnt 0x0
	s_lshl_b64 s[4:5], s[4:5], 3
	s_add_nc_u64 s[6:7], s[6:7], s[8:9]
	s_clause 0x1
	s_load_b128 s[8:11], s[2:3], 0x20
	s_load_b64 s[12:13], s[2:3], 0x58
	v_mad_nc_u64_u32 v[4:5], v6, s14, s[6:7]
	s_wait_xcnt 0x0
	s_mov_b32 s2, s19
	s_mov_b32 s3, s18
	s_delay_alu instid0(VALU_DEP_1) | instskip(SKIP_3) | instid1(VALU_DEP_2)
	v_mad_u32 v5, v7, s14, v5
	v_mul_u32_u24_e32 v7, s27, v1
	s_movk_i32 s14, 0x60
	v_mov_b64_e32 v[0:1], 0xbf80000000000000
	v_add3_u32 v9, v10, v7, v9
	s_wait_kmcnt 0x0
	s_lshl_b64 s[6:7], s[10:11], 3
	v_mov_b64_e32 v[10:11], 0x3f800000
	s_add_nc_u64 s[6:7], s[8:9], s[6:7]
	s_lshl_b64 s[10:11], s[12:13], 3
	v_mad_u32 v5, v6, s0, v5
	v_add_nc_u64_e32 v[6:7], s[6:7], v[2:3]
	v_mad_u32 v3, v9, s14, 0x900
	v_cmp_gt_i32_e64 s0, s22, v8
	s_lshl_b64 s[6:7], s[20:21], 3
	s_mul_i32 s20, s22, 0x60
	s_and_b32 s14, vcc_lo, s31
	s_addk_co_i32 s20, 0xffa0
	v_add_nc_u64_e32 v[6:7], 4, v[6:7]
	s_get_pc_i64 s[8:9]
	s_add_nc_u64 s[8:9], s[8:9], __const._ZL38rocblas_trsm_small_left_device_sharedBILi12ELi12ELb0E19rocblas_complex_numIfES1_PKS1_PS1_Ev13rocblas_fill_18rocblas_operation_17rocblas_diagonal_iiT3_T4_lilT5_lili.step_sizes@rel64+4
	v_add_nc_u64_e32 v[8:9], 4, v[4:5]
	s_branch .LBB143_3
.LBB143_2:                              ;   in Loop: Header=BB143_3 Depth=1
	s_or_b32 exec_lo, exec_lo, s21
	s_add_co_i32 s16, s16, 0x10000
	s_delay_alu instid0(SALU_CYCLE_1)
	s_cmp_lt_u32 s16, s15
	s_cbranch_scc0 .LBB143_81
.LBB143_3:                              ; =>This Loop Header: Depth=1
                                        ;     Child Loop BB143_6 Depth 2
                                        ;     Child Loop BB143_20 Depth 2
	;; [unrolled: 1-line block ×3, first 2 shown]
                                        ;       Child Loop BB143_27 Depth 3
                                        ;         Child Loop BB143_28 Depth 4
                                        ;         Child Loop BB143_32 Depth 4
                                        ;           Child Loop BB143_34 Depth 5
                                        ;           Child Loop BB143_40 Depth 5
                                        ;         Child Loop BB143_43 Depth 4
                                        ;           Child Loop BB143_45 Depth 5
                                        ;     Child Loop BB143_53 Depth 2
                                        ;       Child Loop BB143_56 Depth 3
                                        ;         Child Loop BB143_57 Depth 4
                                        ;         Child Loop BB143_61 Depth 4
                                        ;           Child Loop BB143_63 Depth 5
                                        ;           Child Loop BB143_69 Depth 5
                                        ;         Child Loop BB143_72 Depth 4
                                        ;           Child Loop BB143_74 Depth 5
                                        ;     Child Loop BB143_80 Depth 2
	s_and_saveexec_b32 s12, s0
	s_cbranch_execz .LBB143_18
; %bb.4:                                ;   in Loop: Header=BB143_3 Depth=1
	v_mad_nc_u64_u32 v[12:13], s4, s16, v[6:7]
	v_mov_b32_e32 v16, v2
	s_mov_b32 s13, s22
	s_delay_alu instid0(VALU_DEP_2)
	v_mad_u32 v13, s5, s16, v13
	s_branch .LBB143_6
.LBB143_5:                              ;   in Loop: Header=BB143_6 Depth=2
	global_load_b32 v14, v[12:13], off offset:-4
	s_wait_xcnt 0x0
	v_add_nc_u64_e32 v[12:13], s[6:7], v[12:13]
	s_add_co_i32 s13, s13, -1
	s_delay_alu instid0(SALU_CYCLE_1)
	s_cmp_eq_u32 s13, 0
	s_wait_loadcnt 0x0
	ds_store_b64 v16, v[14:15]
	v_add_nc_u32_e32 v16, 0x60, v16
	s_cbranch_scc1 .LBB143_10
.LBB143_6:                              ;   Parent Loop BB143_3 Depth=1
                                        ; =>  This Inner Loop Header: Depth=2
	s_and_b32 vcc_lo, exec_lo, s1
	s_mov_b32 s21, -1
                                        ; implicit-def: $vgpr15
	s_cbranch_vccz .LBB143_8
; %bb.7:                                ;   in Loop: Header=BB143_6 Depth=2
	global_load_b32 v15, v[12:13], off
	s_mov_b32 s21, 0
.LBB143_8:                              ;   in Loop: Header=BB143_6 Depth=2
	s_delay_alu instid0(SALU_CYCLE_1)
	s_and_not1_b32 vcc_lo, exec_lo, s21
	s_cbranch_vccnz .LBB143_5
; %bb.9:                                ;   in Loop: Header=BB143_6 Depth=2
	global_load_b32 v14, v[12:13], off
	s_wait_loadcnt 0x0
	v_xor_b32_e32 v15, 0x80000000, v14
	s_branch .LBB143_5
.LBB143_10:                             ;   in Loop: Header=BB143_3 Depth=1
	s_and_b32 vcc_lo, exec_lo, s24
	s_mov_b32 s13, -1
	s_cbranch_vccz .LBB143_16
; %bb.11:                               ;   in Loop: Header=BB143_3 Depth=1
	ds_load_b64 v[12:13], v21
                                        ; implicit-def: $vgpr14_vgpr15
	s_wait_dscnt 0x0
	v_cmp_ngt_f32_e64 s13, |v12|, |v13|
	s_and_saveexec_b32 s21, s13
	s_delay_alu instid0(SALU_CYCLE_1)
	s_xor_b32 s13, exec_lo, s21
	s_cbranch_execz .LBB143_13
; %bb.12:                               ;   in Loop: Header=BB143_3 Depth=1
	v_div_scale_f32 v14, null, v13, v13, v12
	v_div_scale_f32 v17, vcc_lo, v12, v13, v12
	s_delay_alu instid0(VALU_DEP_2) | instskip(SKIP_1) | instid1(TRANS32_DEP_1)
	v_rcp_f32_e32 v15, v14
	v_nop
	v_fma_f32 v16, -v14, v15, 1.0
	s_delay_alu instid0(VALU_DEP_1) | instskip(NEXT) | instid1(VALU_DEP_1)
	v_fmac_f32_e32 v15, v16, v15
	v_mul_f32_e32 v16, v17, v15
	s_delay_alu instid0(VALU_DEP_1) | instskip(NEXT) | instid1(VALU_DEP_1)
	v_fma_f32 v18, -v14, v16, v17
	v_fmac_f32_e32 v16, v18, v15
	s_delay_alu instid0(VALU_DEP_1) | instskip(NEXT) | instid1(VALU_DEP_1)
	v_fma_f32 v14, -v14, v16, v17
	v_div_fmas_f32 v14, v14, v15, v16
	s_delay_alu instid0(VALU_DEP_1) | instskip(NEXT) | instid1(VALU_DEP_1)
	v_div_fixup_f32 v14, v14, v13, v12
	v_fmac_f32_e32 v13, v12, v14
	s_delay_alu instid0(VALU_DEP_1) | instskip(SKIP_1) | instid1(VALU_DEP_2)
	v_div_scale_f32 v12, null, v13, v13, 1.0
	v_div_scale_f32 v17, vcc_lo, 1.0, v13, 1.0
	v_rcp_f32_e32 v15, v12
	v_nop
	s_delay_alu instid0(TRANS32_DEP_1) | instskip(NEXT) | instid1(VALU_DEP_1)
	v_fma_f32 v16, -v12, v15, 1.0
	v_fmac_f32_e32 v15, v16, v15
	s_delay_alu instid0(VALU_DEP_1) | instskip(NEXT) | instid1(VALU_DEP_1)
	v_mul_f32_e32 v16, v17, v15
	v_fma_f32 v18, -v12, v16, v17
	s_delay_alu instid0(VALU_DEP_1) | instskip(NEXT) | instid1(VALU_DEP_1)
	v_fmac_f32_e32 v16, v18, v15
	v_fma_f32 v12, -v12, v16, v17
	s_delay_alu instid0(VALU_DEP_1) | instskip(SKIP_1) | instid1(VALU_DEP_2)
	v_div_fmas_f32 v12, v12, v15, v16
	v_mul_f32_e32 v15, 0, v14
	v_div_fixup_f32 v12, v12, v13, 1.0
	s_delay_alu instid0(VALU_DEP_2) | instskip(NEXT) | instid1(VALU_DEP_1)
	v_pk_add_f32 v[14:15], v[14:15], v[0:1]
	v_pk_mul_f32 v[14:15], v[14:15], v[12:13] op_sel_hi:[1,0]
                                        ; implicit-def: $vgpr12_vgpr13
.LBB143_13:                             ;   in Loop: Header=BB143_3 Depth=1
	s_and_not1_saveexec_b32 s13, s13
	s_cbranch_execz .LBB143_15
; %bb.14:                               ;   in Loop: Header=BB143_3 Depth=1
	v_div_scale_f32 v14, null, v12, v12, v13
	v_div_scale_f32 v17, vcc_lo, v13, v12, v13
	s_delay_alu instid0(VALU_DEP_2) | instskip(SKIP_1) | instid1(TRANS32_DEP_1)
	v_rcp_f32_e32 v15, v14
	v_nop
	v_fma_f32 v16, -v14, v15, 1.0
	s_delay_alu instid0(VALU_DEP_1) | instskip(NEXT) | instid1(VALU_DEP_1)
	v_fmac_f32_e32 v15, v16, v15
	v_mul_f32_e32 v16, v17, v15
	s_delay_alu instid0(VALU_DEP_1) | instskip(NEXT) | instid1(VALU_DEP_1)
	v_fma_f32 v18, -v14, v16, v17
	v_fmac_f32_e32 v16, v18, v15
	s_delay_alu instid0(VALU_DEP_1) | instskip(NEXT) | instid1(VALU_DEP_1)
	v_fma_f32 v14, -v14, v16, v17
	v_div_fmas_f32 v14, v14, v15, v16
	s_delay_alu instid0(VALU_DEP_1) | instskip(NEXT) | instid1(VALU_DEP_1)
	v_div_fixup_f32 v15, v14, v12, v13
	v_fmac_f32_e32 v12, v13, v15
	s_delay_alu instid0(VALU_DEP_1) | instskip(SKIP_1) | instid1(VALU_DEP_2)
	v_div_scale_f32 v13, null, v12, v12, 1.0
	v_div_scale_f32 v17, vcc_lo, 1.0, v12, 1.0
	v_rcp_f32_e32 v14, v13
	v_nop
	s_delay_alu instid0(TRANS32_DEP_1) | instskip(NEXT) | instid1(VALU_DEP_1)
	v_fma_f32 v16, -v13, v14, 1.0
	v_fmac_f32_e32 v14, v16, v14
	s_delay_alu instid0(VALU_DEP_1) | instskip(NEXT) | instid1(VALU_DEP_1)
	v_mul_f32_e32 v16, v17, v14
	v_fma_f32 v18, -v13, v16, v17
	s_delay_alu instid0(VALU_DEP_1) | instskip(NEXT) | instid1(VALU_DEP_1)
	v_fmac_f32_e32 v16, v18, v14
	v_dual_fma_f32 v13, -v13, v16, v17 :: v_dual_mul_f32 v17, 0, v15
	v_sub_f32_e32 v15, 0, v15
	s_delay_alu instid0(VALU_DEP_2) | instskip(NEXT) | instid1(VALU_DEP_3)
	v_div_fmas_f32 v13, v13, v14, v16
	v_add_f32_e32 v14, 1.0, v17
	s_delay_alu instid0(VALU_DEP_2) | instskip(NEXT) | instid1(VALU_DEP_1)
	v_div_fixup_f32 v12, v13, v12, 1.0
	v_pk_mul_f32 v[14:15], v[14:15], v[12:13] op_sel_hi:[1,0]
.LBB143_15:                             ;   in Loop: Header=BB143_3 Depth=1
	s_or_b32 exec_lo, exec_lo, s13
	s_mov_b32 s13, 0
	ds_store_b64 v21, v[14:15]
.LBB143_16:                             ;   in Loop: Header=BB143_3 Depth=1
	s_and_b32 vcc_lo, exec_lo, s13
	s_cbranch_vccz .LBB143_18
; %bb.17:                               ;   in Loop: Header=BB143_3 Depth=1
	ds_store_b64 v21, v[10:11]
.LBB143_18:                             ;   in Loop: Header=BB143_3 Depth=1
	s_or_b32 exec_lo, exec_lo, s12
	s_mul_u64 s[12:13], s[10:11], s[16:17]
	s_and_saveexec_b32 s21, s14
	s_cbranch_execz .LBB143_21
; %bb.19:                               ;   in Loop: Header=BB143_3 Depth=1
	v_add_nc_u64_e32 v[12:13], s[12:13], v[8:9]
	v_mov_b32_e32 v14, v20
	s_mov_b32 s26, s22
.LBB143_20:                             ;   Parent Loop BB143_3 Depth=1
                                        ; =>  This Inner Loop Header: Depth=2
	global_load_b64 v[16:17], v[12:13], off offset:-4
	v_mov_b64_e32 v[18:19], s[2:3]
	v_mov_b64_e32 v[22:23], s[18:19]
	s_wait_xcnt 0x0
	v_add_nc_u64_e32 v[12:13], 8, v[12:13]
	s_add_co_i32 s26, s26, -1
	s_delay_alu instid0(SALU_CYCLE_1) | instskip(SKIP_2) | instid1(VALU_DEP_1)
	s_cmp_lg_u32 s26, 0
	s_wait_loadcnt 0x0
	v_pk_mul_f32 v[18:19], v[18:19], v[16:17] op_sel:[0,1]
	v_pk_fma_f32 v[24:25], v[22:23], v[16:17], v[18:19] op_sel_hi:[1,0,1]
	v_pk_fma_f32 v[16:17], v[22:23], v[16:17], v[18:19] neg_lo:[0,0,1] neg_hi:[0,0,1]
	s_delay_alu instid0(VALU_DEP_2)
	v_mov_b32_e32 v17, v25
	ds_store_b64 v14, v[16:17]
	v_add_nc_u32_e32 v14, 0x60, v14
	s_cbranch_scc1 .LBB143_20
.LBB143_21:                             ;   in Loop: Header=BB143_3 Depth=1
	s_or_b32 exec_lo, exec_lo, s21
	s_delay_alu instid0(SALU_CYCLE_1)
	s_and_not1_b32 vcc_lo, exec_lo, s25
	s_mov_b32 s21, -1
	s_wait_dscnt 0x0
	; wave barrier
	s_cbranch_vccnz .LBB143_50
; %bb.22:                               ;   in Loop: Header=BB143_3 Depth=1
	s_mov_b32 s26, 0
	s_mov_b32 s21, 0
	s_branch .LBB143_24
.LBB143_23:                             ;   in Loop: Header=BB143_24 Depth=2
	s_cmp_lt_i32 s21, s22
	s_cselect_b32 s27, -1, 0
	s_add_co_i32 s28, s26, 1
	s_cmp_lt_u32 s26, 2
	s_wait_xcnt 0x0
	s_cselect_b32 s26, -1, 0
	s_delay_alu instid0(SALU_CYCLE_1) | instskip(NEXT) | instid1(SALU_CYCLE_1)
	s_and_b32 s26, s27, s26
	s_and_b32 vcc_lo, exec_lo, s26
	s_mov_b32 s26, s28
	s_cbranch_vccz .LBB143_49
.LBB143_24:                             ;   Parent Loop BB143_3 Depth=1
                                        ; =>  This Loop Header: Depth=2
                                        ;       Child Loop BB143_27 Depth 3
                                        ;         Child Loop BB143_28 Depth 4
                                        ;         Child Loop BB143_32 Depth 4
                                        ;           Child Loop BB143_34 Depth 5
                                        ;           Child Loop BB143_40 Depth 5
                                        ;         Child Loop BB143_43 Depth 4
                                        ;           Child Loop BB143_45 Depth 5
	s_load_b32 s27, s[8:9], s26 offset:0x0 scale_offset
	s_wait_kmcnt 0x0
	s_add_co_i32 s28, s27, -1
	s_delay_alu instid0(SALU_CYCLE_1) | instskip(NEXT) | instid1(SALU_CYCLE_1)
	s_add_co_i32 s29, s28, s21
	s_cmp_ge_i32 s29, s22
	s_cbranch_scc1 .LBB143_23
; %bb.25:                               ;   in Loop: Header=BB143_24 Depth=2
	v_mad_u32 v22, 0x60, s21, v20
	s_max_i32 s29, s27, 1
	s_cmp_lg_u32 s26, 2
	s_mul_i32 s34, s27, 0x60
	s_cselect_b32 s30, -1, 0
	s_and_b32 s31, s29, 0x7ffffffe
	s_mul_i32 s35, s21, 0x68
	s_cmp_lg_u32 s29, s31
	s_mul_i32 s36, s27, 0x68
	s_cselect_b32 s33, -1, 0
	s_branch .LBB143_27
.LBB143_26:                             ;   in Loop: Header=BB143_27 Depth=3
	s_add_co_i32 s21, s21, s27
	v_add_nc_u32_e32 v22, s34, v22
	s_add_co_i32 s37, s28, s21
	s_add_co_i32 s35, s35, s36
	s_cmp_ge_i32 s37, s22
	s_cbranch_scc1 .LBB143_23
.LBB143_27:                             ;   Parent Loop BB143_3 Depth=1
                                        ;     Parent Loop BB143_24 Depth=2
                                        ; =>    This Loop Header: Depth=3
                                        ;         Child Loop BB143_28 Depth 4
                                        ;         Child Loop BB143_32 Depth 4
                                        ;           Child Loop BB143_34 Depth 5
                                        ;           Child Loop BB143_40 Depth 5
                                        ;         Child Loop BB143_43 Depth 4
                                        ;           Child Loop BB143_45 Depth 5
	v_dual_mov_b32 v12, v3 :: v_dual_mov_b32 v13, v22
	s_mov_b32 s37, s29
.LBB143_28:                             ;   Parent Loop BB143_3 Depth=1
                                        ;     Parent Loop BB143_24 Depth=2
                                        ;       Parent Loop BB143_27 Depth=3
                                        ; =>      This Inner Loop Header: Depth=4
	ds_load_b64 v[14:15], v13
	v_add_nc_u32_e32 v13, 0x60, v13
	s_add_co_i32 s37, s37, -1
	s_delay_alu instid0(SALU_CYCLE_1)
	s_cmp_eq_u32 s37, 0
	s_wait_dscnt 0x0
	ds_store_b64 v12, v[14:15]
	v_add_nc_u32_e32 v12, 8, v12
	s_cbranch_scc0 .LBB143_28
; %bb.29:                               ;   in Loop: Header=BB143_27 Depth=3
	s_cmp_lt_i32 s21, 1
	s_cbranch_scc1 .LBB143_41
; %bb.30:                               ;   in Loop: Header=BB143_27 Depth=3
	s_mov_b32 s37, s21
	s_mov_b32 s38, 0
	;; [unrolled: 1-line block ×3, first 2 shown]
	s_branch .LBB143_32
.LBB143_31:                             ;   in Loop: Header=BB143_32 Depth=4
	s_add_co_i32 s39, s39, 1
	s_add_co_i32 s38, s38, 8
	s_cmp_eq_u32 s39, s21
	s_cbranch_scc1 .LBB143_41
.LBB143_32:                             ;   Parent Loop BB143_3 Depth=1
                                        ;     Parent Loop BB143_24 Depth=2
                                        ;       Parent Loop BB143_27 Depth=3
                                        ; =>      This Loop Header: Depth=4
                                        ;           Child Loop BB143_34 Depth 5
                                        ;           Child Loop BB143_40 Depth 5
	v_mad_u32 v12, 0x60, s39, v20
	s_and_b32 vcc_lo, exec_lo, s30
	ds_load_b64 v[12:13], v12
	s_cbranch_vccz .LBB143_36
; %bb.33:                               ;   in Loop: Header=BB143_32 Depth=4
	s_wait_dscnt 0x0
	v_dual_mov_b32 v16, v12 :: v_dual_mov_b32 v17, v12
	v_dual_mov_b32 v14, v13 :: v_dual_mov_b32 v18, v13
	;; [unrolled: 1-line block ×3, first 2 shown]
	s_lshl_b32 s40, s39, 3
	s_mov_b32 s41, 1
	s_mov_b32 s42, 0
	;; [unrolled: 1-line block ×3, first 2 shown]
.LBB143_34:                             ;   Parent Loop BB143_3 Depth=1
                                        ;     Parent Loop BB143_24 Depth=2
                                        ;       Parent Loop BB143_27 Depth=3
                                        ;         Parent Loop BB143_32 Depth=4
                                        ; =>        This Inner Loop Header: Depth=5
	s_add_co_i32 s44, s42, s21
	s_add_co_i32 s45, s41, s37
	s_mulk_i32 s44, 0x60
	s_mulk_i32 s45, 0x60
	s_add_co_i32 s44, s40, s44
	s_add_co_i32 s45, s40, s45
	s_delay_alu instid0(SALU_CYCLE_1)
	v_dual_mov_b32 v23, s44 :: v_dual_mov_b32 v24, s45
	s_add_co_i32 s43, s43, -2
	s_add_co_i32 s42, s42, 2
	s_add_co_i32 s41, s41, 2
	ds_load_b64 v[28:29], v23
	ds_load_b64 v[30:31], v24
	ds_load_b128 v[24:27], v15
	s_cmp_lg_u32 s43, 0
	s_wait_dscnt 0x1
	v_dual_mov_b32 v34, v28 :: v_dual_mov_b32 v35, v30
	s_wait_dscnt 0x0
	v_dual_mov_b32 v30, v29 :: v_dual_mov_b32 v32, v24
	v_dual_mov_b32 v33, v26 :: v_dual_mov_b32 v26, v25
	s_delay_alu instid0(VALU_DEP_2) | instskip(SKIP_1) | instid1(VALU_DEP_2)
	v_pk_mul_f32 v[28:29], v[30:31], v[18:19]
	v_pk_mul_f32 v[30:31], v[30:31], v[16:17]
	v_pk_fma_f32 v[24:25], v[34:35], v[16:17], v[28:29] neg_lo:[0,0,1] neg_hi:[0,0,1]
	s_delay_alu instid0(VALU_DEP_2) | instskip(NEXT) | instid1(VALU_DEP_2)
	v_pk_fma_f32 v[28:29], v[34:35], v[18:19], v[30:31]
	v_pk_add_f32 v[30:31], v[32:33], v[24:25] neg_lo:[0,1] neg_hi:[0,1]
	s_delay_alu instid0(VALU_DEP_2) | instskip(NEXT) | instid1(VALU_DEP_1)
	v_pk_add_f32 v[26:27], v[26:27], v[28:29] neg_lo:[0,1] neg_hi:[0,1]
	v_dual_mov_b32 v24, v30 :: v_dual_mov_b32 v25, v26
	s_delay_alu instid0(VALU_DEP_3)
	v_mov_b32_e32 v26, v31
	ds_store_b128 v15, v[24:27]
	v_add_nc_u32_e32 v15, 16, v15
	s_cbranch_scc1 .LBB143_34
; %bb.35:                               ;   in Loop: Header=BB143_32 Depth=4
	s_mov_b32 s40, s33
	s_mov_b32 s41, s31
	s_branch .LBB143_38
.LBB143_36:                             ;   in Loop: Header=BB143_32 Depth=4
	s_wait_dscnt 0x0
	v_mov_b32_e32 v14, v13
	s_mov_b32 s40, 0
	s_mov_b32 s41, s31
	s_cbranch_execz .LBB143_38
; %bb.37:                               ;   in Loop: Header=BB143_32 Depth=4
	s_mov_b32 s40, -1
	s_mov_b32 s41, 0
.LBB143_38:                             ;   in Loop: Header=BB143_32 Depth=4
	s_and_not1_b32 vcc_lo, exec_lo, s40
	s_cbranch_vccnz .LBB143_31
; %bb.39:                               ;   in Loop: Header=BB143_32 Depth=4
	s_add_co_i32 s40, s21, s41
	v_dual_mov_b32 v15, v13 :: v_dual_mov_b32 v13, v12
	v_lshl_add_u32 v16, s41, 3, v3
	s_mul_i32 s42, s40, 0x60
	s_sub_co_i32 s40, s29, s41
	s_add_co_i32 s41, s38, s42
.LBB143_40:                             ;   Parent Loop BB143_3 Depth=1
                                        ;     Parent Loop BB143_24 Depth=2
                                        ;       Parent Loop BB143_27 Depth=3
                                        ;         Parent Loop BB143_32 Depth=4
                                        ; =>        This Inner Loop Header: Depth=5
	s_delay_alu instid0(SALU_CYCLE_1)
	v_mov_b32_e32 v17, s41
	s_add_co_i32 s40, s40, -1
	s_addk_co_i32 s41, 0x60
	s_cmp_eq_u32 s40, 0
	ds_load_b64 v[18:19], v17
	ds_load_b64 v[24:25], v16
	s_wait_dscnt 0x1
	v_pk_mul_f32 v[26:27], v[18:19], v[14:15] op_sel:[1,0] op_sel_hi:[0,1]
	s_delay_alu instid0(VALU_DEP_1) | instskip(SKIP_1) | instid1(VALU_DEP_2)
	v_pk_fma_f32 v[28:29], v[18:19], v[12:13], v[26:27]
	v_pk_fma_f32 v[18:19], v[18:19], v[12:13], v[26:27] neg_lo:[0,0,1] neg_hi:[0,0,1]
	v_mov_b32_e32 v19, v29
	s_wait_dscnt 0x0
	s_delay_alu instid0(VALU_DEP_1)
	v_pk_add_f32 v[18:19], v[24:25], v[18:19] neg_lo:[0,1] neg_hi:[0,1]
	ds_store_b64 v16, v[18:19]
	v_add_nc_u32_e32 v16, 8, v16
	s_cbranch_scc0 .LBB143_40
	s_branch .LBB143_31
.LBB143_41:                             ;   in Loop: Header=BB143_27 Depth=3
	s_mul_i32 s37, s21, 0x60
	s_mov_b32 s38, 0
	s_mov_b32 s39, s35
	s_branch .LBB143_43
.LBB143_42:                             ;   in Loop: Header=BB143_43 Depth=4
	s_mulk_i32 s41, 0x68
	s_add_co_i32 s38, s38, 1
	v_mov_b32_e32 v13, s41
	s_addk_co_i32 s39, 0x60
	s_cmp_eq_u32 s38, s29
	ds_load_b64 v[16:17], v13
	s_wait_dscnt 0x0
	v_pk_mul_f32 v[18:19], v[16:17], v[14:15] op_sel:[1,0] op_sel_hi:[0,0]
	v_add_nc_u32_e32 v14, s40, v20
	s_delay_alu instid0(VALU_DEP_2) | instskip(SKIP_1) | instid1(VALU_DEP_2)
	v_pk_fma_f32 v[24:25], v[16:17], v[12:13], v[18:19] op_sel_hi:[1,0,1]
	v_pk_fma_f32 v[12:13], v[16:17], v[12:13], v[18:19] neg_lo:[0,0,1] neg_hi:[0,0,1]
	v_mov_b32_e32 v13, v25
	ds_store_b64 v15, v[12:13]
	ds_store_b64 v14, v[12:13]
	s_cbranch_scc1 .LBB143_26
.LBB143_43:                             ;   Parent Loop BB143_3 Depth=1
                                        ;     Parent Loop BB143_24 Depth=2
                                        ;       Parent Loop BB143_27 Depth=3
                                        ; =>      This Loop Header: Depth=4
                                        ;           Child Loop BB143_45 Depth 5
	v_lshl_add_u32 v15, s38, 3, v3
	s_cmp_lg_u32 s38, 0
	s_cbranch_scc0 .LBB143_47
; %bb.44:                               ;   in Loop: Header=BB143_43 Depth=4
	ds_load_b64 v[12:13], v15
	v_mov_b32_e32 v14, v3
	s_mov_b32 s40, s39
	s_mov_b32 s41, s38
.LBB143_45:                             ;   Parent Loop BB143_3 Depth=1
                                        ;     Parent Loop BB143_24 Depth=2
                                        ;       Parent Loop BB143_27 Depth=3
                                        ;         Parent Loop BB143_43 Depth=4
                                        ; =>        This Inner Loop Header: Depth=5
	v_mov_b32_e32 v18, s40
	s_add_co_i32 s41, s41, -1
	s_add_co_i32 s40, s40, 8
	s_cmp_eq_u32 s41, 0
	ds_load_b64 v[16:17], v14
	ds_load_b64 v[18:19], v18
	v_add_nc_u32_e32 v14, 8, v14
	s_wait_dscnt 0x0
	v_pk_mul_f32 v[24:25], v[18:19], v[16:17] op_sel:[1,1] op_sel_hi:[0,1]
	s_delay_alu instid0(VALU_DEP_1) | instskip(SKIP_1) | instid1(VALU_DEP_2)
	v_pk_fma_f32 v[26:27], v[18:19], v[16:17], v[24:25] op_sel_hi:[1,0,1]
	v_pk_fma_f32 v[16:17], v[18:19], v[16:17], v[24:25] neg_lo:[0,0,1] neg_hi:[0,0,1]
	v_mov_b32_e32 v17, v27
	s_delay_alu instid0(VALU_DEP_1)
	v_pk_add_f32 v[12:13], v[12:13], v[16:17] neg_lo:[0,1] neg_hi:[0,1]
	ds_store_b64 v15, v[12:13]
	s_cbranch_scc0 .LBB143_45
; %bb.46:                               ;   in Loop: Header=BB143_43 Depth=4
	v_mov_b32_e32 v14, v13
	s_add_co_i32 s41, s38, s21
	s_delay_alu instid0(SALU_CYCLE_1)
	s_mul_i32 s40, s41, 0x60
	s_branch .LBB143_42
.LBB143_47:                             ;   in Loop: Header=BB143_43 Depth=4
                                        ; implicit-def: $vgpr12
                                        ; implicit-def: $vgpr14
                                        ; implicit-def: $sgpr41
                                        ; implicit-def: $sgpr40
	s_cbranch_execz .LBB143_42
; %bb.48:                               ;   in Loop: Header=BB143_43 Depth=4
	ds_load_b64 v[12:13], v3
	s_mov_b32 s40, s37
	s_mov_b32 s41, s21
	s_wait_dscnt 0x0
	v_mov_b32_e32 v14, v13
	s_branch .LBB143_42
.LBB143_49:                             ;   in Loop: Header=BB143_3 Depth=1
	s_mov_b32 s21, 0
.LBB143_50:                             ;   in Loop: Header=BB143_3 Depth=1
	s_delay_alu instid0(SALU_CYCLE_1)
	s_and_b32 vcc_lo, exec_lo, s21
	s_cbranch_vccz .LBB143_78
; %bb.51:                               ;   in Loop: Header=BB143_3 Depth=1
	s_mov_b32 s26, 0
	s_mov_b32 s21, s23
	s_branch .LBB143_53
.LBB143_52:                             ;   in Loop: Header=BB143_53 Depth=2
	s_cmp_gt_i32 s21, -1
	s_cselect_b32 s27, -1, 0
	s_add_co_i32 s28, s26, 1
	s_cmp_lt_u32 s26, 2
	s_wait_xcnt 0x0
	s_cselect_b32 s26, -1, 0
	s_delay_alu instid0(SALU_CYCLE_1) | instskip(NEXT) | instid1(SALU_CYCLE_1)
	s_and_b32 s26, s27, s26
	s_and_not1_b32 vcc_lo, exec_lo, s26
	s_mov_b32 s26, s28
	s_cbranch_vccnz .LBB143_78
.LBB143_53:                             ;   Parent Loop BB143_3 Depth=1
                                        ; =>  This Loop Header: Depth=2
                                        ;       Child Loop BB143_56 Depth 3
                                        ;         Child Loop BB143_57 Depth 4
                                        ;         Child Loop BB143_61 Depth 4
                                        ;           Child Loop BB143_63 Depth 5
                                        ;           Child Loop BB143_69 Depth 5
                                        ;         Child Loop BB143_72 Depth 4
                                        ;           Child Loop BB143_74 Depth 5
	s_load_b32 s27, s[8:9], s26 offset:0x0 scale_offset
	s_wait_kmcnt 0x0
	s_add_co_i32 s28, s27, -1
	s_delay_alu instid0(SALU_CYCLE_1)
	s_cmp_lt_i32 s21, s28
	s_cbranch_scc1 .LBB143_52
; %bb.54:                               ;   in Loop: Header=BB143_53 Depth=2
	s_max_i32 s29, s27, 1
	v_mad_u32 v22, 0x60, s21, v20
	s_cmp_lg_u32 s26, 2
	s_mul_i32 s33, s27, 0xffffffa0
	s_cselect_b32 s30, -1, 0
	s_and_b32 s31, s29, 0x7ffffffe
	s_mul_i32 s37, s21, 0x68
	s_cmp_lg_u32 s29, s31
	s_mul_i32 s38, s27, 0xffffff98
	s_cselect_b32 s34, -1, 0
	s_lshl_b32 s35, s21, 3
	s_lshl_b32 s36, s27, 3
	s_add_co_i32 s35, s20, s35
	s_sub_co_i32 s36, 0, s36
	s_branch .LBB143_56
.LBB143_55:                             ;   in Loop: Header=BB143_56 Depth=3
	v_add_nc_u32_e32 v22, s33, v22
	s_sub_co_i32 s21, s21, s27
	s_add_co_i32 s35, s35, s36
	s_add_co_i32 s37, s37, s38
	s_cmp_lt_i32 s21, s28
	s_cbranch_scc1 .LBB143_52
.LBB143_56:                             ;   Parent Loop BB143_3 Depth=1
                                        ;     Parent Loop BB143_53 Depth=2
                                        ; =>    This Loop Header: Depth=3
                                        ;         Child Loop BB143_57 Depth 4
                                        ;         Child Loop BB143_61 Depth 4
                                        ;           Child Loop BB143_63 Depth 5
                                        ;           Child Loop BB143_69 Depth 5
                                        ;         Child Loop BB143_72 Depth 4
                                        ;           Child Loop BB143_74 Depth 5
	v_dual_mov_b32 v12, v3 :: v_dual_mov_b32 v13, v22
	s_mov_b32 s39, s29
.LBB143_57:                             ;   Parent Loop BB143_3 Depth=1
                                        ;     Parent Loop BB143_53 Depth=2
                                        ;       Parent Loop BB143_56 Depth=3
                                        ; =>      This Inner Loop Header: Depth=4
	ds_load_b64 v[14:15], v13
	v_add_nc_u32_e32 v13, 0xffffffa0, v13
	s_add_co_i32 s39, s39, -1
	s_delay_alu instid0(SALU_CYCLE_1)
	s_cmp_eq_u32 s39, 0
	s_wait_dscnt 0x0
	ds_store_b64 v12, v[14:15]
	v_add_nc_u32_e32 v12, 8, v12
	s_cbranch_scc0 .LBB143_57
; %bb.58:                               ;   in Loop: Header=BB143_56 Depth=3
	s_cmp_le_i32 s23, s21
	s_cbranch_scc1 .LBB143_70
; %bb.59:                               ;   in Loop: Header=BB143_56 Depth=3
	s_mov_b32 s39, s21
	s_mov_b32 s40, s35
	;; [unrolled: 1-line block ×3, first 2 shown]
	s_branch .LBB143_61
.LBB143_60:                             ;   in Loop: Header=BB143_61 Depth=4
	s_add_co_i32 s41, s41, -1
	s_addk_co_i32 s40, 0xffa0
	s_cmp_le_i32 s41, s21
	s_cbranch_scc1 .LBB143_70
.LBB143_61:                             ;   Parent Loop BB143_3 Depth=1
                                        ;     Parent Loop BB143_53 Depth=2
                                        ;       Parent Loop BB143_56 Depth=3
                                        ; =>      This Loop Header: Depth=4
                                        ;           Child Loop BB143_63 Depth 5
                                        ;           Child Loop BB143_69 Depth 5
	s_mul_i32 s42, s41, 12
	s_and_b32 vcc_lo, exec_lo, s30
	v_lshl_add_u32 v12, s42, 3, v20
	ds_load_b64 v[12:13], v12
	s_cbranch_vccz .LBB143_65
; %bb.62:                               ;   in Loop: Header=BB143_61 Depth=4
	s_wait_dscnt 0x0
	v_dual_mov_b32 v16, v12 :: v_dual_mov_b32 v17, v12
	v_dual_mov_b32 v14, v13 :: v_dual_mov_b32 v18, v13
	;; [unrolled: 1-line block ×3, first 2 shown]
	s_lshl_b32 s42, s42, 3
	s_mov_b32 s43, 1
	s_mov_b32 s44, 0
	;; [unrolled: 1-line block ×3, first 2 shown]
.LBB143_63:                             ;   Parent Loop BB143_3 Depth=1
                                        ;     Parent Loop BB143_53 Depth=2
                                        ;       Parent Loop BB143_56 Depth=3
                                        ;         Parent Loop BB143_61 Depth=4
                                        ; =>        This Inner Loop Header: Depth=5
	s_sub_co_i32 s46, s21, s44
	s_sub_co_i32 s47, s39, s43
	s_lshl_b32 s46, s46, 3
	s_lshl_b32 s47, s47, 3
	s_add_co_i32 s46, s42, s46
	s_add_co_i32 s47, s42, s47
	s_delay_alu instid0(SALU_CYCLE_1)
	v_dual_mov_b32 v23, s46 :: v_dual_mov_b32 v24, s47
	s_add_co_i32 s45, s45, -2
	s_add_co_i32 s44, s44, 2
	s_add_co_i32 s43, s43, 2
	ds_load_b64 v[28:29], v23
	ds_load_b64 v[30:31], v24
	ds_load_b128 v[24:27], v15
	s_cmp_lg_u32 s45, 0
	s_wait_dscnt 0x1
	v_dual_mov_b32 v34, v28 :: v_dual_mov_b32 v35, v30
	s_wait_dscnt 0x0
	v_dual_mov_b32 v30, v29 :: v_dual_mov_b32 v32, v24
	v_dual_mov_b32 v33, v26 :: v_dual_mov_b32 v26, v25
	s_delay_alu instid0(VALU_DEP_2) | instskip(SKIP_1) | instid1(VALU_DEP_2)
	v_pk_mul_f32 v[28:29], v[30:31], v[18:19]
	v_pk_mul_f32 v[30:31], v[30:31], v[16:17]
	v_pk_fma_f32 v[24:25], v[34:35], v[16:17], v[28:29] neg_lo:[0,0,1] neg_hi:[0,0,1]
	s_delay_alu instid0(VALU_DEP_2) | instskip(NEXT) | instid1(VALU_DEP_2)
	v_pk_fma_f32 v[28:29], v[34:35], v[18:19], v[30:31]
	v_pk_add_f32 v[30:31], v[32:33], v[24:25] neg_lo:[0,1] neg_hi:[0,1]
	s_delay_alu instid0(VALU_DEP_2) | instskip(NEXT) | instid1(VALU_DEP_1)
	v_pk_add_f32 v[26:27], v[26:27], v[28:29] neg_lo:[0,1] neg_hi:[0,1]
	v_dual_mov_b32 v24, v30 :: v_dual_mov_b32 v25, v26
	s_delay_alu instid0(VALU_DEP_3)
	v_mov_b32_e32 v26, v31
	ds_store_b128 v15, v[24:27]
	v_add_nc_u32_e32 v15, 16, v15
	s_cbranch_scc1 .LBB143_63
; %bb.64:                               ;   in Loop: Header=BB143_61 Depth=4
	s_mov_b32 s42, s34
	s_mov_b32 s43, s31
	s_branch .LBB143_67
.LBB143_65:                             ;   in Loop: Header=BB143_61 Depth=4
	s_wait_dscnt 0x0
	v_mov_b32_e32 v14, v13
	s_mov_b32 s42, 0
	s_mov_b32 s43, s31
	s_cbranch_execz .LBB143_67
; %bb.66:                               ;   in Loop: Header=BB143_61 Depth=4
	s_mov_b32 s42, -1
	s_mov_b32 s43, 0
.LBB143_67:                             ;   in Loop: Header=BB143_61 Depth=4
	s_and_not1_b32 vcc_lo, exec_lo, s42
	s_cbranch_vccnz .LBB143_60
; %bb.68:                               ;   in Loop: Header=BB143_61 Depth=4
	s_lshl_b32 s44, s43, 3
	v_dual_mov_b32 v15, v13 :: v_dual_mov_b32 v13, v12
	v_add_nc_u32_e32 v16, s44, v3
	s_sub_co_i32 s42, s29, s43
	s_sub_co_i32 s43, s40, s44
.LBB143_69:                             ;   Parent Loop BB143_3 Depth=1
                                        ;     Parent Loop BB143_53 Depth=2
                                        ;       Parent Loop BB143_56 Depth=3
                                        ;         Parent Loop BB143_61 Depth=4
                                        ; =>        This Inner Loop Header: Depth=5
	s_delay_alu instid0(SALU_CYCLE_1)
	v_mov_b32_e32 v17, s43
	s_add_co_i32 s42, s42, -1
	s_add_co_i32 s43, s43, -8
	s_cmp_eq_u32 s42, 0
	ds_load_b64 v[18:19], v17
	ds_load_b64 v[24:25], v16
	s_wait_dscnt 0x1
	v_pk_mul_f32 v[26:27], v[18:19], v[14:15] op_sel:[1,0] op_sel_hi:[0,1]
	s_delay_alu instid0(VALU_DEP_1) | instskip(SKIP_1) | instid1(VALU_DEP_2)
	v_pk_fma_f32 v[28:29], v[18:19], v[12:13], v[26:27]
	v_pk_fma_f32 v[18:19], v[18:19], v[12:13], v[26:27] neg_lo:[0,0,1] neg_hi:[0,0,1]
	v_mov_b32_e32 v19, v29
	s_wait_dscnt 0x0
	s_delay_alu instid0(VALU_DEP_1)
	v_pk_add_f32 v[18:19], v[24:25], v[18:19] neg_lo:[0,1] neg_hi:[0,1]
	ds_store_b64 v16, v[18:19]
	v_add_nc_u32_e32 v16, 8, v16
	s_cbranch_scc0 .LBB143_69
	s_branch .LBB143_60
.LBB143_70:                             ;   in Loop: Header=BB143_56 Depth=3
	s_mov_b32 s39, 0
	s_mov_b32 s40, s37
	s_branch .LBB143_72
.LBB143_71:                             ;   in Loop: Header=BB143_72 Depth=4
	s_mul_i32 s42, s41, 0x68
	s_add_co_i32 s39, s39, 1
	v_mov_b32_e32 v13, s42
	s_add_co_i32 s40, s40, -8
	s_cmp_eq_u32 s39, s29
	ds_load_b64 v[16:17], v13
	s_wait_dscnt 0x0
	v_pk_mul_f32 v[18:19], v[16:17], v[14:15] op_sel:[1,0] op_sel_hi:[0,0]
	v_mad_u32 v14, 0x60, s41, v20
	s_delay_alu instid0(VALU_DEP_2) | instskip(SKIP_1) | instid1(VALU_DEP_2)
	v_pk_fma_f32 v[24:25], v[16:17], v[12:13], v[18:19] op_sel_hi:[1,0,1]
	v_pk_fma_f32 v[12:13], v[16:17], v[12:13], v[18:19] neg_lo:[0,0,1] neg_hi:[0,0,1]
	v_mov_b32_e32 v13, v25
	ds_store_b64 v15, v[12:13]
	ds_store_b64 v14, v[12:13]
	s_cbranch_scc1 .LBB143_55
.LBB143_72:                             ;   Parent Loop BB143_3 Depth=1
                                        ;     Parent Loop BB143_53 Depth=2
                                        ;       Parent Loop BB143_56 Depth=3
                                        ; =>      This Loop Header: Depth=4
                                        ;           Child Loop BB143_74 Depth 5
	v_lshl_add_u32 v15, s39, 3, v3
	s_cmp_lg_u32 s39, 0
	s_cbranch_scc0 .LBB143_76
; %bb.73:                               ;   in Loop: Header=BB143_72 Depth=4
	ds_load_b64 v[12:13], v15
	v_mov_b32_e32 v14, v3
	s_mov_b32 s41, s40
	s_mov_b32 s42, s39
.LBB143_74:                             ;   Parent Loop BB143_3 Depth=1
                                        ;     Parent Loop BB143_53 Depth=2
                                        ;       Parent Loop BB143_56 Depth=3
                                        ;         Parent Loop BB143_72 Depth=4
                                        ; =>        This Inner Loop Header: Depth=5
	v_mov_b32_e32 v18, s41
	s_add_co_i32 s42, s42, -1
	s_addk_co_i32 s41, 0xffa0
	s_cmp_eq_u32 s42, 0
	ds_load_b64 v[16:17], v14
	ds_load_b64 v[18:19], v18
	v_add_nc_u32_e32 v14, 8, v14
	s_wait_dscnt 0x0
	v_pk_mul_f32 v[24:25], v[18:19], v[16:17] op_sel:[1,1] op_sel_hi:[0,1]
	s_delay_alu instid0(VALU_DEP_1) | instskip(SKIP_1) | instid1(VALU_DEP_2)
	v_pk_fma_f32 v[26:27], v[18:19], v[16:17], v[24:25] op_sel_hi:[1,0,1]
	v_pk_fma_f32 v[16:17], v[18:19], v[16:17], v[24:25] neg_lo:[0,0,1] neg_hi:[0,0,1]
	v_mov_b32_e32 v17, v27
	s_delay_alu instid0(VALU_DEP_1)
	v_pk_add_f32 v[12:13], v[12:13], v[16:17] neg_lo:[0,1] neg_hi:[0,1]
	ds_store_b64 v15, v[12:13]
	s_cbranch_scc0 .LBB143_74
; %bb.75:                               ;   in Loop: Header=BB143_72 Depth=4
	v_mov_b32_e32 v14, v13
	s_sub_co_i32 s41, s21, s39
	s_branch .LBB143_71
.LBB143_76:                             ;   in Loop: Header=BB143_72 Depth=4
                                        ; implicit-def: $vgpr12
                                        ; implicit-def: $vgpr14
                                        ; implicit-def: $sgpr41
	s_cbranch_execz .LBB143_71
; %bb.77:                               ;   in Loop: Header=BB143_72 Depth=4
	ds_load_b64 v[12:13], v3
	s_mov_b32 s41, s21
	s_wait_dscnt 0x0
	v_mov_b32_e32 v14, v13
	s_branch .LBB143_71
.LBB143_78:                             ;   in Loop: Header=BB143_3 Depth=1
	s_wait_dscnt 0x0
	; wave barrier
	s_and_saveexec_b32 s21, s14
	s_cbranch_execz .LBB143_2
; %bb.79:                               ;   in Loop: Header=BB143_3 Depth=1
	v_add_nc_u64_e32 v[12:13], s[12:13], v[4:5]
	v_mov_b32_e32 v14, v20
	s_mov_b32 s12, s22
.LBB143_80:                             ;   Parent Loop BB143_3 Depth=1
                                        ; =>  This Inner Loop Header: Depth=2
	ds_load_b64 v[16:17], v14
	v_add_nc_u32_e32 v14, 0x60, v14
	s_add_co_i32 s12, s12, -1
	s_delay_alu instid0(SALU_CYCLE_1)
	s_cmp_lg_u32 s12, 0
	s_wait_dscnt 0x0
	global_store_b64 v[12:13], v[16:17], off
	s_wait_xcnt 0x0
	v_add_nc_u64_e32 v[12:13], 8, v[12:13]
	s_cbranch_scc1 .LBB143_80
	s_branch .LBB143_2
.LBB143_81:
	s_endpgm
	.section	.rodata,"a",@progbits
	.p2align	6, 0x0
	.amdhsa_kernel _ZL38rocblas_trsm_small_left_device_sharedBILi12ELi12ELb0E19rocblas_complex_numIfES1_PKS1_PS1_Ev13rocblas_fill_18rocblas_operation_17rocblas_diagonal_iiT3_T4_lilT5_lili
		.amdhsa_group_segment_fixed_size 3456
		.amdhsa_private_segment_fixed_size 0
		.amdhsa_kernarg_size 360
		.amdhsa_user_sgpr_count 4
		.amdhsa_user_sgpr_dispatch_ptr 1
		.amdhsa_user_sgpr_queue_ptr 0
		.amdhsa_user_sgpr_kernarg_segment_ptr 1
		.amdhsa_user_sgpr_dispatch_id 0
		.amdhsa_user_sgpr_kernarg_preload_length 0
		.amdhsa_user_sgpr_kernarg_preload_offset 0
		.amdhsa_user_sgpr_private_segment_size 0
		.amdhsa_wavefront_size32 1
		.amdhsa_uses_dynamic_stack 0
		.amdhsa_enable_private_segment 0
		.amdhsa_system_sgpr_workgroup_id_x 1
		.amdhsa_system_sgpr_workgroup_id_y 0
		.amdhsa_system_sgpr_workgroup_id_z 1
		.amdhsa_system_sgpr_workgroup_info 0
		.amdhsa_system_vgpr_workitem_id 2
		.amdhsa_next_free_vgpr 36
		.amdhsa_next_free_sgpr 48
		.amdhsa_named_barrier_count 0
		.amdhsa_reserve_vcc 1
		.amdhsa_float_round_mode_32 0
		.amdhsa_float_round_mode_16_64 0
		.amdhsa_float_denorm_mode_32 3
		.amdhsa_float_denorm_mode_16_64 3
		.amdhsa_fp16_overflow 0
		.amdhsa_memory_ordered 1
		.amdhsa_forward_progress 1
		.amdhsa_inst_pref_size 29
		.amdhsa_round_robin_scheduling 0
		.amdhsa_exception_fp_ieee_invalid_op 0
		.amdhsa_exception_fp_denorm_src 0
		.amdhsa_exception_fp_ieee_div_zero 0
		.amdhsa_exception_fp_ieee_overflow 0
		.amdhsa_exception_fp_ieee_underflow 0
		.amdhsa_exception_fp_ieee_inexact 0
		.amdhsa_exception_int_div_zero 0
	.end_amdhsa_kernel
	.section	.text._ZL38rocblas_trsm_small_left_device_sharedBILi12ELi12ELb0E19rocblas_complex_numIfES1_PKS1_PS1_Ev13rocblas_fill_18rocblas_operation_17rocblas_diagonal_iiT3_T4_lilT5_lili,"axG",@progbits,_ZL38rocblas_trsm_small_left_device_sharedBILi12ELi12ELb0E19rocblas_complex_numIfES1_PKS1_PS1_Ev13rocblas_fill_18rocblas_operation_17rocblas_diagonal_iiT3_T4_lilT5_lili,comdat
.Lfunc_end143:
	.size	_ZL38rocblas_trsm_small_left_device_sharedBILi12ELi12ELb0E19rocblas_complex_numIfES1_PKS1_PS1_Ev13rocblas_fill_18rocblas_operation_17rocblas_diagonal_iiT3_T4_lilT5_lili, .Lfunc_end143-_ZL38rocblas_trsm_small_left_device_sharedBILi12ELi12ELb0E19rocblas_complex_numIfES1_PKS1_PS1_Ev13rocblas_fill_18rocblas_operation_17rocblas_diagonal_iiT3_T4_lilT5_lili
                                        ; -- End function
	.set _ZL38rocblas_trsm_small_left_device_sharedBILi12ELi12ELb0E19rocblas_complex_numIfES1_PKS1_PS1_Ev13rocblas_fill_18rocblas_operation_17rocblas_diagonal_iiT3_T4_lilT5_lili.num_vgpr, 36
	.set _ZL38rocblas_trsm_small_left_device_sharedBILi12ELi12ELb0E19rocblas_complex_numIfES1_PKS1_PS1_Ev13rocblas_fill_18rocblas_operation_17rocblas_diagonal_iiT3_T4_lilT5_lili.num_agpr, 0
	.set _ZL38rocblas_trsm_small_left_device_sharedBILi12ELi12ELb0E19rocblas_complex_numIfES1_PKS1_PS1_Ev13rocblas_fill_18rocblas_operation_17rocblas_diagonal_iiT3_T4_lilT5_lili.numbered_sgpr, 48
	.set _ZL38rocblas_trsm_small_left_device_sharedBILi12ELi12ELb0E19rocblas_complex_numIfES1_PKS1_PS1_Ev13rocblas_fill_18rocblas_operation_17rocblas_diagonal_iiT3_T4_lilT5_lili.num_named_barrier, 0
	.set _ZL38rocblas_trsm_small_left_device_sharedBILi12ELi12ELb0E19rocblas_complex_numIfES1_PKS1_PS1_Ev13rocblas_fill_18rocblas_operation_17rocblas_diagonal_iiT3_T4_lilT5_lili.private_seg_size, 0
	.set _ZL38rocblas_trsm_small_left_device_sharedBILi12ELi12ELb0E19rocblas_complex_numIfES1_PKS1_PS1_Ev13rocblas_fill_18rocblas_operation_17rocblas_diagonal_iiT3_T4_lilT5_lili.uses_vcc, 1
	.set _ZL38rocblas_trsm_small_left_device_sharedBILi12ELi12ELb0E19rocblas_complex_numIfES1_PKS1_PS1_Ev13rocblas_fill_18rocblas_operation_17rocblas_diagonal_iiT3_T4_lilT5_lili.uses_flat_scratch, 0
	.set _ZL38rocblas_trsm_small_left_device_sharedBILi12ELi12ELb0E19rocblas_complex_numIfES1_PKS1_PS1_Ev13rocblas_fill_18rocblas_operation_17rocblas_diagonal_iiT3_T4_lilT5_lili.has_dyn_sized_stack, 0
	.set _ZL38rocblas_trsm_small_left_device_sharedBILi12ELi12ELb0E19rocblas_complex_numIfES1_PKS1_PS1_Ev13rocblas_fill_18rocblas_operation_17rocblas_diagonal_iiT3_T4_lilT5_lili.has_recursion, 0
	.set _ZL38rocblas_trsm_small_left_device_sharedBILi12ELi12ELb0E19rocblas_complex_numIfES1_PKS1_PS1_Ev13rocblas_fill_18rocblas_operation_17rocblas_diagonal_iiT3_T4_lilT5_lili.has_indirect_call, 0
	.section	.AMDGPU.csdata,"",@progbits
; Kernel info:
; codeLenInByte = 3612
; TotalNumSgprs: 50
; NumVgprs: 36
; ScratchSize: 0
; MemoryBound: 0
; FloatMode: 240
; IeeeMode: 1
; LDSByteSize: 3456 bytes/workgroup (compile time only)
; SGPRBlocks: 0
; VGPRBlocks: 2
; NumSGPRsForWavesPerEU: 50
; NumVGPRsForWavesPerEU: 36
; NamedBarCnt: 0
; Occupancy: 16
; WaveLimiterHint : 0
; COMPUTE_PGM_RSRC2:SCRATCH_EN: 0
; COMPUTE_PGM_RSRC2:USER_SGPR: 4
; COMPUTE_PGM_RSRC2:TRAP_HANDLER: 0
; COMPUTE_PGM_RSRC2:TGID_X_EN: 1
; COMPUTE_PGM_RSRC2:TGID_Y_EN: 0
; COMPUTE_PGM_RSRC2:TGID_Z_EN: 1
; COMPUTE_PGM_RSRC2:TIDIG_COMP_CNT: 2
	.section	.text._ZL30rocblas_trsm_small_left_deviceILi12ELi12ELb0E19rocblas_complex_numIfES1_PKS1_PS1_Ev13rocblas_fill_18rocblas_operation_17rocblas_diagonal_iiT3_T4_lilT5_lili,"axG",@progbits,_ZL30rocblas_trsm_small_left_deviceILi12ELi12ELb0E19rocblas_complex_numIfES1_PKS1_PS1_Ev13rocblas_fill_18rocblas_operation_17rocblas_diagonal_iiT3_T4_lilT5_lili,comdat
	.globl	_ZL30rocblas_trsm_small_left_deviceILi12ELi12ELb0E19rocblas_complex_numIfES1_PKS1_PS1_Ev13rocblas_fill_18rocblas_operation_17rocblas_diagonal_iiT3_T4_lilT5_lili ; -- Begin function _ZL30rocblas_trsm_small_left_deviceILi12ELi12ELb0E19rocblas_complex_numIfES1_PKS1_PS1_Ev13rocblas_fill_18rocblas_operation_17rocblas_diagonal_iiT3_T4_lilT5_lili
	.p2align	8
	.type	_ZL30rocblas_trsm_small_left_deviceILi12ELi12ELb0E19rocblas_complex_numIfES1_PKS1_PS1_Ev13rocblas_fill_18rocblas_operation_17rocblas_diagonal_iiT3_T4_lilT5_lili,@function
_ZL30rocblas_trsm_small_left_deviceILi12ELi12ELb0E19rocblas_complex_numIfES1_PKS1_PS1_Ev13rocblas_fill_18rocblas_operation_17rocblas_diagonal_iiT3_T4_lilT5_lili: ; @_ZL30rocblas_trsm_small_left_deviceILi12ELi12ELb0E19rocblas_complex_numIfES1_PKS1_PS1_Ev13rocblas_fill_18rocblas_operation_17rocblas_diagonal_iiT3_T4_lilT5_lili
; %bb.0:
	s_load_b32 s33, s[2:3], 0x60
	s_bfe_u32 s4, ttmp6, 0x40014
	s_lshr_b32 s5, ttmp7, 16
	s_add_co_i32 s4, s4, 1
	s_bfe_u32 s6, ttmp6, 0x40008
	s_mul_i32 s4, s5, s4
	s_getreg_b32 s8, hwreg(HW_REG_IB_STS2, 6, 4)
	s_add_co_i32 s6, s6, s4
	s_cmp_eq_u32 s8, 0
	s_mov_b32 s19, 0
	s_cselect_b32 s20, s5, s6
	s_wait_kmcnt 0x0
	s_cmp_ge_u32 s20, s33
	s_cbranch_scc1 .LBB144_87
; %bb.1:
	s_clause 0x1
	s_load_b32 s28, s[2:3], 0x30
	s_load_b96 s[16:18], s[2:3], 0x48
	s_load_b64 s[30:31], s[0:1], 0x4
	s_clause 0x2
	s_load_b128 s[4:7], s[2:3], 0x4
	s_load_b32 s9, s[2:3], 0x68
	s_load_b64 s[22:23], s[2:3], 0x14
	v_and_b32_e32 v8, 0x3ff, v0
	s_load_b128 s[12:15], s[2:3], 0x20
	v_bfe_u32 v6, v0, 10, 10
	v_bfe_u32 v7, v0, 20, 10
	v_mov_b64_e32 v[10:11], 0x3f800000
	v_lshlrev_b32_e32 v0, 3, v8
	v_mul_u32_u24_e32 v12, 0x60, v8
	s_mov_b32 s40, 0
	s_delay_alu instid0(VALU_DEP_1)
	v_dual_mov_b32 v1, 0 :: v_dual_add_nc_u32 v24, v0, v12
	s_wait_kmcnt 0x0
	s_ashr_i32 s29, s28, 31
	s_ashr_i32 s1, s18, 31
	s_lshr_b32 s21, s30, 16
	s_cmp_lg_u32 s4, 0x71
	s_mul_i32 s21, s21, s31
	s_cselect_b32 s34, -1, 0
	s_bfe_u32 s0, ttmp6, 0x4000c
	s_min_i32 s35, s6, 12
	s_add_co_i32 s0, s0, 1
	s_add_co_i32 s6, s9, -1
	s_and_b32 s9, ttmp6, 15
	s_mul_i32 s0, ttmp9, s0
	s_lshl_b64 s[38:39], s[16:17], 3
	s_add_co_i32 s36, s35, -1
	s_add_co_i32 s9, s9, s0
	s_cmp_eq_u32 s8, 0
	s_mov_b32 s0, s18
	s_cselect_b32 s30, ttmp9, s9
	s_clause 0x1
	s_load_b128 s[8:11], s[2:3], 0x38
	s_load_b64 s[16:17], s[2:3], 0x58
	v_mad_u32 v2, s30, 12, v8
	v_mul_u32_u24_e32 v6, s31, v6
	v_mul_u32_u24_e32 v9, s21, v8
	s_movk_i32 s18, 0x60
	s_wait_xcnt 0x0
	s_mov_b32 s2, s22
	s_mov_b32 s3, s22
	;; [unrolled: 1-line block ×3, first 2 shown]
	v_add3_u32 v9, v9, v6, v7
	s_mov_b32 s25, s23
	s_mov_b32 s26, s23
	;; [unrolled: 1-line block ×3, first 2 shown]
	v_ashrrev_i32_e32 v3, 31, v2
	s_delay_alu instid0(VALU_DEP_1)
	v_mul_u64_e32 v[4:5], s[0:1], v[2:3]
	s_mul_i32 s0, s30, -12
	v_mov_b64_e32 v[2:3], 0xbf80000000000000
	s_add_co_i32 s0, s7, s0
	s_cmp_ge_u32 s30, s6
	s_cselect_b32 s30, s0, 12
	s_cmp_lg_u32 s5, 0x84
	s_cselect_b32 s37, -1, 0
	s_cmp_lg_u32 s4, 0x6f
	s_wait_kmcnt 0x0
	s_add_nc_u64 s[4:5], s[10:11], s[38:39]
	s_cselect_b32 s38, -1, 0
	s_lshl_b64 s[0:1], s[14:15], 3
	s_mul_i32 s39, s35, 0x60
	s_add_nc_u64 s[6:7], s[12:13], s[0:1]
	v_cmp_gt_i32_e64 s0, s35, v8
	v_add_nc_u64_e32 v[6:7], s[6:7], v[0:1]
	v_mad_u32 v1, v9, s18, 0x480
	v_cmp_gt_i32_e64 s1, s30, v8
	s_lshl_b64 s[6:7], s[28:29], 3
	s_lshl_b64 s[10:11], s[16:17], 3
	s_addk_co_i32 s39, 0xffa0
	v_add_nc_u64_e32 v[6:7], 4, v[6:7]
	v_lshl_add_u64 v[4:5], v[4:5], 3, s[4:5]
	s_lshl_b64 s[4:5], s[8:9], 3
	s_get_pc_i64 s[8:9]
	s_add_nc_u64 s[8:9], s[8:9], __const._ZL30rocblas_trsm_small_left_deviceILi12ELi12ELb0E19rocblas_complex_numIfES1_PKS1_PS1_Ev13rocblas_fill_18rocblas_operation_17rocblas_diagonal_iiT3_T4_lilT5_lili.step_sizes@rel64+4
	s_delay_alu instid0(VALU_DEP_1)
	v_add_nc_u64_e32 v[8:9], 4, v[4:5]
	s_branch .LBB144_4
.LBB144_2:                              ;   in Loop: Header=BB144_4 Depth=1
	s_add_co_i32 s20, s20, 0x10000
	s_delay_alu instid0(SALU_CYCLE_1) | instskip(SKIP_1) | instid1(SALU_CYCLE_1)
	s_cmp_ge_u32 s20, s33
	s_cselect_b32 s12, -1, 0
	s_or_not1_b32 s12, s12, exec_lo
.LBB144_3:                              ;   in Loop: Header=BB144_4 Depth=1
	s_wait_xcnt 0x0
	s_or_b32 exec_lo, exec_lo, s41
	s_delay_alu instid0(SALU_CYCLE_1) | instskip(NEXT) | instid1(SALU_CYCLE_1)
	s_and_b32 s12, exec_lo, s12
	s_or_b32 s40, s12, s40
	s_delay_alu instid0(SALU_CYCLE_1)
	s_and_not1_b32 exec_lo, exec_lo, s40
	s_cbranch_execz .LBB144_87
.LBB144_4:                              ; =>This Loop Header: Depth=1
                                        ;     Child Loop BB144_7 Depth 2
                                        ;     Child Loop BB144_23 Depth 2
                                        ;       Child Loop BB144_26 Depth 3
                                        ;         Child Loop BB144_28 Depth 4
                                        ;         Child Loop BB144_32 Depth 4
	;; [unrolled: 1-line block ×3, first 2 shown]
                                        ;           Child Loop BB144_38 Depth 5
                                        ;           Child Loop BB144_44 Depth 5
                                        ;         Child Loop BB144_47 Depth 4
                                        ;           Child Loop BB144_49 Depth 5
                                        ;     Child Loop BB144_57 Depth 2
                                        ;       Child Loop BB144_60 Depth 3
                                        ;         Child Loop BB144_62 Depth 4
                                        ;         Child Loop BB144_66 Depth 4
	;; [unrolled: 1-line block ×3, first 2 shown]
                                        ;           Child Loop BB144_72 Depth 5
                                        ;           Child Loop BB144_78 Depth 5
                                        ;         Child Loop BB144_81 Depth 4
                                        ;           Child Loop BB144_83 Depth 5
	s_mov_b32 s21, s19
	s_and_saveexec_b32 s12, s0
	s_cbranch_execz .LBB144_19
; %bb.5:                                ;   in Loop: Header=BB144_4 Depth=1
	v_mad_nc_u64_u32 v[12:13], s4, s20, v[6:7]
	v_mov_b32_e32 v16, v0
	s_mov_b32 s13, s35
	s_delay_alu instid0(VALU_DEP_2)
	v_mad_u32 v13, s5, s20, v13
	s_branch .LBB144_7
.LBB144_6:                              ;   in Loop: Header=BB144_7 Depth=2
	global_load_b32 v14, v[12:13], off offset:-4
	s_wait_xcnt 0x0
	v_add_nc_u64_e32 v[12:13], s[6:7], v[12:13]
	s_add_co_i32 s13, s13, -1
	s_delay_alu instid0(SALU_CYCLE_1)
	s_cmp_eq_u32 s13, 0
	s_wait_loadcnt 0x0
	ds_store_b64 v16, v[14:15]
	v_add_nc_u32_e32 v16, 0x60, v16
	s_cbranch_scc1 .LBB144_11
.LBB144_7:                              ;   Parent Loop BB144_4 Depth=1
                                        ; =>  This Inner Loop Header: Depth=2
	s_and_b32 vcc_lo, exec_lo, s34
	s_mov_b32 s14, -1
                                        ; implicit-def: $vgpr15
	s_cbranch_vccz .LBB144_9
; %bb.8:                                ;   in Loop: Header=BB144_7 Depth=2
	global_load_b32 v15, v[12:13], off
	s_mov_b32 s14, 0
.LBB144_9:                              ;   in Loop: Header=BB144_7 Depth=2
	s_delay_alu instid0(SALU_CYCLE_1)
	s_and_not1_b32 vcc_lo, exec_lo, s14
	s_cbranch_vccnz .LBB144_6
; %bb.10:                               ;   in Loop: Header=BB144_7 Depth=2
	global_load_b32 v14, v[12:13], off
	s_wait_loadcnt 0x0
	v_xor_b32_e32 v15, 0x80000000, v14
	s_branch .LBB144_6
.LBB144_11:                             ;   in Loop: Header=BB144_4 Depth=1
	s_and_b32 vcc_lo, exec_lo, s37
	s_mov_b32 s13, -1
	s_cbranch_vccz .LBB144_17
; %bb.12:                               ;   in Loop: Header=BB144_4 Depth=1
	ds_load_b64 v[12:13], v24
                                        ; implicit-def: $vgpr14_vgpr15
	s_wait_dscnt 0x0
	v_cmp_ngt_f32_e64 s13, |v12|, |v13|
	s_and_saveexec_b32 s14, s13
	s_delay_alu instid0(SALU_CYCLE_1)
	s_xor_b32 s13, exec_lo, s14
	s_cbranch_execz .LBB144_14
; %bb.13:                               ;   in Loop: Header=BB144_4 Depth=1
	v_div_scale_f32 v14, null, v13, v13, v12
	v_div_scale_f32 v17, vcc_lo, v12, v13, v12
	s_delay_alu instid0(VALU_DEP_2) | instskip(SKIP_1) | instid1(TRANS32_DEP_1)
	v_rcp_f32_e32 v15, v14
	v_nop
	v_fma_f32 v16, -v14, v15, 1.0
	s_delay_alu instid0(VALU_DEP_1) | instskip(NEXT) | instid1(VALU_DEP_1)
	v_fmac_f32_e32 v15, v16, v15
	v_mul_f32_e32 v16, v17, v15
	s_delay_alu instid0(VALU_DEP_1) | instskip(NEXT) | instid1(VALU_DEP_1)
	v_fma_f32 v18, -v14, v16, v17
	v_fmac_f32_e32 v16, v18, v15
	s_delay_alu instid0(VALU_DEP_1) | instskip(NEXT) | instid1(VALU_DEP_1)
	v_fma_f32 v14, -v14, v16, v17
	v_div_fmas_f32 v14, v14, v15, v16
	s_delay_alu instid0(VALU_DEP_1) | instskip(NEXT) | instid1(VALU_DEP_1)
	v_div_fixup_f32 v14, v14, v13, v12
	v_fmac_f32_e32 v13, v12, v14
	s_delay_alu instid0(VALU_DEP_1) | instskip(SKIP_1) | instid1(VALU_DEP_2)
	v_div_scale_f32 v12, null, v13, v13, 1.0
	v_div_scale_f32 v17, vcc_lo, 1.0, v13, 1.0
	v_rcp_f32_e32 v15, v12
	v_nop
	s_delay_alu instid0(TRANS32_DEP_1) | instskip(NEXT) | instid1(VALU_DEP_1)
	v_fma_f32 v16, -v12, v15, 1.0
	v_fmac_f32_e32 v15, v16, v15
	s_delay_alu instid0(VALU_DEP_1) | instskip(NEXT) | instid1(VALU_DEP_1)
	v_mul_f32_e32 v16, v17, v15
	v_fma_f32 v18, -v12, v16, v17
	s_delay_alu instid0(VALU_DEP_1) | instskip(NEXT) | instid1(VALU_DEP_1)
	v_fmac_f32_e32 v16, v18, v15
	v_fma_f32 v12, -v12, v16, v17
	s_delay_alu instid0(VALU_DEP_1) | instskip(SKIP_1) | instid1(VALU_DEP_2)
	v_div_fmas_f32 v12, v12, v15, v16
	v_mul_f32_e32 v15, 0, v14
	v_div_fixup_f32 v12, v12, v13, 1.0
	s_delay_alu instid0(VALU_DEP_2) | instskip(NEXT) | instid1(VALU_DEP_1)
	v_pk_add_f32 v[14:15], v[14:15], v[2:3]
	v_pk_mul_f32 v[14:15], v[14:15], v[12:13] op_sel_hi:[1,0]
                                        ; implicit-def: $vgpr12_vgpr13
.LBB144_14:                             ;   in Loop: Header=BB144_4 Depth=1
	s_and_not1_saveexec_b32 s13, s13
	s_cbranch_execz .LBB144_16
; %bb.15:                               ;   in Loop: Header=BB144_4 Depth=1
	v_div_scale_f32 v14, null, v12, v12, v13
	v_div_scale_f32 v17, vcc_lo, v13, v12, v13
	s_delay_alu instid0(VALU_DEP_2) | instskip(SKIP_1) | instid1(TRANS32_DEP_1)
	v_rcp_f32_e32 v15, v14
	v_nop
	v_fma_f32 v16, -v14, v15, 1.0
	s_delay_alu instid0(VALU_DEP_1) | instskip(NEXT) | instid1(VALU_DEP_1)
	v_fmac_f32_e32 v15, v16, v15
	v_mul_f32_e32 v16, v17, v15
	s_delay_alu instid0(VALU_DEP_1) | instskip(NEXT) | instid1(VALU_DEP_1)
	v_fma_f32 v18, -v14, v16, v17
	v_fmac_f32_e32 v16, v18, v15
	s_delay_alu instid0(VALU_DEP_1) | instskip(NEXT) | instid1(VALU_DEP_1)
	v_fma_f32 v14, -v14, v16, v17
	v_div_fmas_f32 v14, v14, v15, v16
	s_delay_alu instid0(VALU_DEP_1) | instskip(NEXT) | instid1(VALU_DEP_1)
	v_div_fixup_f32 v15, v14, v12, v13
	v_fmac_f32_e32 v12, v13, v15
	s_delay_alu instid0(VALU_DEP_1) | instskip(SKIP_1) | instid1(VALU_DEP_2)
	v_div_scale_f32 v13, null, v12, v12, 1.0
	v_div_scale_f32 v17, vcc_lo, 1.0, v12, 1.0
	v_rcp_f32_e32 v14, v13
	v_nop
	s_delay_alu instid0(TRANS32_DEP_1) | instskip(NEXT) | instid1(VALU_DEP_1)
	v_fma_f32 v16, -v13, v14, 1.0
	v_fmac_f32_e32 v14, v16, v14
	s_delay_alu instid0(VALU_DEP_1) | instskip(NEXT) | instid1(VALU_DEP_1)
	v_mul_f32_e32 v16, v17, v14
	v_fma_f32 v18, -v13, v16, v17
	s_delay_alu instid0(VALU_DEP_1) | instskip(NEXT) | instid1(VALU_DEP_1)
	v_fmac_f32_e32 v16, v18, v14
	v_dual_fma_f32 v13, -v13, v16, v17 :: v_dual_mul_f32 v17, 0, v15
	v_sub_f32_e32 v15, 0, v15
	s_delay_alu instid0(VALU_DEP_2) | instskip(NEXT) | instid1(VALU_DEP_3)
	v_div_fmas_f32 v13, v13, v14, v16
	v_add_f32_e32 v14, 1.0, v17
	s_delay_alu instid0(VALU_DEP_2) | instskip(NEXT) | instid1(VALU_DEP_1)
	v_div_fixup_f32 v12, v13, v12, 1.0
	v_pk_mul_f32 v[14:15], v[14:15], v[12:13] op_sel_hi:[1,0]
.LBB144_16:                             ;   in Loop: Header=BB144_4 Depth=1
	s_or_b32 exec_lo, exec_lo, s13
	s_mov_b32 s13, 0
	ds_store_b64 v24, v[14:15]
.LBB144_17:                             ;   in Loop: Header=BB144_4 Depth=1
	s_and_b32 vcc_lo, exec_lo, s13
	s_cbranch_vccz .LBB144_19
; %bb.18:                               ;   in Loop: Header=BB144_4 Depth=1
	ds_store_b64 v24, v[10:11]
.LBB144_19:                             ;   in Loop: Header=BB144_4 Depth=1
	s_or_b32 exec_lo, exec_lo, s12
	s_mov_b32 s12, -1
	s_wait_dscnt 0x0
	; wave barrier
	s_and_saveexec_b32 s41, s1
	s_cbranch_execz .LBB144_3
; %bb.20:                               ;   in Loop: Header=BB144_4 Depth=1
	s_mul_u64 s[12:13], s[16:17], s[20:21]
	s_and_not1_b32 vcc_lo, exec_lo, s38
	v_lshl_add_u64 v[12:13], s[12:13], 3, v[4:5]
	s_mul_u64 s[12:13], s[10:11], s[20:21]
	s_mov_b32 s14, -1
	s_cbranch_vccnz .LBB144_54
; %bb.21:                               ;   in Loop: Header=BB144_4 Depth=1
	v_add_nc_u64_e32 v[14:15], s[12:13], v[8:9]
	s_mov_b32 s21, 0
	s_mov_b32 s14, 0
	s_branch .LBB144_23
.LBB144_22:                             ;   in Loop: Header=BB144_23 Depth=2
	s_cmp_lt_i32 s14, s35
	s_cselect_b32 s15, -1, 0
	s_add_co_i32 s18, s21, 1
	s_cmp_lt_u32 s21, 2
	s_wait_xcnt 0x0
	s_cselect_b32 s21, -1, 0
	s_delay_alu instid0(SALU_CYCLE_1)
	s_and_b32 s15, s15, s21
	s_mov_b32 s21, s18
	s_and_b32 vcc_lo, exec_lo, s15
	s_cbranch_vccz .LBB144_53
.LBB144_23:                             ;   Parent Loop BB144_4 Depth=1
                                        ; =>  This Loop Header: Depth=2
                                        ;       Child Loop BB144_26 Depth 3
                                        ;         Child Loop BB144_28 Depth 4
                                        ;         Child Loop BB144_32 Depth 4
	;; [unrolled: 1-line block ×3, first 2 shown]
                                        ;           Child Loop BB144_38 Depth 5
                                        ;           Child Loop BB144_44 Depth 5
                                        ;         Child Loop BB144_47 Depth 4
                                        ;           Child Loop BB144_49 Depth 5
	s_load_b32 s28, s[8:9], s21 offset:0x0 scale_offset
	s_wait_kmcnt 0x0
	s_add_co_i32 s42, s28, -1
	s_delay_alu instid0(SALU_CYCLE_1) | instskip(NEXT) | instid1(SALU_CYCLE_1)
	s_add_co_i32 s15, s42, s14
	s_cmp_ge_i32 s15, s35
	s_cbranch_scc1 .LBB144_22
; %bb.24:                               ;   in Loop: Header=BB144_23 Depth=2
	s_max_i32 s43, s28, 1
	s_cmp_lg_u32 s21, 2
	s_mul_i32 s47, s14, 0x68
	s_cselect_b32 s44, -1, 0
	s_and_b32 s45, s43, 0x7ffffffe
	s_mul_i32 s48, s28, 0x68
	s_cmp_lg_u32 s43, s45
	s_cselect_b32 s46, -1, 0
	s_ashr_i32 s15, s14, 31
	s_ashr_i32 s29, s28, 31
	s_branch .LBB144_26
.LBB144_25:                             ;   in Loop: Header=BB144_26 Depth=3
	s_add_nc_u64 s[14:15], s[14:15], s[28:29]
	s_add_co_i32 s47, s47, s48
	s_add_co_i32 s18, s42, s14
	s_delay_alu instid0(SALU_CYCLE_1)
	s_cmp_ge_i32 s18, s35
	s_cbranch_scc1 .LBB144_22
.LBB144_26:                             ;   Parent Loop BB144_4 Depth=1
                                        ;     Parent Loop BB144_23 Depth=2
                                        ; =>    This Loop Header: Depth=3
                                        ;         Child Loop BB144_28 Depth 4
                                        ;         Child Loop BB144_32 Depth 4
	;; [unrolled: 1-line block ×3, first 2 shown]
                                        ;           Child Loop BB144_38 Depth 5
                                        ;           Child Loop BB144_44 Depth 5
                                        ;         Child Loop BB144_47 Depth 4
                                        ;           Child Loop BB144_49 Depth 5
	s_and_not1_b32 vcc_lo, exec_lo, s44
	s_cbranch_vccnz .LBB144_30
; %bb.27:                               ;   in Loop: Header=BB144_26 Depth=3
	s_wait_xcnt 0x0
	v_mov_b32_e32 v16, v1
	s_mov_b32 s30, s14
	s_mov_b32 s31, s14
	;; [unrolled: 1-line block ×5, first 2 shown]
.LBB144_28:                             ;   Parent Loop BB144_4 Depth=1
                                        ;     Parent Loop BB144_23 Depth=2
                                        ;       Parent Loop BB144_26 Depth=3
                                        ; =>      This Inner Loop Header: Depth=4
	s_add_co_i32 s52, s49, s31
	s_add_co_i32 s54, s50, s30
	s_ashr_i32 s53, s52, 31
	s_ashr_i32 s55, s54, 31
	v_lshl_add_u64 v[18:19], s[52:53], 3, v[12:13]
	v_lshl_add_u64 v[20:21], s[54:55], 3, v[12:13]
	s_add_co_i32 s51, s51, -2
	s_add_co_i32 s50, s50, 2
	s_add_co_i32 s49, s49, 2
	s_clause 0x1
	global_load_b64 v[22:23], v[18:19], off
	global_load_b64 v[26:27], v[20:21], off
	s_wait_xcnt 0x1
	v_mov_b64_e32 v[18:19], s[24:25]
	s_wait_xcnt 0x0
	v_mov_b64_e32 v[20:21], s[2:3]
	s_mov_b32 s18, s45
	s_cmp_lg_u32 s51, 0
	s_mov_b32 s52, s46
	s_wait_loadcnt 0x0
	v_dual_mov_b32 v29, v22 :: v_dual_mov_b32 v22, v27
	v_mov_b32_e32 v28, v26
	s_delay_alu instid0(VALU_DEP_2) | instskip(SKIP_1) | instid1(VALU_DEP_2)
	v_pk_mul_f32 v[26:27], v[22:23], v[18:19]
	v_pk_mul_f32 v[22:23], v[22:23], v[20:21]
	v_pk_fma_f32 v[26:27], v[28:29], v[20:21], v[26:27] neg_lo:[0,0,1] neg_hi:[0,0,1]
	s_delay_alu instid0(VALU_DEP_2) | instskip(NEXT) | instid1(VALU_DEP_1)
	v_pk_fma_f32 v[20:21], v[28:29], v[18:19], v[22:23]
	v_dual_mov_b32 v18, v26 :: v_dual_mov_b32 v19, v20
	s_delay_alu instid0(VALU_DEP_3)
	v_mov_b32_e32 v20, v27
	ds_store_b128 v16, v[18:21]
	v_add_nc_u32_e32 v16, 16, v16
	s_cbranch_scc1 .LBB144_28
; %bb.29:                               ;   in Loop: Header=BB144_26 Depth=3
	s_and_b32 vcc_lo, exec_lo, s52
	s_cbranch_vccnz .LBB144_31
	s_branch .LBB144_33
.LBB144_30:                             ;   in Loop: Header=BB144_26 Depth=3
	s_mov_b32 s18, 0
	s_cbranch_execz .LBB144_33
.LBB144_31:                             ;   in Loop: Header=BB144_26 Depth=3
	s_add_nc_u64 s[30:31], s[14:15], s[18:19]
	v_lshl_add_u32 v18, s18, 3, v1
	s_wait_xcnt 0x0
	v_lshl_add_u64 v[16:17], s[30:31], 3, v[14:15]
	s_sub_co_i32 s18, s43, s18
.LBB144_32:                             ;   Parent Loop BB144_4 Depth=1
                                        ;     Parent Loop BB144_23 Depth=2
                                        ;       Parent Loop BB144_26 Depth=3
                                        ; =>      This Inner Loop Header: Depth=4
	global_load_b64 v[20:21], v[16:17], off offset:-4
	v_mov_b64_e32 v[22:23], s[26:27]
	v_mov_b64_e32 v[26:27], s[22:23]
	s_wait_xcnt 0x0
	v_add_nc_u64_e32 v[16:17], 8, v[16:17]
	s_add_co_i32 s18, s18, -1
	s_delay_alu instid0(SALU_CYCLE_1) | instskip(SKIP_2) | instid1(VALU_DEP_1)
	s_cmp_eq_u32 s18, 0
	s_wait_loadcnt 0x0
	v_pk_mul_f32 v[22:23], v[20:21], v[22:23] op_sel:[1,0]
	v_pk_fma_f32 v[28:29], v[20:21], v[26:27], v[22:23] op_sel_hi:[0,1,1]
	v_pk_fma_f32 v[20:21], v[20:21], v[26:27], v[22:23] neg_lo:[0,0,1] neg_hi:[0,0,1]
	s_delay_alu instid0(VALU_DEP_2)
	v_mov_b32_e32 v21, v29
	ds_store_b64 v18, v[20:21]
	v_add_nc_u32_e32 v18, 8, v18
	s_cbranch_scc0 .LBB144_32
.LBB144_33:                             ;   in Loop: Header=BB144_26 Depth=3
	s_cmp_lt_i32 s14, 1
	s_cbranch_scc1 .LBB144_45
; %bb.34:                               ;   in Loop: Header=BB144_26 Depth=3
	s_mov_b32 s31, 0
	s_mov_b32 s30, s14
	;; [unrolled: 1-line block ×4, first 2 shown]
	s_branch .LBB144_36
.LBB144_35:                             ;   in Loop: Header=BB144_36 Depth=4
	s_add_co_i32 s18, s18, 1
	s_add_co_i32 s31, s31, 8
	s_cmp_eq_u32 s18, s14
	s_cbranch_scc1 .LBB144_45
.LBB144_36:                             ;   Parent Loop BB144_4 Depth=1
                                        ;     Parent Loop BB144_23 Depth=2
                                        ;       Parent Loop BB144_26 Depth=3
                                        ; =>      This Loop Header: Depth=4
                                        ;           Child Loop BB144_38 Depth 5
                                        ;           Child Loop BB144_44 Depth 5
	s_wait_xcnt 0x0
	v_lshl_add_u64 v[16:17], s[18:19], 3, v[12:13]
	s_and_b32 vcc_lo, exec_lo, s44
	global_load_b64 v[16:17], v[16:17], off
	s_cbranch_vccz .LBB144_40
; %bb.37:                               ;   in Loop: Header=BB144_36 Depth=4
	s_wait_loadcnt 0x0
	v_dual_mov_b32 v20, v16 :: v_dual_mov_b32 v21, v16
	v_dual_mov_b32 v18, v17 :: v_dual_mov_b32 v22, v17
	;; [unrolled: 1-line block ×3, first 2 shown]
	s_lshl_b32 s50, s18, 3
	s_mov_b32 s51, 1
	s_mov_b32 s52, 0
	;; [unrolled: 1-line block ×3, first 2 shown]
.LBB144_38:                             ;   Parent Loop BB144_4 Depth=1
                                        ;     Parent Loop BB144_23 Depth=2
                                        ;       Parent Loop BB144_26 Depth=3
                                        ;         Parent Loop BB144_36 Depth=4
                                        ; =>        This Inner Loop Header: Depth=5
	s_add_co_i32 s54, s52, s30
	s_add_co_i32 s55, s51, s49
	s_mulk_i32 s54, 0x60
	s_mulk_i32 s55, 0x60
	s_add_co_i32 s54, s50, s54
	s_add_co_i32 s55, s50, s55
	s_delay_alu instid0(SALU_CYCLE_1)
	v_dual_mov_b32 v25, s54 :: v_dual_mov_b32 v26, s55
	s_add_co_i32 s53, s53, -2
	s_add_co_i32 s52, s52, 2
	s_add_co_i32 s51, s51, 2
	ds_load_b64 v[30:31], v25
	ds_load_b64 v[32:33], v26
	ds_load_b128 v[26:29], v19
	s_cmp_lg_u32 s53, 0
	s_wait_dscnt 0x1
	v_dual_mov_b32 v36, v30 :: v_dual_mov_b32 v37, v32
	s_wait_dscnt 0x0
	v_dual_mov_b32 v32, v31 :: v_dual_mov_b32 v34, v26
	v_dual_mov_b32 v35, v28 :: v_dual_mov_b32 v28, v27
	s_delay_alu instid0(VALU_DEP_2) | instskip(SKIP_1) | instid1(VALU_DEP_2)
	v_pk_mul_f32 v[30:31], v[32:33], v[22:23]
	v_pk_mul_f32 v[32:33], v[32:33], v[20:21]
	v_pk_fma_f32 v[26:27], v[36:37], v[20:21], v[30:31] neg_lo:[0,0,1] neg_hi:[0,0,1]
	s_delay_alu instid0(VALU_DEP_2) | instskip(NEXT) | instid1(VALU_DEP_2)
	v_pk_fma_f32 v[30:31], v[36:37], v[22:23], v[32:33]
	v_pk_add_f32 v[32:33], v[34:35], v[26:27] neg_lo:[0,1] neg_hi:[0,1]
	s_delay_alu instid0(VALU_DEP_2) | instskip(NEXT) | instid1(VALU_DEP_1)
	v_pk_add_f32 v[28:29], v[28:29], v[30:31] neg_lo:[0,1] neg_hi:[0,1]
	v_dual_mov_b32 v26, v32 :: v_dual_mov_b32 v27, v28
	s_delay_alu instid0(VALU_DEP_3)
	v_mov_b32_e32 v28, v33
	ds_store_b128 v19, v[26:29]
	v_add_nc_u32_e32 v19, 16, v19
	s_cbranch_scc1 .LBB144_38
; %bb.39:                               ;   in Loop: Header=BB144_36 Depth=4
	s_mov_b32 s50, s46
	s_mov_b32 s51, s45
	s_branch .LBB144_42
.LBB144_40:                             ;   in Loop: Header=BB144_36 Depth=4
	s_wait_loadcnt 0x0
	v_mov_b32_e32 v18, v17
	s_mov_b32 s50, 0
	s_mov_b32 s51, s45
	s_cbranch_execz .LBB144_42
; %bb.41:                               ;   in Loop: Header=BB144_36 Depth=4
	s_mov_b32 s50, -1
	s_mov_b32 s51, 0
.LBB144_42:                             ;   in Loop: Header=BB144_36 Depth=4
	s_and_not1_b32 vcc_lo, exec_lo, s50
	s_cbranch_vccnz .LBB144_35
; %bb.43:                               ;   in Loop: Header=BB144_36 Depth=4
	s_add_co_i32 s50, s14, s51
	s_wait_xcnt 0x0
	v_dual_mov_b32 v19, v17 :: v_dual_mov_b32 v17, v16
	v_lshl_add_u32 v20, s51, 3, v1
	s_mul_i32 s52, s50, 0x60
	s_sub_co_i32 s50, s43, s51
	s_add_co_i32 s51, s31, s52
.LBB144_44:                             ;   Parent Loop BB144_4 Depth=1
                                        ;     Parent Loop BB144_23 Depth=2
                                        ;       Parent Loop BB144_26 Depth=3
                                        ;         Parent Loop BB144_36 Depth=4
                                        ; =>        This Inner Loop Header: Depth=5
	s_delay_alu instid0(SALU_CYCLE_1)
	v_mov_b32_e32 v21, s51
	s_add_co_i32 s50, s50, -1
	s_addk_co_i32 s51, 0x60
	s_cmp_eq_u32 s50, 0
	ds_load_b64 v[22:23], v21
	ds_load_b64 v[26:27], v20
	s_wait_dscnt 0x1
	v_pk_mul_f32 v[28:29], v[22:23], v[18:19] op_sel:[1,0] op_sel_hi:[0,1]
	s_delay_alu instid0(VALU_DEP_1) | instskip(SKIP_1) | instid1(VALU_DEP_2)
	v_pk_fma_f32 v[30:31], v[22:23], v[16:17], v[28:29]
	v_pk_fma_f32 v[22:23], v[22:23], v[16:17], v[28:29] neg_lo:[0,0,1] neg_hi:[0,0,1]
	v_mov_b32_e32 v23, v31
	s_wait_dscnt 0x0
	s_delay_alu instid0(VALU_DEP_1)
	v_pk_add_f32 v[22:23], v[26:27], v[22:23] neg_lo:[0,1] neg_hi:[0,1]
	ds_store_b64 v20, v[22:23]
	v_add_nc_u32_e32 v20, 8, v20
	s_cbranch_scc0 .LBB144_44
	s_branch .LBB144_35
.LBB144_45:                             ;   in Loop: Header=BB144_26 Depth=3
	s_mov_b32 s18, 0
	s_mov_b32 s49, s47
	s_branch .LBB144_47
.LBB144_46:                             ;   in Loop: Header=BB144_47 Depth=4
	s_mul_i32 s31, s30, 0x68
	s_add_co_i32 s18, s18, 1
	s_wait_xcnt 0x0
	v_mov_b32_e32 v17, s31
	s_ashr_i32 s31, s30, 31
	s_addk_co_i32 s49, 0x60
	s_cmp_eq_u32 s18, s43
	ds_load_b64 v[20:21], v17
	s_wait_dscnt 0x0
	v_pk_mul_f32 v[22:23], v[20:21], v[18:19] op_sel:[1,0] op_sel_hi:[0,0]
	s_delay_alu instid0(VALU_DEP_1) | instskip(SKIP_2) | instid1(VALU_DEP_3)
	v_pk_fma_f32 v[26:27], v[20:21], v[16:17], v[22:23] op_sel_hi:[1,0,1]
	v_pk_fma_f32 v[16:17], v[20:21], v[16:17], v[22:23] neg_lo:[0,0,1] neg_hi:[0,0,1]
	v_lshl_add_u64 v[20:21], s[30:31], 3, v[12:13]
	v_mov_b32_e32 v17, v27
	ds_store_b64 v19, v[16:17]
	global_store_b64 v[20:21], v[16:17], off
	s_cbranch_scc1 .LBB144_25
.LBB144_47:                             ;   Parent Loop BB144_4 Depth=1
                                        ;     Parent Loop BB144_23 Depth=2
                                        ;       Parent Loop BB144_26 Depth=3
                                        ; =>      This Loop Header: Depth=4
                                        ;           Child Loop BB144_49 Depth 5
	v_lshl_add_u32 v19, s18, 3, v1
	s_cmp_lg_u32 s18, 0
	s_cbranch_scc0 .LBB144_51
; %bb.48:                               ;   in Loop: Header=BB144_47 Depth=4
	s_wait_xcnt 0x0
	ds_load_b64 v[16:17], v19
	v_mov_b32_e32 v18, v1
	s_mov_b32 s30, s49
	s_mov_b32 s31, s18
.LBB144_49:                             ;   Parent Loop BB144_4 Depth=1
                                        ;     Parent Loop BB144_23 Depth=2
                                        ;       Parent Loop BB144_26 Depth=3
                                        ;         Parent Loop BB144_47 Depth=4
                                        ; =>        This Inner Loop Header: Depth=5
	v_mov_b32_e32 v22, s30
	s_add_co_i32 s31, s31, -1
	s_add_co_i32 s30, s30, 8
	s_cmp_eq_u32 s31, 0
	ds_load_b64 v[20:21], v18
	ds_load_b64 v[22:23], v22
	v_add_nc_u32_e32 v18, 8, v18
	s_wait_dscnt 0x0
	v_pk_mul_f32 v[26:27], v[22:23], v[20:21] op_sel:[1,1] op_sel_hi:[0,1]
	s_delay_alu instid0(VALU_DEP_1) | instskip(SKIP_1) | instid1(VALU_DEP_2)
	v_pk_fma_f32 v[28:29], v[22:23], v[20:21], v[26:27] op_sel_hi:[1,0,1]
	v_pk_fma_f32 v[20:21], v[22:23], v[20:21], v[26:27] neg_lo:[0,0,1] neg_hi:[0,0,1]
	v_mov_b32_e32 v21, v29
	s_delay_alu instid0(VALU_DEP_1)
	v_pk_add_f32 v[16:17], v[16:17], v[20:21] neg_lo:[0,1] neg_hi:[0,1]
	ds_store_b64 v19, v[16:17]
	s_cbranch_scc0 .LBB144_49
; %bb.50:                               ;   in Loop: Header=BB144_47 Depth=4
	v_mov_b32_e32 v18, v17
	s_add_co_i32 s30, s18, s14
	s_branch .LBB144_46
.LBB144_51:                             ;   in Loop: Header=BB144_47 Depth=4
                                        ; implicit-def: $vgpr16
                                        ; implicit-def: $vgpr18
                                        ; implicit-def: $sgpr30
	s_cbranch_execz .LBB144_46
; %bb.52:                               ;   in Loop: Header=BB144_47 Depth=4
	s_wait_xcnt 0x0
	ds_load_b64 v[16:17], v1
	s_mov_b32 s30, s14
	s_wait_dscnt 0x0
	v_mov_b32_e32 v18, v17
	s_branch .LBB144_46
.LBB144_53:                             ;   in Loop: Header=BB144_4 Depth=1
	s_mov_b32 s14, 0
.LBB144_54:                             ;   in Loop: Header=BB144_4 Depth=1
	s_delay_alu instid0(SALU_CYCLE_1)
	s_and_b32 vcc_lo, exec_lo, s14
	s_cbranch_vccz .LBB144_2
; %bb.55:                               ;   in Loop: Header=BB144_4 Depth=1
	v_add_nc_u64_e32 v[14:15], s[12:13], v[8:9]
	s_mov_b32 s21, 0
	s_mov_b32 s12, s36
	s_branch .LBB144_57
.LBB144_56:                             ;   in Loop: Header=BB144_57 Depth=2
	s_cmp_gt_i32 s12, -1
	s_cselect_b32 s13, -1, 0
	s_add_co_i32 s14, s21, 1
	s_cmp_lt_u32 s21, 2
	s_mov_b32 s21, s14
	s_cselect_b32 s15, -1, 0
	s_delay_alu instid0(SALU_CYCLE_1) | instskip(NEXT) | instid1(SALU_CYCLE_1)
	s_and_b32 s13, s13, s15
	s_and_not1_b32 vcc_lo, exec_lo, s13
	s_cbranch_vccnz .LBB144_2
.LBB144_57:                             ;   Parent Loop BB144_4 Depth=1
                                        ; =>  This Loop Header: Depth=2
                                        ;       Child Loop BB144_60 Depth 3
                                        ;         Child Loop BB144_62 Depth 4
                                        ;         Child Loop BB144_66 Depth 4
	;; [unrolled: 1-line block ×3, first 2 shown]
                                        ;           Child Loop BB144_72 Depth 5
                                        ;           Child Loop BB144_78 Depth 5
                                        ;         Child Loop BB144_81 Depth 4
                                        ;           Child Loop BB144_83 Depth 5
	s_load_b32 s30, s[8:9], s21 offset:0x0 scale_offset
	s_wait_kmcnt 0x0
	s_add_co_i32 s31, s30, -1
	s_delay_alu instid0(SALU_CYCLE_1)
	s_cmp_lt_i32 s12, s31
	s_cbranch_scc1 .LBB144_56
; %bb.58:                               ;   in Loop: Header=BB144_57 Depth=2
	s_max_i32 s42, s30, 1
	s_cmp_lg_u32 s21, 2
	s_mul_i32 s48, s12, 0x68
	s_cselect_b32 s43, -1, 0
	s_and_b32 s44, s42, 0x7ffffffe
	s_mul_i32 s49, s30, 0xffffff98
	s_cmp_lg_u32 s42, s44
	s_cselect_b32 s45, -1, 0
	s_lshl_b32 s13, s12, 3
	s_lshl_b32 s14, s30, 3
	s_add_co_i32 s46, s39, s13
	s_sub_co_i32 s47, 0, s14
	s_branch .LBB144_60
.LBB144_59:                             ;   in Loop: Header=BB144_60 Depth=3
	s_sub_co_i32 s12, s12, s30
	s_add_co_i32 s46, s46, s47
	s_add_co_i32 s48, s48, s49
	s_cmp_lt_i32 s12, s31
	s_cbranch_scc1 .LBB144_56
.LBB144_60:                             ;   Parent Loop BB144_4 Depth=1
                                        ;     Parent Loop BB144_57 Depth=2
                                        ; =>    This Loop Header: Depth=3
                                        ;         Child Loop BB144_62 Depth 4
                                        ;         Child Loop BB144_66 Depth 4
	;; [unrolled: 1-line block ×3, first 2 shown]
                                        ;           Child Loop BB144_72 Depth 5
                                        ;           Child Loop BB144_78 Depth 5
                                        ;         Child Loop BB144_81 Depth 4
                                        ;           Child Loop BB144_83 Depth 5
	s_and_not1_b32 vcc_lo, exec_lo, s43
	s_cbranch_vccnz .LBB144_64
; %bb.61:                               ;   in Loop: Header=BB144_60 Depth=3
	s_wait_xcnt 0x0
	v_mov_b32_e32 v16, v1
	s_mov_b32 s13, s12
	s_mov_b32 s14, 1
	;; [unrolled: 1-line block ×4, first 2 shown]
.LBB144_62:                             ;   Parent Loop BB144_4 Depth=1
                                        ;     Parent Loop BB144_57 Depth=2
                                        ;       Parent Loop BB144_60 Depth=3
                                        ; =>      This Inner Loop Header: Depth=4
	s_sub_co_i32 s50, s13, s14
	s_sub_co_i32 s52, s12, s15
	s_ashr_i32 s51, s50, 31
	s_ashr_i32 s53, s52, 31
	v_lshl_add_u64 v[18:19], s[50:51], 3, v[12:13]
	v_lshl_add_u64 v[20:21], s[52:53], 3, v[12:13]
	s_add_co_i32 s28, s28, -2
	s_add_co_i32 s15, s15, 2
	s_add_co_i32 s14, s14, 2
	s_clause 0x1
	global_load_b64 v[22:23], v[18:19], off
	global_load_b64 v[26:27], v[20:21], off
	s_wait_xcnt 0x1
	v_mov_b64_e32 v[18:19], s[24:25]
	s_wait_xcnt 0x0
	v_mov_b64_e32 v[20:21], s[2:3]
	s_mov_b32 s18, s44
	s_cmp_lg_u32 s28, 0
	s_mov_b32 s29, s45
	s_wait_loadcnt 0x0
	v_dual_mov_b32 v29, v22 :: v_dual_mov_b32 v22, v27
	v_mov_b32_e32 v28, v26
	s_delay_alu instid0(VALU_DEP_2) | instskip(SKIP_1) | instid1(VALU_DEP_2)
	v_pk_mul_f32 v[26:27], v[22:23], v[18:19]
	v_pk_mul_f32 v[22:23], v[22:23], v[20:21]
	v_pk_fma_f32 v[26:27], v[28:29], v[20:21], v[26:27] neg_lo:[0,0,1] neg_hi:[0,0,1]
	s_delay_alu instid0(VALU_DEP_2) | instskip(NEXT) | instid1(VALU_DEP_1)
	v_pk_fma_f32 v[20:21], v[28:29], v[18:19], v[22:23]
	v_dual_mov_b32 v18, v26 :: v_dual_mov_b32 v19, v20
	s_delay_alu instid0(VALU_DEP_3)
	v_mov_b32_e32 v20, v27
	ds_store_b128 v16, v[18:21]
	v_add_nc_u32_e32 v16, 16, v16
	s_cbranch_scc1 .LBB144_62
; %bb.63:                               ;   in Loop: Header=BB144_60 Depth=3
	s_and_b32 vcc_lo, exec_lo, s29
	s_ashr_i32 s13, s12, 31
	s_cbranch_vccnz .LBB144_65
	s_branch .LBB144_67
.LBB144_64:                             ;   in Loop: Header=BB144_60 Depth=3
	s_mov_b32 s18, 0
	s_ashr_i32 s13, s12, 31
	s_cbranch_execz .LBB144_67
.LBB144_65:                             ;   in Loop: Header=BB144_60 Depth=3
	s_lshl_b64 s[14:15], s[12:13], 3
	s_lshl_b64 s[28:29], s[18:19], 3
	v_lshl_add_u32 v18, s18, 3, v1
	s_sub_nc_u64 s[14:15], s[14:15], s[28:29]
	s_wait_xcnt 0x0
	v_add_nc_u64_e32 v[16:17], s[14:15], v[14:15]
	s_sub_co_i32 s14, s42, s18
.LBB144_66:                             ;   Parent Loop BB144_4 Depth=1
                                        ;     Parent Loop BB144_57 Depth=2
                                        ;       Parent Loop BB144_60 Depth=3
                                        ; =>      This Inner Loop Header: Depth=4
	global_load_b64 v[20:21], v[16:17], off offset:-4
	v_mov_b64_e32 v[22:23], s[26:27]
	v_mov_b64_e32 v[26:27], s[22:23]
	s_wait_xcnt 0x0
	v_add_nc_u64_e32 v[16:17], -8, v[16:17]
	s_add_co_i32 s14, s14, -1
	s_delay_alu instid0(SALU_CYCLE_1) | instskip(SKIP_2) | instid1(VALU_DEP_1)
	s_cmp_eq_u32 s14, 0
	s_wait_loadcnt 0x0
	v_pk_mul_f32 v[22:23], v[20:21], v[22:23] op_sel:[1,0]
	v_pk_fma_f32 v[28:29], v[20:21], v[26:27], v[22:23] op_sel_hi:[0,1,1]
	v_pk_fma_f32 v[20:21], v[20:21], v[26:27], v[22:23] neg_lo:[0,0,1] neg_hi:[0,0,1]
	s_delay_alu instid0(VALU_DEP_2)
	v_mov_b32_e32 v21, v29
	ds_store_b64 v18, v[20:21]
	v_add_nc_u32_e32 v18, 8, v18
	s_cbranch_scc0 .LBB144_66
.LBB144_67:                             ;   in Loop: Header=BB144_60 Depth=3
	s_cmp_le_i32 s36, s12
	s_cbranch_scc1 .LBB144_79
; %bb.68:                               ;   in Loop: Header=BB144_60 Depth=3
	s_mov_b32 s18, s12
	s_mov_b32 s28, s12
	;; [unrolled: 1-line block ×4, first 2 shown]
	s_branch .LBB144_70
.LBB144_69:                             ;   in Loop: Header=BB144_70 Depth=4
	s_add_co_i32 s14, s14, -1
	s_addk_co_i32 s29, 0xffa0
	s_cmp_le_i32 s14, s12
	s_cbranch_scc1 .LBB144_79
.LBB144_70:                             ;   Parent Loop BB144_4 Depth=1
                                        ;     Parent Loop BB144_57 Depth=2
                                        ;       Parent Loop BB144_60 Depth=3
                                        ; =>      This Loop Header: Depth=4
                                        ;           Child Loop BB144_72 Depth 5
                                        ;           Child Loop BB144_78 Depth 5
	s_ashr_i32 s15, s14, 31
	s_and_b32 vcc_lo, exec_lo, s43
	s_wait_xcnt 0x0
	v_lshl_add_u64 v[16:17], s[14:15], 3, v[12:13]
	global_load_b64 v[16:17], v[16:17], off
	s_cbranch_vccz .LBB144_74
; %bb.71:                               ;   in Loop: Header=BB144_70 Depth=4
	s_wait_loadcnt 0x0
	v_dual_mov_b32 v20, v16 :: v_dual_mov_b32 v21, v16
	v_dual_mov_b32 v18, v17 :: v_dual_mov_b32 v22, v17
	;; [unrolled: 1-line block ×3, first 2 shown]
	s_mul_i32 s15, s14, 0x60
	s_mov_b32 s50, 1
	s_mov_b32 s51, 0
	;; [unrolled: 1-line block ×3, first 2 shown]
.LBB144_72:                             ;   Parent Loop BB144_4 Depth=1
                                        ;     Parent Loop BB144_57 Depth=2
                                        ;       Parent Loop BB144_60 Depth=3
                                        ;         Parent Loop BB144_70 Depth=4
                                        ; =>        This Inner Loop Header: Depth=5
	s_sub_co_i32 s53, s18, s51
	s_sub_co_i32 s54, s28, s50
	s_lshl_b32 s53, s53, 3
	s_lshl_b32 s54, s54, 3
	s_add_co_i32 s53, s15, s53
	s_add_co_i32 s54, s15, s54
	s_delay_alu instid0(SALU_CYCLE_1)
	v_dual_mov_b32 v25, s53 :: v_dual_mov_b32 v26, s54
	s_add_co_i32 s52, s52, -2
	s_add_co_i32 s51, s51, 2
	s_add_co_i32 s50, s50, 2
	ds_load_b64 v[30:31], v25
	ds_load_b64 v[32:33], v26
	ds_load_b128 v[26:29], v19
	s_cmp_lg_u32 s52, 0
	s_wait_dscnt 0x1
	v_dual_mov_b32 v36, v30 :: v_dual_mov_b32 v37, v32
	s_wait_dscnt 0x0
	v_dual_mov_b32 v32, v31 :: v_dual_mov_b32 v34, v26
	v_dual_mov_b32 v35, v28 :: v_dual_mov_b32 v28, v27
	s_delay_alu instid0(VALU_DEP_2) | instskip(SKIP_1) | instid1(VALU_DEP_2)
	v_pk_mul_f32 v[30:31], v[32:33], v[22:23]
	v_pk_mul_f32 v[32:33], v[32:33], v[20:21]
	v_pk_fma_f32 v[26:27], v[36:37], v[20:21], v[30:31] neg_lo:[0,0,1] neg_hi:[0,0,1]
	s_delay_alu instid0(VALU_DEP_2) | instskip(NEXT) | instid1(VALU_DEP_2)
	v_pk_fma_f32 v[30:31], v[36:37], v[22:23], v[32:33]
	v_pk_add_f32 v[32:33], v[34:35], v[26:27] neg_lo:[0,1] neg_hi:[0,1]
	s_delay_alu instid0(VALU_DEP_2) | instskip(NEXT) | instid1(VALU_DEP_1)
	v_pk_add_f32 v[28:29], v[28:29], v[30:31] neg_lo:[0,1] neg_hi:[0,1]
	v_dual_mov_b32 v26, v32 :: v_dual_mov_b32 v27, v28
	s_delay_alu instid0(VALU_DEP_3)
	v_mov_b32_e32 v28, v33
	ds_store_b128 v19, v[26:29]
	v_add_nc_u32_e32 v19, 16, v19
	s_cbranch_scc1 .LBB144_72
; %bb.73:                               ;   in Loop: Header=BB144_70 Depth=4
	s_mov_b32 s15, s45
	s_mov_b32 s50, s44
	s_branch .LBB144_76
.LBB144_74:                             ;   in Loop: Header=BB144_70 Depth=4
	s_wait_loadcnt 0x0
	v_mov_b32_e32 v18, v17
	s_mov_b32 s15, 0
	s_mov_b32 s50, s44
	s_cbranch_execz .LBB144_76
; %bb.75:                               ;   in Loop: Header=BB144_70 Depth=4
	s_mov_b32 s15, -1
	s_mov_b32 s50, 0
.LBB144_76:                             ;   in Loop: Header=BB144_70 Depth=4
	s_and_not1_b32 vcc_lo, exec_lo, s15
	s_cbranch_vccnz .LBB144_69
; %bb.77:                               ;   in Loop: Header=BB144_70 Depth=4
	s_lshl_b32 s51, s50, 3
	s_wait_xcnt 0x0
	v_dual_mov_b32 v19, v17 :: v_dual_mov_b32 v17, v16
	v_add_nc_u32_e32 v20, s51, v1
	s_sub_co_i32 s15, s42, s50
	s_sub_co_i32 s50, s29, s51
.LBB144_78:                             ;   Parent Loop BB144_4 Depth=1
                                        ;     Parent Loop BB144_57 Depth=2
                                        ;       Parent Loop BB144_60 Depth=3
                                        ;         Parent Loop BB144_70 Depth=4
                                        ; =>        This Inner Loop Header: Depth=5
	s_delay_alu instid0(SALU_CYCLE_1)
	v_mov_b32_e32 v21, s50
	s_add_co_i32 s15, s15, -1
	s_add_co_i32 s50, s50, -8
	s_cmp_eq_u32 s15, 0
	ds_load_b64 v[22:23], v21
	ds_load_b64 v[26:27], v20
	s_wait_dscnt 0x1
	v_pk_mul_f32 v[28:29], v[22:23], v[18:19] op_sel:[1,0] op_sel_hi:[0,1]
	s_delay_alu instid0(VALU_DEP_1) | instskip(SKIP_1) | instid1(VALU_DEP_2)
	v_pk_fma_f32 v[30:31], v[22:23], v[16:17], v[28:29]
	v_pk_fma_f32 v[22:23], v[22:23], v[16:17], v[28:29] neg_lo:[0,0,1] neg_hi:[0,0,1]
	v_mov_b32_e32 v23, v31
	s_wait_dscnt 0x0
	s_delay_alu instid0(VALU_DEP_1)
	v_pk_add_f32 v[22:23], v[26:27], v[22:23] neg_lo:[0,1] neg_hi:[0,1]
	ds_store_b64 v20, v[22:23]
	v_add_nc_u32_e32 v20, 8, v20
	s_cbranch_scc0 .LBB144_78
	s_branch .LBB144_69
.LBB144_79:                             ;   in Loop: Header=BB144_60 Depth=3
	s_mov_b32 s18, 0
	s_mov_b32 s50, s48
	s_branch .LBB144_81
.LBB144_80:                             ;   in Loop: Header=BB144_81 Depth=4
	s_mulk_i32 s28, 0x68
	s_add_co_i32 s18, s18, 1
	s_wait_xcnt 0x0
	v_mov_b32_e32 v17, s28
	s_add_co_i32 s50, s50, -8
	s_cmp_eq_u32 s18, s42
	ds_load_b64 v[20:21], v17
	s_wait_dscnt 0x0
	v_pk_mul_f32 v[22:23], v[20:21], v[18:19] op_sel:[1,0] op_sel_hi:[0,0]
	s_delay_alu instid0(VALU_DEP_1) | instskip(SKIP_2) | instid1(VALU_DEP_3)
	v_pk_fma_f32 v[26:27], v[20:21], v[16:17], v[22:23] op_sel_hi:[1,0,1]
	v_pk_fma_f32 v[16:17], v[20:21], v[16:17], v[22:23] neg_lo:[0,0,1] neg_hi:[0,0,1]
	v_lshl_add_u64 v[20:21], s[14:15], 3, v[12:13]
	v_mov_b32_e32 v17, v27
	ds_store_b64 v19, v[16:17]
	global_store_b64 v[20:21], v[16:17], off
	s_cbranch_scc1 .LBB144_59
.LBB144_81:                             ;   Parent Loop BB144_4 Depth=1
                                        ;     Parent Loop BB144_57 Depth=2
                                        ;       Parent Loop BB144_60 Depth=3
                                        ; =>      This Loop Header: Depth=4
                                        ;           Child Loop BB144_83 Depth 5
	v_lshl_add_u32 v19, s18, 3, v1
	s_cmp_lg_u32 s18, 0
	s_cbranch_scc0 .LBB144_85
; %bb.82:                               ;   in Loop: Header=BB144_81 Depth=4
	s_wait_xcnt 0x0
	ds_load_b64 v[16:17], v19
	v_mov_b32_e32 v18, v1
	s_mov_b32 s14, s50
	s_mov_b32 s15, s18
.LBB144_83:                             ;   Parent Loop BB144_4 Depth=1
                                        ;     Parent Loop BB144_57 Depth=2
                                        ;       Parent Loop BB144_60 Depth=3
                                        ;         Parent Loop BB144_81 Depth=4
                                        ; =>        This Inner Loop Header: Depth=5
	v_mov_b32_e32 v22, s14
	s_add_co_i32 s15, s15, -1
	s_addk_co_i32 s14, 0xffa0
	s_cmp_eq_u32 s15, 0
	ds_load_b64 v[20:21], v18
	ds_load_b64 v[22:23], v22
	v_add_nc_u32_e32 v18, 8, v18
	s_wait_dscnt 0x0
	v_pk_mul_f32 v[26:27], v[22:23], v[20:21] op_sel:[1,1] op_sel_hi:[0,1]
	s_delay_alu instid0(VALU_DEP_1) | instskip(SKIP_1) | instid1(VALU_DEP_2)
	v_pk_fma_f32 v[28:29], v[22:23], v[20:21], v[26:27] op_sel_hi:[1,0,1]
	v_pk_fma_f32 v[20:21], v[22:23], v[20:21], v[26:27] neg_lo:[0,0,1] neg_hi:[0,0,1]
	v_mov_b32_e32 v21, v29
	s_delay_alu instid0(VALU_DEP_1)
	v_pk_add_f32 v[16:17], v[16:17], v[20:21] neg_lo:[0,1] neg_hi:[0,1]
	ds_store_b64 v19, v[16:17]
	s_cbranch_scc0 .LBB144_83
; %bb.84:                               ;   in Loop: Header=BB144_81 Depth=4
	s_sub_co_i32 s28, s12, s18
	v_mov_b32_e32 v18, v17
	s_ashr_i32 s29, s28, 31
	s_delay_alu instid0(SALU_CYCLE_1)
	s_mov_b64 s[14:15], s[28:29]
	s_branch .LBB144_80
.LBB144_85:                             ;   in Loop: Header=BB144_81 Depth=4
                                        ; implicit-def: $vgpr16
                                        ; implicit-def: $vgpr18
                                        ; implicit-def: $sgpr28
                                        ; implicit-def: $sgpr14_sgpr15
	s_cbranch_execz .LBB144_80
; %bb.86:                               ;   in Loop: Header=BB144_81 Depth=4
	s_wait_xcnt 0x0
	ds_load_b64 v[16:17], v1
	s_mov_b64 s[14:15], s[12:13]
	s_mov_b32 s28, s12
	s_wait_dscnt 0x0
	v_mov_b32_e32 v18, v17
	s_branch .LBB144_80
.LBB144_87:
	s_endpgm
	.section	.rodata,"a",@progbits
	.p2align	6, 0x0
	.amdhsa_kernel _ZL30rocblas_trsm_small_left_deviceILi12ELi12ELb0E19rocblas_complex_numIfES1_PKS1_PS1_Ev13rocblas_fill_18rocblas_operation_17rocblas_diagonal_iiT3_T4_lilT5_lili
		.amdhsa_group_segment_fixed_size 2304
		.amdhsa_private_segment_fixed_size 0
		.amdhsa_kernarg_size 360
		.amdhsa_user_sgpr_count 4
		.amdhsa_user_sgpr_dispatch_ptr 1
		.amdhsa_user_sgpr_queue_ptr 0
		.amdhsa_user_sgpr_kernarg_segment_ptr 1
		.amdhsa_user_sgpr_dispatch_id 0
		.amdhsa_user_sgpr_kernarg_preload_length 0
		.amdhsa_user_sgpr_kernarg_preload_offset 0
		.amdhsa_user_sgpr_private_segment_size 0
		.amdhsa_wavefront_size32 1
		.amdhsa_uses_dynamic_stack 0
		.amdhsa_enable_private_segment 0
		.amdhsa_system_sgpr_workgroup_id_x 1
		.amdhsa_system_sgpr_workgroup_id_y 0
		.amdhsa_system_sgpr_workgroup_id_z 1
		.amdhsa_system_sgpr_workgroup_info 0
		.amdhsa_system_vgpr_workitem_id 2
		.amdhsa_next_free_vgpr 38
		.amdhsa_next_free_sgpr 56
		.amdhsa_named_barrier_count 0
		.amdhsa_reserve_vcc 1
		.amdhsa_float_round_mode_32 0
		.amdhsa_float_round_mode_16_64 0
		.amdhsa_float_denorm_mode_32 3
		.amdhsa_float_denorm_mode_16_64 3
		.amdhsa_fp16_overflow 0
		.amdhsa_memory_ordered 1
		.amdhsa_forward_progress 1
		.amdhsa_inst_pref_size 32
		.amdhsa_round_robin_scheduling 0
		.amdhsa_exception_fp_ieee_invalid_op 0
		.amdhsa_exception_fp_denorm_src 0
		.amdhsa_exception_fp_ieee_div_zero 0
		.amdhsa_exception_fp_ieee_overflow 0
		.amdhsa_exception_fp_ieee_underflow 0
		.amdhsa_exception_fp_ieee_inexact 0
		.amdhsa_exception_int_div_zero 0
	.end_amdhsa_kernel
	.section	.text._ZL30rocblas_trsm_small_left_deviceILi12ELi12ELb0E19rocblas_complex_numIfES1_PKS1_PS1_Ev13rocblas_fill_18rocblas_operation_17rocblas_diagonal_iiT3_T4_lilT5_lili,"axG",@progbits,_ZL30rocblas_trsm_small_left_deviceILi12ELi12ELb0E19rocblas_complex_numIfES1_PKS1_PS1_Ev13rocblas_fill_18rocblas_operation_17rocblas_diagonal_iiT3_T4_lilT5_lili,comdat
.Lfunc_end144:
	.size	_ZL30rocblas_trsm_small_left_deviceILi12ELi12ELb0E19rocblas_complex_numIfES1_PKS1_PS1_Ev13rocblas_fill_18rocblas_operation_17rocblas_diagonal_iiT3_T4_lilT5_lili, .Lfunc_end144-_ZL30rocblas_trsm_small_left_deviceILi12ELi12ELb0E19rocblas_complex_numIfES1_PKS1_PS1_Ev13rocblas_fill_18rocblas_operation_17rocblas_diagonal_iiT3_T4_lilT5_lili
                                        ; -- End function
	.set _ZL30rocblas_trsm_small_left_deviceILi12ELi12ELb0E19rocblas_complex_numIfES1_PKS1_PS1_Ev13rocblas_fill_18rocblas_operation_17rocblas_diagonal_iiT3_T4_lilT5_lili.num_vgpr, 38
	.set _ZL30rocblas_trsm_small_left_deviceILi12ELi12ELb0E19rocblas_complex_numIfES1_PKS1_PS1_Ev13rocblas_fill_18rocblas_operation_17rocblas_diagonal_iiT3_T4_lilT5_lili.num_agpr, 0
	.set _ZL30rocblas_trsm_small_left_deviceILi12ELi12ELb0E19rocblas_complex_numIfES1_PKS1_PS1_Ev13rocblas_fill_18rocblas_operation_17rocblas_diagonal_iiT3_T4_lilT5_lili.numbered_sgpr, 56
	.set _ZL30rocblas_trsm_small_left_deviceILi12ELi12ELb0E19rocblas_complex_numIfES1_PKS1_PS1_Ev13rocblas_fill_18rocblas_operation_17rocblas_diagonal_iiT3_T4_lilT5_lili.num_named_barrier, 0
	.set _ZL30rocblas_trsm_small_left_deviceILi12ELi12ELb0E19rocblas_complex_numIfES1_PKS1_PS1_Ev13rocblas_fill_18rocblas_operation_17rocblas_diagonal_iiT3_T4_lilT5_lili.private_seg_size, 0
	.set _ZL30rocblas_trsm_small_left_deviceILi12ELi12ELb0E19rocblas_complex_numIfES1_PKS1_PS1_Ev13rocblas_fill_18rocblas_operation_17rocblas_diagonal_iiT3_T4_lilT5_lili.uses_vcc, 1
	.set _ZL30rocblas_trsm_small_left_deviceILi12ELi12ELb0E19rocblas_complex_numIfES1_PKS1_PS1_Ev13rocblas_fill_18rocblas_operation_17rocblas_diagonal_iiT3_T4_lilT5_lili.uses_flat_scratch, 0
	.set _ZL30rocblas_trsm_small_left_deviceILi12ELi12ELb0E19rocblas_complex_numIfES1_PKS1_PS1_Ev13rocblas_fill_18rocblas_operation_17rocblas_diagonal_iiT3_T4_lilT5_lili.has_dyn_sized_stack, 0
	.set _ZL30rocblas_trsm_small_left_deviceILi12ELi12ELb0E19rocblas_complex_numIfES1_PKS1_PS1_Ev13rocblas_fill_18rocblas_operation_17rocblas_diagonal_iiT3_T4_lilT5_lili.has_recursion, 0
	.set _ZL30rocblas_trsm_small_left_deviceILi12ELi12ELb0E19rocblas_complex_numIfES1_PKS1_PS1_Ev13rocblas_fill_18rocblas_operation_17rocblas_diagonal_iiT3_T4_lilT5_lili.has_indirect_call, 0
	.section	.AMDGPU.csdata,"",@progbits
; Kernel info:
; codeLenInByte = 4092
; TotalNumSgprs: 58
; NumVgprs: 38
; ScratchSize: 0
; MemoryBound: 0
; FloatMode: 240
; IeeeMode: 1
; LDSByteSize: 2304 bytes/workgroup (compile time only)
; SGPRBlocks: 0
; VGPRBlocks: 2
; NumSGPRsForWavesPerEU: 58
; NumVGPRsForWavesPerEU: 38
; NamedBarCnt: 0
; Occupancy: 16
; WaveLimiterHint : 0
; COMPUTE_PGM_RSRC2:SCRATCH_EN: 0
; COMPUTE_PGM_RSRC2:USER_SGPR: 4
; COMPUTE_PGM_RSRC2:TRAP_HANDLER: 0
; COMPUTE_PGM_RSRC2:TGID_X_EN: 1
; COMPUTE_PGM_RSRC2:TGID_Y_EN: 0
; COMPUTE_PGM_RSRC2:TGID_Z_EN: 1
; COMPUTE_PGM_RSRC2:TIDIG_COMP_CNT: 2
	.section	.text._ZL38rocblas_trsm_small_left_device_sharedBILi12ELi12ELb1E19rocblas_complex_numIfES1_PKS1_PS1_Ev13rocblas_fill_18rocblas_operation_17rocblas_diagonal_iiT3_T4_lilT5_lili,"axG",@progbits,_ZL38rocblas_trsm_small_left_device_sharedBILi12ELi12ELb1E19rocblas_complex_numIfES1_PKS1_PS1_Ev13rocblas_fill_18rocblas_operation_17rocblas_diagonal_iiT3_T4_lilT5_lili,comdat
	.globl	_ZL38rocblas_trsm_small_left_device_sharedBILi12ELi12ELb1E19rocblas_complex_numIfES1_PKS1_PS1_Ev13rocblas_fill_18rocblas_operation_17rocblas_diagonal_iiT3_T4_lilT5_lili ; -- Begin function _ZL38rocblas_trsm_small_left_device_sharedBILi12ELi12ELb1E19rocblas_complex_numIfES1_PKS1_PS1_Ev13rocblas_fill_18rocblas_operation_17rocblas_diagonal_iiT3_T4_lilT5_lili
	.p2align	8
	.type	_ZL38rocblas_trsm_small_left_device_sharedBILi12ELi12ELb1E19rocblas_complex_numIfES1_PKS1_PS1_Ev13rocblas_fill_18rocblas_operation_17rocblas_diagonal_iiT3_T4_lilT5_lili,@function
_ZL38rocblas_trsm_small_left_device_sharedBILi12ELi12ELb1E19rocblas_complex_numIfES1_PKS1_PS1_Ev13rocblas_fill_18rocblas_operation_17rocblas_diagonal_iiT3_T4_lilT5_lili: ; @_ZL38rocblas_trsm_small_left_device_sharedBILi12ELi12ELb1E19rocblas_complex_numIfES1_PKS1_PS1_Ev13rocblas_fill_18rocblas_operation_17rocblas_diagonal_iiT3_T4_lilT5_lili
; %bb.0:
	s_load_b32 s15, s[2:3], 0x60
	s_bfe_u32 s4, ttmp6, 0x40014
	s_lshr_b32 s5, ttmp7, 16
	s_add_co_i32 s4, s4, 1
	s_bfe_u32 s7, ttmp6, 0x40008
	s_mul_i32 s6, s5, s4
	s_getreg_b32 s4, hwreg(HW_REG_IB_STS2, 6, 4)
	s_add_co_i32 s7, s7, s6
	s_cmp_eq_u32 s4, 0
	s_mov_b32 s17, 0
	s_cselect_b32 s16, s5, s7
	s_wait_kmcnt 0x0
	s_cmp_ge_u32 s16, s15
	s_cbranch_scc1 .LBB145_81
; %bb.1:
	s_clause 0x1
	s_load_b32 s20, s[2:3], 0x30
	s_load_b96 s[12:14], s[2:3], 0x48
	s_load_b64 s[26:27], s[0:1], 0x4
	s_clause 0x2
	s_load_b128 s[8:11], s[2:3], 0x4
	s_load_b32 s5, s[2:3], 0x68
	s_load_b64 s[18:19], s[2:3], 0x14
	v_and_b32_e32 v8, 0x3ff, v0
	v_mov_b32_e32 v3, 0
	v_bfe_u32 v1, v0, 10, 10
	v_bfe_u32 v9, v0, 20, 10
	s_delay_alu instid0(VALU_DEP_4) | instskip(SKIP_1) | instid1(VALU_DEP_2)
	v_lshlrev_b32_e32 v2, 3, v8
	v_mul_u32_u24_e32 v12, 0x60, v8
	v_add_nc_u32_e32 v20, 0x480, v2
	s_delay_alu instid0(VALU_DEP_2)
	v_add_nc_u32_e32 v21, v2, v12
	s_wait_kmcnt 0x0
	s_ashr_i32 s21, s20, 31
	s_ashr_i32 s0, s14, 31
	s_lshr_b32 s26, s26, 16
	s_cmp_lg_u32 s8, 0x71
	s_mul_i32 s26, s26, s27
	s_cselect_b32 s1, -1, 0
	s_bfe_u32 s6, ttmp6, 0x4000c
	s_min_i32 s22, s10, 12
	s_add_co_i32 s6, s6, 1
	s_add_co_i32 s24, s5, -1
	s_and_b32 s5, ttmp6, 15
	s_mul_i32 s6, ttmp9, s6
	s_add_co_i32 s23, s22, -1
	s_add_co_i32 s25, s5, s6
	s_cmp_eq_u32 s4, 0
	s_load_b128 s[4:7], s[2:3], 0x38
	s_cselect_b32 s25, ttmp9, s25
	v_mul_u32_u24_e32 v10, s26, v8
	s_mul_i32 s28, s25, -12
	s_delay_alu instid0(SALU_CYCLE_1)
	s_add_co_i32 s11, s11, s28
	s_cmp_ge_u32 s25, s24
	s_mul_i32 s28, s25, 12
	s_cselect_b32 s30, s11, 12
	s_ashr_i32 s29, s28, 31
	s_cmp_lg_u32 s9, 0x84
	v_lshl_add_u64 v[6:7], s[28:29], 3, v[2:3]
	s_cselect_b32 s24, -1, 0
	s_cmp_gt_i32 s10, 0
	v_cmp_gt_i32_e32 vcc_lo, s30, v8
	s_cselect_b32 s31, -1, 0
	s_cmp_lg_u32 s8, 0x6f
	s_cselect_b32 s25, -1, 0
	s_lshl_b64 s[8:9], s[12:13], 3
	s_wait_kmcnt 0x0
	s_lshl_b64 s[4:5], s[4:5], 3
	s_add_nc_u64 s[6:7], s[6:7], s[8:9]
	s_clause 0x1
	s_load_b128 s[8:11], s[2:3], 0x20
	s_load_b64 s[12:13], s[2:3], 0x58
	v_mad_nc_u64_u32 v[4:5], v6, s14, s[6:7]
	s_wait_xcnt 0x0
	s_mov_b32 s2, s19
	s_mov_b32 s3, s18
	s_delay_alu instid0(VALU_DEP_1) | instskip(SKIP_3) | instid1(VALU_DEP_2)
	v_mad_u32 v5, v7, s14, v5
	v_mul_u32_u24_e32 v7, s27, v1
	s_movk_i32 s14, 0x60
	v_mov_b64_e32 v[0:1], 0xbf80000000000000
	v_add3_u32 v9, v10, v7, v9
	s_wait_kmcnt 0x0
	s_lshl_b64 s[6:7], s[10:11], 3
	v_mov_b64_e32 v[10:11], 0x3f800000
	s_add_nc_u64 s[6:7], s[8:9], s[6:7]
	s_lshl_b64 s[10:11], s[12:13], 3
	v_mad_u32 v5, v6, s0, v5
	v_add_nc_u64_e32 v[6:7], s[6:7], v[2:3]
	v_mad_u32 v3, v9, s14, 0x900
	v_cmp_gt_i32_e64 s0, s22, v8
	s_lshl_b64 s[6:7], s[20:21], 3
	s_lshl_b32 s20, s22, 3
	s_and_b32 s14, vcc_lo, s31
	s_add_co_i32 s20, s20, -8
	v_add_nc_u64_e32 v[6:7], 4, v[6:7]
	s_get_pc_i64 s[8:9]
	s_add_nc_u64 s[8:9], s[8:9], __const._ZL38rocblas_trsm_small_left_device_sharedBILi12ELi12ELb1E19rocblas_complex_numIfES1_PKS1_PS1_Ev13rocblas_fill_18rocblas_operation_17rocblas_diagonal_iiT3_T4_lilT5_lili.step_sizes@rel64+4
	v_add_nc_u64_e32 v[8:9], 4, v[4:5]
	s_branch .LBB145_3
.LBB145_2:                              ;   in Loop: Header=BB145_3 Depth=1
	s_or_b32 exec_lo, exec_lo, s21
	s_add_co_i32 s16, s16, 0x10000
	s_delay_alu instid0(SALU_CYCLE_1)
	s_cmp_lt_u32 s16, s15
	s_cbranch_scc0 .LBB145_81
.LBB145_3:                              ; =>This Loop Header: Depth=1
                                        ;     Child Loop BB145_6 Depth 2
                                        ;     Child Loop BB145_20 Depth 2
	;; [unrolled: 1-line block ×3, first 2 shown]
                                        ;       Child Loop BB145_27 Depth 3
                                        ;         Child Loop BB145_28 Depth 4
                                        ;         Child Loop BB145_32 Depth 4
                                        ;           Child Loop BB145_34 Depth 5
                                        ;           Child Loop BB145_40 Depth 5
                                        ;         Child Loop BB145_43 Depth 4
                                        ;           Child Loop BB145_45 Depth 5
                                        ;     Child Loop BB145_53 Depth 2
                                        ;       Child Loop BB145_56 Depth 3
                                        ;         Child Loop BB145_57 Depth 4
                                        ;         Child Loop BB145_61 Depth 4
                                        ;           Child Loop BB145_63 Depth 5
                                        ;           Child Loop BB145_69 Depth 5
                                        ;         Child Loop BB145_72 Depth 4
                                        ;           Child Loop BB145_74 Depth 5
                                        ;     Child Loop BB145_80 Depth 2
	s_and_saveexec_b32 s12, s0
	s_cbranch_execz .LBB145_18
; %bb.4:                                ;   in Loop: Header=BB145_3 Depth=1
	v_mad_nc_u64_u32 v[12:13], s4, s16, v[6:7]
	v_mov_b32_e32 v16, v2
	s_mov_b32 s13, s22
	s_delay_alu instid0(VALU_DEP_2)
	v_mad_u32 v13, s5, s16, v13
	s_branch .LBB145_6
.LBB145_5:                              ;   in Loop: Header=BB145_6 Depth=2
	global_load_b32 v14, v[12:13], off offset:-4
	s_wait_xcnt 0x0
	v_add_nc_u64_e32 v[12:13], s[6:7], v[12:13]
	s_add_co_i32 s13, s13, -1
	s_delay_alu instid0(SALU_CYCLE_1)
	s_cmp_eq_u32 s13, 0
	s_wait_loadcnt 0x0
	ds_store_b64 v16, v[14:15]
	v_add_nc_u32_e32 v16, 0x60, v16
	s_cbranch_scc1 .LBB145_10
.LBB145_6:                              ;   Parent Loop BB145_3 Depth=1
                                        ; =>  This Inner Loop Header: Depth=2
	s_and_b32 vcc_lo, exec_lo, s1
	s_mov_b32 s21, -1
                                        ; implicit-def: $vgpr15
	s_cbranch_vccz .LBB145_8
; %bb.7:                                ;   in Loop: Header=BB145_6 Depth=2
	global_load_b32 v15, v[12:13], off
	s_mov_b32 s21, 0
.LBB145_8:                              ;   in Loop: Header=BB145_6 Depth=2
	s_delay_alu instid0(SALU_CYCLE_1)
	s_and_not1_b32 vcc_lo, exec_lo, s21
	s_cbranch_vccnz .LBB145_5
; %bb.9:                                ;   in Loop: Header=BB145_6 Depth=2
	global_load_b32 v14, v[12:13], off
	s_wait_loadcnt 0x0
	v_xor_b32_e32 v15, 0x80000000, v14
	s_branch .LBB145_5
.LBB145_10:                             ;   in Loop: Header=BB145_3 Depth=1
	s_and_b32 vcc_lo, exec_lo, s24
	s_mov_b32 s13, -1
	s_cbranch_vccz .LBB145_16
; %bb.11:                               ;   in Loop: Header=BB145_3 Depth=1
	ds_load_b64 v[12:13], v21
                                        ; implicit-def: $vgpr14_vgpr15
	s_wait_dscnt 0x0
	v_cmp_ngt_f32_e64 s13, |v12|, |v13|
	s_and_saveexec_b32 s21, s13
	s_delay_alu instid0(SALU_CYCLE_1)
	s_xor_b32 s13, exec_lo, s21
	s_cbranch_execz .LBB145_13
; %bb.12:                               ;   in Loop: Header=BB145_3 Depth=1
	v_div_scale_f32 v14, null, v13, v13, v12
	v_div_scale_f32 v17, vcc_lo, v12, v13, v12
	s_delay_alu instid0(VALU_DEP_2) | instskip(SKIP_1) | instid1(TRANS32_DEP_1)
	v_rcp_f32_e32 v15, v14
	v_nop
	v_fma_f32 v16, -v14, v15, 1.0
	s_delay_alu instid0(VALU_DEP_1) | instskip(NEXT) | instid1(VALU_DEP_1)
	v_fmac_f32_e32 v15, v16, v15
	v_mul_f32_e32 v16, v17, v15
	s_delay_alu instid0(VALU_DEP_1) | instskip(NEXT) | instid1(VALU_DEP_1)
	v_fma_f32 v18, -v14, v16, v17
	v_fmac_f32_e32 v16, v18, v15
	s_delay_alu instid0(VALU_DEP_1) | instskip(NEXT) | instid1(VALU_DEP_1)
	v_fma_f32 v14, -v14, v16, v17
	v_div_fmas_f32 v14, v14, v15, v16
	s_delay_alu instid0(VALU_DEP_1) | instskip(NEXT) | instid1(VALU_DEP_1)
	v_div_fixup_f32 v14, v14, v13, v12
	v_fmac_f32_e32 v13, v12, v14
	s_delay_alu instid0(VALU_DEP_1) | instskip(SKIP_1) | instid1(VALU_DEP_2)
	v_div_scale_f32 v12, null, v13, v13, 1.0
	v_div_scale_f32 v17, vcc_lo, 1.0, v13, 1.0
	v_rcp_f32_e32 v15, v12
	v_nop
	s_delay_alu instid0(TRANS32_DEP_1) | instskip(NEXT) | instid1(VALU_DEP_1)
	v_fma_f32 v16, -v12, v15, 1.0
	v_fmac_f32_e32 v15, v16, v15
	s_delay_alu instid0(VALU_DEP_1) | instskip(NEXT) | instid1(VALU_DEP_1)
	v_mul_f32_e32 v16, v17, v15
	v_fma_f32 v18, -v12, v16, v17
	s_delay_alu instid0(VALU_DEP_1) | instskip(NEXT) | instid1(VALU_DEP_1)
	v_fmac_f32_e32 v16, v18, v15
	v_fma_f32 v12, -v12, v16, v17
	s_delay_alu instid0(VALU_DEP_1) | instskip(SKIP_1) | instid1(VALU_DEP_2)
	v_div_fmas_f32 v12, v12, v15, v16
	v_mul_f32_e32 v15, 0, v14
	v_div_fixup_f32 v12, v12, v13, 1.0
	s_delay_alu instid0(VALU_DEP_2) | instskip(NEXT) | instid1(VALU_DEP_1)
	v_pk_add_f32 v[14:15], v[14:15], v[0:1]
	v_pk_mul_f32 v[14:15], v[14:15], v[12:13] op_sel_hi:[1,0]
                                        ; implicit-def: $vgpr12_vgpr13
.LBB145_13:                             ;   in Loop: Header=BB145_3 Depth=1
	s_and_not1_saveexec_b32 s13, s13
	s_cbranch_execz .LBB145_15
; %bb.14:                               ;   in Loop: Header=BB145_3 Depth=1
	v_div_scale_f32 v14, null, v12, v12, v13
	v_div_scale_f32 v17, vcc_lo, v13, v12, v13
	s_delay_alu instid0(VALU_DEP_2) | instskip(SKIP_1) | instid1(TRANS32_DEP_1)
	v_rcp_f32_e32 v15, v14
	v_nop
	v_fma_f32 v16, -v14, v15, 1.0
	s_delay_alu instid0(VALU_DEP_1) | instskip(NEXT) | instid1(VALU_DEP_1)
	v_fmac_f32_e32 v15, v16, v15
	v_mul_f32_e32 v16, v17, v15
	s_delay_alu instid0(VALU_DEP_1) | instskip(NEXT) | instid1(VALU_DEP_1)
	v_fma_f32 v18, -v14, v16, v17
	v_fmac_f32_e32 v16, v18, v15
	s_delay_alu instid0(VALU_DEP_1) | instskip(NEXT) | instid1(VALU_DEP_1)
	v_fma_f32 v14, -v14, v16, v17
	v_div_fmas_f32 v14, v14, v15, v16
	s_delay_alu instid0(VALU_DEP_1) | instskip(NEXT) | instid1(VALU_DEP_1)
	v_div_fixup_f32 v15, v14, v12, v13
	v_fmac_f32_e32 v12, v13, v15
	s_delay_alu instid0(VALU_DEP_1) | instskip(SKIP_1) | instid1(VALU_DEP_2)
	v_div_scale_f32 v13, null, v12, v12, 1.0
	v_div_scale_f32 v17, vcc_lo, 1.0, v12, 1.0
	v_rcp_f32_e32 v14, v13
	v_nop
	s_delay_alu instid0(TRANS32_DEP_1) | instskip(NEXT) | instid1(VALU_DEP_1)
	v_fma_f32 v16, -v13, v14, 1.0
	v_fmac_f32_e32 v14, v16, v14
	s_delay_alu instid0(VALU_DEP_1) | instskip(NEXT) | instid1(VALU_DEP_1)
	v_mul_f32_e32 v16, v17, v14
	v_fma_f32 v18, -v13, v16, v17
	s_delay_alu instid0(VALU_DEP_1) | instskip(NEXT) | instid1(VALU_DEP_1)
	v_fmac_f32_e32 v16, v18, v14
	v_dual_fma_f32 v13, -v13, v16, v17 :: v_dual_mul_f32 v17, 0, v15
	v_sub_f32_e32 v15, 0, v15
	s_delay_alu instid0(VALU_DEP_2) | instskip(NEXT) | instid1(VALU_DEP_3)
	v_div_fmas_f32 v13, v13, v14, v16
	v_add_f32_e32 v14, 1.0, v17
	s_delay_alu instid0(VALU_DEP_2) | instskip(NEXT) | instid1(VALU_DEP_1)
	v_div_fixup_f32 v12, v13, v12, 1.0
	v_pk_mul_f32 v[14:15], v[14:15], v[12:13] op_sel_hi:[1,0]
.LBB145_15:                             ;   in Loop: Header=BB145_3 Depth=1
	s_or_b32 exec_lo, exec_lo, s13
	s_mov_b32 s13, 0
	ds_store_b64 v21, v[14:15]
.LBB145_16:                             ;   in Loop: Header=BB145_3 Depth=1
	s_and_b32 vcc_lo, exec_lo, s13
	s_cbranch_vccz .LBB145_18
; %bb.17:                               ;   in Loop: Header=BB145_3 Depth=1
	ds_store_b64 v21, v[10:11]
.LBB145_18:                             ;   in Loop: Header=BB145_3 Depth=1
	s_or_b32 exec_lo, exec_lo, s12
	s_mul_u64 s[12:13], s[10:11], s[16:17]
	s_and_saveexec_b32 s21, s14
	s_cbranch_execz .LBB145_21
; %bb.19:                               ;   in Loop: Header=BB145_3 Depth=1
	v_add_nc_u64_e32 v[12:13], s[12:13], v[8:9]
	v_mov_b32_e32 v14, v20
	s_mov_b32 s26, s22
.LBB145_20:                             ;   Parent Loop BB145_3 Depth=1
                                        ; =>  This Inner Loop Header: Depth=2
	global_load_b64 v[16:17], v[12:13], off offset:-4
	v_mov_b64_e32 v[18:19], s[2:3]
	v_mov_b64_e32 v[22:23], s[18:19]
	s_wait_xcnt 0x0
	v_add_nc_u64_e32 v[12:13], 8, v[12:13]
	s_add_co_i32 s26, s26, -1
	s_delay_alu instid0(SALU_CYCLE_1) | instskip(SKIP_2) | instid1(VALU_DEP_1)
	s_cmp_lg_u32 s26, 0
	s_wait_loadcnt 0x0
	v_pk_mul_f32 v[18:19], v[18:19], v[16:17] op_sel:[0,1]
	v_pk_fma_f32 v[24:25], v[22:23], v[16:17], v[18:19] op_sel_hi:[1,0,1]
	v_pk_fma_f32 v[16:17], v[22:23], v[16:17], v[18:19] neg_lo:[0,0,1] neg_hi:[0,0,1]
	s_delay_alu instid0(VALU_DEP_2)
	v_mov_b32_e32 v17, v25
	ds_store_b64 v14, v[16:17]
	v_add_nc_u32_e32 v14, 0x60, v14
	s_cbranch_scc1 .LBB145_20
.LBB145_21:                             ;   in Loop: Header=BB145_3 Depth=1
	s_or_b32 exec_lo, exec_lo, s21
	s_delay_alu instid0(SALU_CYCLE_1)
	s_and_not1_b32 vcc_lo, exec_lo, s25
	s_mov_b32 s21, -1
	s_wait_dscnt 0x0
	; wave barrier
	s_cbranch_vccnz .LBB145_50
; %bb.22:                               ;   in Loop: Header=BB145_3 Depth=1
	s_mov_b32 s26, 0
	s_mov_b32 s21, s23
	s_branch .LBB145_24
.LBB145_23:                             ;   in Loop: Header=BB145_24 Depth=2
	s_cmp_gt_i32 s21, -1
	s_cselect_b32 s27, -1, 0
	s_add_co_i32 s28, s26, 1
	s_cmp_lt_u32 s26, 2
	s_wait_xcnt 0x0
	s_cselect_b32 s26, -1, 0
	s_delay_alu instid0(SALU_CYCLE_1) | instskip(NEXT) | instid1(SALU_CYCLE_1)
	s_and_b32 s26, s27, s26
	s_and_b32 vcc_lo, exec_lo, s26
	s_mov_b32 s26, s28
	s_cbranch_vccz .LBB145_49
.LBB145_24:                             ;   Parent Loop BB145_3 Depth=1
                                        ; =>  This Loop Header: Depth=2
                                        ;       Child Loop BB145_27 Depth 3
                                        ;         Child Loop BB145_28 Depth 4
                                        ;         Child Loop BB145_32 Depth 4
                                        ;           Child Loop BB145_34 Depth 5
                                        ;           Child Loop BB145_40 Depth 5
                                        ;         Child Loop BB145_43 Depth 4
                                        ;           Child Loop BB145_45 Depth 5
	s_load_b32 s27, s[8:9], s26 offset:0x0 scale_offset
	s_wait_kmcnt 0x0
	s_add_co_i32 s28, s27, -1
	s_delay_alu instid0(SALU_CYCLE_1)
	s_cmp_lt_i32 s21, s28
	s_cbranch_scc1 .LBB145_23
; %bb.25:                               ;   in Loop: Header=BB145_24 Depth=2
	s_max_i32 s29, s27, 1
	s_cmp_lg_u32 s26, 2
	s_mul_i32 s35, s21, 0x60
	s_cselect_b32 s30, -1, 0
	s_and_b32 s31, s29, 0x7ffffffe
	v_add_nc_u32_e32 v22, s35, v20
	s_cmp_lg_u32 s29, s31
	s_mul_i32 s34, s27, 0xffffffa0
	s_cselect_b32 s33, -1, 0
	s_add_co_i32 s35, s20, s35
	s_mul_i32 s36, s21, 0x68
	s_mul_i32 s37, s27, 0xffffff98
	s_branch .LBB145_27
.LBB145_26:                             ;   in Loop: Header=BB145_27 Depth=3
	v_add_nc_u32_e32 v22, s34, v22
	s_sub_co_i32 s21, s21, s27
	s_add_co_i32 s35, s35, s34
	s_add_co_i32 s36, s36, s37
	s_cmp_lt_i32 s21, s28
	s_cbranch_scc1 .LBB145_23
.LBB145_27:                             ;   Parent Loop BB145_3 Depth=1
                                        ;     Parent Loop BB145_24 Depth=2
                                        ; =>    This Loop Header: Depth=3
                                        ;         Child Loop BB145_28 Depth 4
                                        ;         Child Loop BB145_32 Depth 4
                                        ;           Child Loop BB145_34 Depth 5
                                        ;           Child Loop BB145_40 Depth 5
                                        ;         Child Loop BB145_43 Depth 4
                                        ;           Child Loop BB145_45 Depth 5
	v_dual_mov_b32 v12, v3 :: v_dual_mov_b32 v13, v22
	s_mov_b32 s38, s29
.LBB145_28:                             ;   Parent Loop BB145_3 Depth=1
                                        ;     Parent Loop BB145_24 Depth=2
                                        ;       Parent Loop BB145_27 Depth=3
                                        ; =>      This Inner Loop Header: Depth=4
	ds_load_b64 v[14:15], v13
	v_add_nc_u32_e32 v13, 0xffffffa0, v13
	s_add_co_i32 s38, s38, -1
	s_delay_alu instid0(SALU_CYCLE_1)
	s_cmp_eq_u32 s38, 0
	s_wait_dscnt 0x0
	ds_store_b64 v12, v[14:15]
	v_add_nc_u32_e32 v12, 8, v12
	s_cbranch_scc0 .LBB145_28
; %bb.29:                               ;   in Loop: Header=BB145_27 Depth=3
	s_cmp_le_i32 s23, s21
	s_cbranch_scc1 .LBB145_41
; %bb.30:                               ;   in Loop: Header=BB145_27 Depth=3
	s_mov_b32 s38, s21
	s_mov_b32 s39, s35
	;; [unrolled: 1-line block ×3, first 2 shown]
	s_branch .LBB145_32
.LBB145_31:                             ;   in Loop: Header=BB145_32 Depth=4
	s_add_co_i32 s40, s40, -1
	s_add_co_i32 s39, s39, -8
	s_cmp_le_i32 s40, s21
	s_cbranch_scc1 .LBB145_41
.LBB145_32:                             ;   Parent Loop BB145_3 Depth=1
                                        ;     Parent Loop BB145_24 Depth=2
                                        ;       Parent Loop BB145_27 Depth=3
                                        ; =>      This Loop Header: Depth=4
                                        ;           Child Loop BB145_34 Depth 5
                                        ;           Child Loop BB145_40 Depth 5
	v_mad_u32 v12, 0x60, s40, v20
	s_and_b32 vcc_lo, exec_lo, s30
	ds_load_b64 v[12:13], v12
	s_cbranch_vccz .LBB145_36
; %bb.33:                               ;   in Loop: Header=BB145_32 Depth=4
	s_wait_dscnt 0x0
	v_dual_mov_b32 v16, v12 :: v_dual_mov_b32 v17, v12
	v_dual_mov_b32 v14, v13 :: v_dual_mov_b32 v18, v13
	;; [unrolled: 1-line block ×3, first 2 shown]
	s_lshl_b32 s41, s40, 3
	s_mov_b32 s42, 1
	s_mov_b32 s43, 0
	;; [unrolled: 1-line block ×3, first 2 shown]
.LBB145_34:                             ;   Parent Loop BB145_3 Depth=1
                                        ;     Parent Loop BB145_24 Depth=2
                                        ;       Parent Loop BB145_27 Depth=3
                                        ;         Parent Loop BB145_32 Depth=4
                                        ; =>        This Inner Loop Header: Depth=5
	s_sub_co_i32 s45, s21, s43
	s_sub_co_i32 s46, s38, s42
	s_mulk_i32 s45, 0x60
	s_mulk_i32 s46, 0x60
	s_add_co_i32 s45, s41, s45
	s_add_co_i32 s46, s41, s46
	s_delay_alu instid0(SALU_CYCLE_1)
	v_dual_mov_b32 v23, s45 :: v_dual_mov_b32 v24, s46
	s_add_co_i32 s44, s44, -2
	s_add_co_i32 s43, s43, 2
	s_add_co_i32 s42, s42, 2
	ds_load_b64 v[28:29], v23
	ds_load_b64 v[30:31], v24
	ds_load_b128 v[24:27], v15
	s_cmp_lg_u32 s44, 0
	s_wait_dscnt 0x1
	v_dual_mov_b32 v34, v28 :: v_dual_mov_b32 v35, v30
	s_wait_dscnt 0x0
	v_dual_mov_b32 v30, v29 :: v_dual_mov_b32 v32, v24
	v_dual_mov_b32 v33, v26 :: v_dual_mov_b32 v26, v25
	s_delay_alu instid0(VALU_DEP_2) | instskip(SKIP_1) | instid1(VALU_DEP_2)
	v_pk_mul_f32 v[28:29], v[30:31], v[18:19]
	v_pk_mul_f32 v[30:31], v[30:31], v[16:17]
	v_pk_fma_f32 v[24:25], v[34:35], v[16:17], v[28:29] neg_lo:[0,0,1] neg_hi:[0,0,1]
	s_delay_alu instid0(VALU_DEP_2) | instskip(NEXT) | instid1(VALU_DEP_2)
	v_pk_fma_f32 v[28:29], v[34:35], v[18:19], v[30:31]
	v_pk_add_f32 v[30:31], v[32:33], v[24:25] neg_lo:[0,1] neg_hi:[0,1]
	s_delay_alu instid0(VALU_DEP_2) | instskip(NEXT) | instid1(VALU_DEP_1)
	v_pk_add_f32 v[26:27], v[26:27], v[28:29] neg_lo:[0,1] neg_hi:[0,1]
	v_dual_mov_b32 v24, v30 :: v_dual_mov_b32 v25, v26
	s_delay_alu instid0(VALU_DEP_3)
	v_mov_b32_e32 v26, v31
	ds_store_b128 v15, v[24:27]
	v_add_nc_u32_e32 v15, 16, v15
	s_cbranch_scc1 .LBB145_34
; %bb.35:                               ;   in Loop: Header=BB145_32 Depth=4
	s_mov_b32 s41, s33
	s_mov_b32 s42, s31
	s_branch .LBB145_38
.LBB145_36:                             ;   in Loop: Header=BB145_32 Depth=4
	s_wait_dscnt 0x0
	v_mov_b32_e32 v14, v13
	s_mov_b32 s41, 0
	s_mov_b32 s42, s31
	s_cbranch_execz .LBB145_38
; %bb.37:                               ;   in Loop: Header=BB145_32 Depth=4
	s_mov_b32 s41, -1
	s_mov_b32 s42, 0
.LBB145_38:                             ;   in Loop: Header=BB145_32 Depth=4
	s_and_not1_b32 vcc_lo, exec_lo, s41
	s_cbranch_vccnz .LBB145_31
; %bb.39:                               ;   in Loop: Header=BB145_32 Depth=4
	v_dual_mov_b32 v15, v13 :: v_dual_mov_b32 v13, v12
	v_lshl_add_u32 v16, s42, 3, v3
	s_mul_i32 s43, s42, 0xffffffa0
	s_sub_co_i32 s41, s29, s42
	s_add_co_i32 s42, s39, s43
.LBB145_40:                             ;   Parent Loop BB145_3 Depth=1
                                        ;     Parent Loop BB145_24 Depth=2
                                        ;       Parent Loop BB145_27 Depth=3
                                        ;         Parent Loop BB145_32 Depth=4
                                        ; =>        This Inner Loop Header: Depth=5
	s_delay_alu instid0(SALU_CYCLE_1)
	v_mov_b32_e32 v17, s42
	s_add_co_i32 s41, s41, -1
	s_addk_co_i32 s42, 0xffa0
	s_cmp_eq_u32 s41, 0
	ds_load_b64 v[18:19], v17
	ds_load_b64 v[24:25], v16
	s_wait_dscnt 0x1
	v_pk_mul_f32 v[26:27], v[18:19], v[14:15] op_sel:[1,0] op_sel_hi:[0,1]
	s_delay_alu instid0(VALU_DEP_1) | instskip(SKIP_1) | instid1(VALU_DEP_2)
	v_pk_fma_f32 v[28:29], v[18:19], v[12:13], v[26:27]
	v_pk_fma_f32 v[18:19], v[18:19], v[12:13], v[26:27] neg_lo:[0,0,1] neg_hi:[0,0,1]
	v_mov_b32_e32 v19, v29
	s_wait_dscnt 0x0
	s_delay_alu instid0(VALU_DEP_1)
	v_pk_add_f32 v[18:19], v[24:25], v[18:19] neg_lo:[0,1] neg_hi:[0,1]
	ds_store_b64 v16, v[18:19]
	v_add_nc_u32_e32 v16, 8, v16
	s_cbranch_scc0 .LBB145_40
	s_branch .LBB145_31
.LBB145_41:                             ;   in Loop: Header=BB145_27 Depth=3
	s_mul_i32 s38, s21, 0x60
	s_mov_b32 s39, 0
	s_mov_b32 s40, s36
	s_branch .LBB145_43
.LBB145_42:                             ;   in Loop: Header=BB145_43 Depth=4
	s_mulk_i32 s42, 0x68
	s_add_co_i32 s39, s39, 1
	v_mov_b32_e32 v13, s42
	s_addk_co_i32 s40, 0xffa0
	s_cmp_eq_u32 s39, s29
	ds_load_b64 v[16:17], v13
	s_wait_dscnt 0x0
	v_pk_mul_f32 v[18:19], v[16:17], v[14:15] op_sel:[1,0] op_sel_hi:[0,0]
	v_add_nc_u32_e32 v14, s41, v20
	s_delay_alu instid0(VALU_DEP_2) | instskip(SKIP_1) | instid1(VALU_DEP_2)
	v_pk_fma_f32 v[24:25], v[16:17], v[12:13], v[18:19] op_sel_hi:[1,0,1]
	v_pk_fma_f32 v[12:13], v[16:17], v[12:13], v[18:19] neg_lo:[0,0,1] neg_hi:[0,0,1]
	v_mov_b32_e32 v13, v25
	ds_store_b64 v15, v[12:13]
	ds_store_b64 v14, v[12:13]
	s_cbranch_scc1 .LBB145_26
.LBB145_43:                             ;   Parent Loop BB145_3 Depth=1
                                        ;     Parent Loop BB145_24 Depth=2
                                        ;       Parent Loop BB145_27 Depth=3
                                        ; =>      This Loop Header: Depth=4
                                        ;           Child Loop BB145_45 Depth 5
	v_lshl_add_u32 v15, s39, 3, v3
	s_cmp_lg_u32 s39, 0
	s_cbranch_scc0 .LBB145_47
; %bb.44:                               ;   in Loop: Header=BB145_43 Depth=4
	ds_load_b64 v[12:13], v15
	v_mov_b32_e32 v14, v3
	s_mov_b32 s41, s40
	s_mov_b32 s42, s39
.LBB145_45:                             ;   Parent Loop BB145_3 Depth=1
                                        ;     Parent Loop BB145_24 Depth=2
                                        ;       Parent Loop BB145_27 Depth=3
                                        ;         Parent Loop BB145_43 Depth=4
                                        ; =>        This Inner Loop Header: Depth=5
	v_mov_b32_e32 v18, s41
	s_add_co_i32 s42, s42, -1
	s_add_co_i32 s41, s41, -8
	s_cmp_eq_u32 s42, 0
	ds_load_b64 v[16:17], v14
	ds_load_b64 v[18:19], v18
	v_add_nc_u32_e32 v14, 8, v14
	s_wait_dscnt 0x0
	v_pk_mul_f32 v[24:25], v[18:19], v[16:17] op_sel:[1,1] op_sel_hi:[0,1]
	s_delay_alu instid0(VALU_DEP_1) | instskip(SKIP_1) | instid1(VALU_DEP_2)
	v_pk_fma_f32 v[26:27], v[18:19], v[16:17], v[24:25] op_sel_hi:[1,0,1]
	v_pk_fma_f32 v[16:17], v[18:19], v[16:17], v[24:25] neg_lo:[0,0,1] neg_hi:[0,0,1]
	v_mov_b32_e32 v17, v27
	s_delay_alu instid0(VALU_DEP_1)
	v_pk_add_f32 v[12:13], v[12:13], v[16:17] neg_lo:[0,1] neg_hi:[0,1]
	ds_store_b64 v15, v[12:13]
	s_cbranch_scc0 .LBB145_45
; %bb.46:                               ;   in Loop: Header=BB145_43 Depth=4
	v_mov_b32_e32 v14, v13
	s_sub_co_i32 s42, s21, s39
	s_delay_alu instid0(SALU_CYCLE_1)
	s_mul_i32 s41, s42, 0x60
	s_branch .LBB145_42
.LBB145_47:                             ;   in Loop: Header=BB145_43 Depth=4
                                        ; implicit-def: $vgpr12
                                        ; implicit-def: $vgpr14
                                        ; implicit-def: $sgpr42
                                        ; implicit-def: $sgpr41
	s_cbranch_execz .LBB145_42
; %bb.48:                               ;   in Loop: Header=BB145_43 Depth=4
	ds_load_b64 v[12:13], v3
	s_mov_b32 s41, s38
	s_mov_b32 s42, s21
	s_wait_dscnt 0x0
	v_mov_b32_e32 v14, v13
	s_branch .LBB145_42
.LBB145_49:                             ;   in Loop: Header=BB145_3 Depth=1
	s_mov_b32 s21, 0
.LBB145_50:                             ;   in Loop: Header=BB145_3 Depth=1
	s_delay_alu instid0(SALU_CYCLE_1)
	s_and_b32 vcc_lo, exec_lo, s21
	s_cbranch_vccz .LBB145_78
; %bb.51:                               ;   in Loop: Header=BB145_3 Depth=1
	s_mov_b32 s26, 0
	s_mov_b32 s21, 0
	s_branch .LBB145_53
.LBB145_52:                             ;   in Loop: Header=BB145_53 Depth=2
	s_cmp_lt_i32 s21, s22
	s_cselect_b32 s27, -1, 0
	s_add_co_i32 s28, s26, 1
	s_cmp_lt_u32 s26, 2
	s_wait_xcnt 0x0
	s_cselect_b32 s26, -1, 0
	s_delay_alu instid0(SALU_CYCLE_1) | instskip(NEXT) | instid1(SALU_CYCLE_1)
	s_and_b32 s26, s27, s26
	s_and_not1_b32 vcc_lo, exec_lo, s26
	s_mov_b32 s26, s28
	s_cbranch_vccnz .LBB145_78
.LBB145_53:                             ;   Parent Loop BB145_3 Depth=1
                                        ; =>  This Loop Header: Depth=2
                                        ;       Child Loop BB145_56 Depth 3
                                        ;         Child Loop BB145_57 Depth 4
                                        ;         Child Loop BB145_61 Depth 4
                                        ;           Child Loop BB145_63 Depth 5
                                        ;           Child Loop BB145_69 Depth 5
                                        ;         Child Loop BB145_72 Depth 4
                                        ;           Child Loop BB145_74 Depth 5
	s_load_b32 s27, s[8:9], s26 offset:0x0 scale_offset
	s_wait_kmcnt 0x0
	s_add_co_i32 s28, s27, -1
	s_delay_alu instid0(SALU_CYCLE_1) | instskip(NEXT) | instid1(SALU_CYCLE_1)
	s_add_co_i32 s29, s28, s21
	s_cmp_ge_i32 s29, s22
	s_cbranch_scc1 .LBB145_52
; %bb.54:                               ;   in Loop: Header=BB145_53 Depth=2
	v_mad_u32 v22, 0x60, s21, v20
	s_max_i32 s29, s27, 1
	s_cmp_lg_u32 s26, 2
	s_mul_i32 s33, s27, 0x60
	s_cselect_b32 s30, -1, 0
	s_and_b32 s31, s29, 0x7ffffffe
	s_mul_i32 s37, s21, 0x68
	s_cmp_lg_u32 s29, s31
	s_mul_i32 s38, s27, 0x68
	s_cselect_b32 s34, -1, 0
	s_lshl_b32 s35, s21, 3
	s_lshl_b32 s36, s27, 3
	s_branch .LBB145_56
.LBB145_55:                             ;   in Loop: Header=BB145_56 Depth=3
	s_add_co_i32 s21, s21, s27
	v_add_nc_u32_e32 v22, s33, v22
	s_add_co_i32 s39, s28, s21
	s_add_co_i32 s35, s35, s36
	;; [unrolled: 1-line block ×3, first 2 shown]
	s_cmp_ge_i32 s39, s22
	s_cbranch_scc1 .LBB145_52
.LBB145_56:                             ;   Parent Loop BB145_3 Depth=1
                                        ;     Parent Loop BB145_53 Depth=2
                                        ; =>    This Loop Header: Depth=3
                                        ;         Child Loop BB145_57 Depth 4
                                        ;         Child Loop BB145_61 Depth 4
                                        ;           Child Loop BB145_63 Depth 5
                                        ;           Child Loop BB145_69 Depth 5
                                        ;         Child Loop BB145_72 Depth 4
                                        ;           Child Loop BB145_74 Depth 5
	v_dual_mov_b32 v12, v3 :: v_dual_mov_b32 v13, v22
	s_mov_b32 s39, s29
.LBB145_57:                             ;   Parent Loop BB145_3 Depth=1
                                        ;     Parent Loop BB145_53 Depth=2
                                        ;       Parent Loop BB145_56 Depth=3
                                        ; =>      This Inner Loop Header: Depth=4
	ds_load_b64 v[14:15], v13
	v_add_nc_u32_e32 v13, 0x60, v13
	s_add_co_i32 s39, s39, -1
	s_delay_alu instid0(SALU_CYCLE_1)
	s_cmp_eq_u32 s39, 0
	s_wait_dscnt 0x0
	ds_store_b64 v12, v[14:15]
	v_add_nc_u32_e32 v12, 8, v12
	s_cbranch_scc0 .LBB145_57
; %bb.58:                               ;   in Loop: Header=BB145_56 Depth=3
	s_cmp_lt_i32 s21, 1
	s_cbranch_scc1 .LBB145_70
; %bb.59:                               ;   in Loop: Header=BB145_56 Depth=3
	s_mov_b32 s39, 0
	s_mov_b32 s40, s35
	s_branch .LBB145_61
.LBB145_60:                             ;   in Loop: Header=BB145_61 Depth=4
	s_add_co_i32 s39, s39, 1
	s_addk_co_i32 s40, 0x60
	s_cmp_eq_u32 s39, s21
	s_cbranch_scc1 .LBB145_70
.LBB145_61:                             ;   Parent Loop BB145_3 Depth=1
                                        ;     Parent Loop BB145_53 Depth=2
                                        ;       Parent Loop BB145_56 Depth=3
                                        ; =>      This Loop Header: Depth=4
                                        ;           Child Loop BB145_63 Depth 5
                                        ;           Child Loop BB145_69 Depth 5
	v_mad_u32 v12, 0x60, s39, v20
	s_and_b32 vcc_lo, exec_lo, s30
	ds_load_b64 v[12:13], v12
	s_cbranch_vccz .LBB145_65
; %bb.62:                               ;   in Loop: Header=BB145_61 Depth=4
	s_wait_dscnt 0x0
	v_dual_mov_b32 v16, v12 :: v_dual_mov_b32 v17, v12
	v_dual_mov_b32 v14, v13 :: v_dual_mov_b32 v18, v13
	;; [unrolled: 1-line block ×3, first 2 shown]
	s_mov_b32 s41, s31
	s_mov_b32 s42, s40
.LBB145_63:                             ;   Parent Loop BB145_3 Depth=1
                                        ;     Parent Loop BB145_53 Depth=2
                                        ;       Parent Loop BB145_56 Depth=3
                                        ;         Parent Loop BB145_61 Depth=4
                                        ; =>        This Inner Loop Header: Depth=5
	s_delay_alu instid0(SALU_CYCLE_1)
	v_mov_b32_e32 v23, s42
	s_add_co_i32 s41, s41, -2
	s_add_co_i32 s42, s42, 16
	s_cmp_lg_u32 s41, 0
	ds_load_2addr_b64 v[24:27], v23 offset1:1
	ds_load_b128 v[28:31], v15
	s_wait_dscnt 0x0
	v_dual_mov_b32 v35, v26 :: v_dual_mov_b32 v33, v30
	v_dual_mov_b32 v26, v25 :: v_dual_mov_b32 v34, v24
	;; [unrolled: 1-line block ×3, first 2 shown]
	s_delay_alu instid0(VALU_DEP_2) | instskip(SKIP_1) | instid1(VALU_DEP_2)
	v_pk_mul_f32 v[24:25], v[26:27], v[18:19]
	v_pk_mul_f32 v[26:27], v[26:27], v[16:17]
	v_pk_fma_f32 v[24:25], v[34:35], v[16:17], v[24:25] neg_lo:[0,0,1] neg_hi:[0,0,1]
	s_delay_alu instid0(VALU_DEP_2) | instskip(NEXT) | instid1(VALU_DEP_2)
	v_pk_fma_f32 v[26:27], v[34:35], v[18:19], v[26:27]
	v_pk_add_f32 v[28:29], v[32:33], v[24:25] neg_lo:[0,1] neg_hi:[0,1]
	s_delay_alu instid0(VALU_DEP_1) | instskip(NEXT) | instid1(VALU_DEP_3)
	v_mov_b32_e32 v24, v28
	v_pk_add_f32 v[26:27], v[30:31], v[26:27] neg_lo:[0,1] neg_hi:[0,1]
	s_delay_alu instid0(VALU_DEP_1)
	v_dual_mov_b32 v25, v26 :: v_dual_mov_b32 v26, v29
	ds_store_b128 v15, v[24:27]
	v_add_nc_u32_e32 v15, 16, v15
	s_cbranch_scc1 .LBB145_63
; %bb.64:                               ;   in Loop: Header=BB145_61 Depth=4
	s_mov_b32 s41, s34
	s_mov_b32 s42, s31
	s_branch .LBB145_67
.LBB145_65:                             ;   in Loop: Header=BB145_61 Depth=4
	s_wait_dscnt 0x0
	v_mov_b32_e32 v14, v13
	s_mov_b32 s41, 0
	s_mov_b32 s42, s31
	s_cbranch_execz .LBB145_67
; %bb.66:                               ;   in Loop: Header=BB145_61 Depth=4
	s_mov_b32 s41, -1
	s_mov_b32 s42, 0
.LBB145_67:                             ;   in Loop: Header=BB145_61 Depth=4
	s_and_not1_b32 vcc_lo, exec_lo, s41
	s_cbranch_vccnz .LBB145_60
; %bb.68:                               ;   in Loop: Header=BB145_61 Depth=4
	v_dual_mov_b32 v15, v13 :: v_dual_mov_b32 v13, v12
	s_sub_co_i32 s41, s29, s42
	s_lshl_b32 s42, s42, 3
.LBB145_69:                             ;   Parent Loop BB145_3 Depth=1
                                        ;     Parent Loop BB145_53 Depth=2
                                        ;       Parent Loop BB145_56 Depth=3
                                        ;         Parent Loop BB145_61 Depth=4
                                        ; =>        This Inner Loop Header: Depth=5
	s_delay_alu instid0(SALU_CYCLE_1)
	s_add_co_i32 s43, s40, s42
	s_add_co_i32 s41, s41, -1
	v_dual_mov_b32 v16, s43 :: v_dual_add_nc_u32 v23, s42, v3
	s_add_co_i32 s42, s42, 8
	s_cmp_eq_u32 s41, 0
	ds_load_b64 v[16:17], v16
	ds_load_b64 v[18:19], v23
	s_wait_dscnt 0x1
	v_pk_mul_f32 v[24:25], v[16:17], v[14:15] op_sel:[1,0] op_sel_hi:[0,1]
	s_delay_alu instid0(VALU_DEP_1) | instskip(SKIP_1) | instid1(VALU_DEP_2)
	v_pk_fma_f32 v[26:27], v[16:17], v[12:13], v[24:25]
	v_pk_fma_f32 v[16:17], v[16:17], v[12:13], v[24:25] neg_lo:[0,0,1] neg_hi:[0,0,1]
	v_mov_b32_e32 v17, v27
	s_wait_dscnt 0x0
	s_delay_alu instid0(VALU_DEP_1)
	v_pk_add_f32 v[16:17], v[18:19], v[16:17] neg_lo:[0,1] neg_hi:[0,1]
	ds_store_b64 v23, v[16:17]
	s_cbranch_scc0 .LBB145_69
	s_branch .LBB145_60
.LBB145_70:                             ;   in Loop: Header=BB145_56 Depth=3
	s_mov_b32 s39, 0
	s_mov_b32 s40, s37
	s_branch .LBB145_72
.LBB145_71:                             ;   in Loop: Header=BB145_72 Depth=4
	s_add_co_i32 s41, s39, s21
	s_add_co_i32 s39, s39, 1
	s_mul_i32 s42, s41, 0x68
	s_add_co_i32 s40, s40, 8
	v_mov_b32_e32 v13, s42
	s_cmp_eq_u32 s39, s29
	ds_load_b64 v[16:17], v13
	s_wait_dscnt 0x0
	v_pk_mul_f32 v[18:19], v[16:17], v[14:15] op_sel:[1,0] op_sel_hi:[0,0]
	v_mad_u32 v14, 0x60, s41, v20
	s_delay_alu instid0(VALU_DEP_2) | instskip(SKIP_1) | instid1(VALU_DEP_2)
	v_pk_fma_f32 v[24:25], v[16:17], v[12:13], v[18:19] op_sel_hi:[1,0,1]
	v_pk_fma_f32 v[12:13], v[16:17], v[12:13], v[18:19] neg_lo:[0,0,1] neg_hi:[0,0,1]
	v_mov_b32_e32 v13, v25
	ds_store_b64 v15, v[12:13]
	ds_store_b64 v14, v[12:13]
	s_cbranch_scc1 .LBB145_55
.LBB145_72:                             ;   Parent Loop BB145_3 Depth=1
                                        ;     Parent Loop BB145_53 Depth=2
                                        ;       Parent Loop BB145_56 Depth=3
                                        ; =>      This Loop Header: Depth=4
                                        ;           Child Loop BB145_74 Depth 5
	v_lshl_add_u32 v15, s39, 3, v3
	s_cmp_lg_u32 s39, 0
	s_cbranch_scc0 .LBB145_76
; %bb.73:                               ;   in Loop: Header=BB145_72 Depth=4
	ds_load_b64 v[12:13], v15
	v_mov_b32_e32 v14, v3
	s_mov_b32 s41, s40
	s_mov_b32 s42, s39
.LBB145_74:                             ;   Parent Loop BB145_3 Depth=1
                                        ;     Parent Loop BB145_53 Depth=2
                                        ;       Parent Loop BB145_56 Depth=3
                                        ;         Parent Loop BB145_72 Depth=4
                                        ; =>        This Inner Loop Header: Depth=5
	v_mov_b32_e32 v18, s41
	s_add_co_i32 s42, s42, -1
	s_addk_co_i32 s41, 0x60
	s_cmp_eq_u32 s42, 0
	ds_load_b64 v[16:17], v14
	ds_load_b64 v[18:19], v18
	v_add_nc_u32_e32 v14, 8, v14
	s_wait_dscnt 0x0
	v_pk_mul_f32 v[24:25], v[18:19], v[16:17] op_sel:[1,1] op_sel_hi:[0,1]
	s_delay_alu instid0(VALU_DEP_1) | instskip(SKIP_1) | instid1(VALU_DEP_2)
	v_pk_fma_f32 v[26:27], v[18:19], v[16:17], v[24:25] op_sel_hi:[1,0,1]
	v_pk_fma_f32 v[16:17], v[18:19], v[16:17], v[24:25] neg_lo:[0,0,1] neg_hi:[0,0,1]
	v_mov_b32_e32 v17, v27
	s_delay_alu instid0(VALU_DEP_1)
	v_pk_add_f32 v[12:13], v[12:13], v[16:17] neg_lo:[0,1] neg_hi:[0,1]
	ds_store_b64 v15, v[12:13]
	s_cbranch_scc0 .LBB145_74
; %bb.75:                               ;   in Loop: Header=BB145_72 Depth=4
	v_mov_b32_e32 v14, v13
	s_branch .LBB145_71
.LBB145_76:                             ;   in Loop: Header=BB145_72 Depth=4
                                        ; implicit-def: $vgpr12
                                        ; implicit-def: $vgpr14
	s_cbranch_execz .LBB145_71
; %bb.77:                               ;   in Loop: Header=BB145_72 Depth=4
	ds_load_b64 v[12:13], v3
	s_wait_dscnt 0x0
	v_mov_b32_e32 v14, v13
	s_branch .LBB145_71
.LBB145_78:                             ;   in Loop: Header=BB145_3 Depth=1
	s_wait_dscnt 0x0
	; wave barrier
	s_and_saveexec_b32 s21, s14
	s_cbranch_execz .LBB145_2
; %bb.79:                               ;   in Loop: Header=BB145_3 Depth=1
	v_add_nc_u64_e32 v[12:13], s[12:13], v[4:5]
	v_mov_b32_e32 v14, v20
	s_mov_b32 s12, s22
.LBB145_80:                             ;   Parent Loop BB145_3 Depth=1
                                        ; =>  This Inner Loop Header: Depth=2
	ds_load_b64 v[16:17], v14
	v_add_nc_u32_e32 v14, 0x60, v14
	s_add_co_i32 s12, s12, -1
	s_delay_alu instid0(SALU_CYCLE_1)
	s_cmp_lg_u32 s12, 0
	s_wait_dscnt 0x0
	global_store_b64 v[12:13], v[16:17], off
	s_wait_xcnt 0x0
	v_add_nc_u64_e32 v[12:13], 8, v[12:13]
	s_cbranch_scc1 .LBB145_80
	s_branch .LBB145_2
.LBB145_81:
	s_endpgm
	.section	.rodata,"a",@progbits
	.p2align	6, 0x0
	.amdhsa_kernel _ZL38rocblas_trsm_small_left_device_sharedBILi12ELi12ELb1E19rocblas_complex_numIfES1_PKS1_PS1_Ev13rocblas_fill_18rocblas_operation_17rocblas_diagonal_iiT3_T4_lilT5_lili
		.amdhsa_group_segment_fixed_size 3456
		.amdhsa_private_segment_fixed_size 0
		.amdhsa_kernarg_size 360
		.amdhsa_user_sgpr_count 4
		.amdhsa_user_sgpr_dispatch_ptr 1
		.amdhsa_user_sgpr_queue_ptr 0
		.amdhsa_user_sgpr_kernarg_segment_ptr 1
		.amdhsa_user_sgpr_dispatch_id 0
		.amdhsa_user_sgpr_kernarg_preload_length 0
		.amdhsa_user_sgpr_kernarg_preload_offset 0
		.amdhsa_user_sgpr_private_segment_size 0
		.amdhsa_wavefront_size32 1
		.amdhsa_uses_dynamic_stack 0
		.amdhsa_enable_private_segment 0
		.amdhsa_system_sgpr_workgroup_id_x 1
		.amdhsa_system_sgpr_workgroup_id_y 0
		.amdhsa_system_sgpr_workgroup_id_z 1
		.amdhsa_system_sgpr_workgroup_info 0
		.amdhsa_system_vgpr_workitem_id 2
		.amdhsa_next_free_vgpr 36
		.amdhsa_next_free_sgpr 47
		.amdhsa_named_barrier_count 0
		.amdhsa_reserve_vcc 1
		.amdhsa_float_round_mode_32 0
		.amdhsa_float_round_mode_16_64 0
		.amdhsa_float_denorm_mode_32 3
		.amdhsa_float_denorm_mode_16_64 3
		.amdhsa_fp16_overflow 0
		.amdhsa_memory_ordered 1
		.amdhsa_forward_progress 1
		.amdhsa_inst_pref_size 28
		.amdhsa_round_robin_scheduling 0
		.amdhsa_exception_fp_ieee_invalid_op 0
		.amdhsa_exception_fp_denorm_src 0
		.amdhsa_exception_fp_ieee_div_zero 0
		.amdhsa_exception_fp_ieee_overflow 0
		.amdhsa_exception_fp_ieee_underflow 0
		.amdhsa_exception_fp_ieee_inexact 0
		.amdhsa_exception_int_div_zero 0
	.end_amdhsa_kernel
	.section	.text._ZL38rocblas_trsm_small_left_device_sharedBILi12ELi12ELb1E19rocblas_complex_numIfES1_PKS1_PS1_Ev13rocblas_fill_18rocblas_operation_17rocblas_diagonal_iiT3_T4_lilT5_lili,"axG",@progbits,_ZL38rocblas_trsm_small_left_device_sharedBILi12ELi12ELb1E19rocblas_complex_numIfES1_PKS1_PS1_Ev13rocblas_fill_18rocblas_operation_17rocblas_diagonal_iiT3_T4_lilT5_lili,comdat
.Lfunc_end145:
	.size	_ZL38rocblas_trsm_small_left_device_sharedBILi12ELi12ELb1E19rocblas_complex_numIfES1_PKS1_PS1_Ev13rocblas_fill_18rocblas_operation_17rocblas_diagonal_iiT3_T4_lilT5_lili, .Lfunc_end145-_ZL38rocblas_trsm_small_left_device_sharedBILi12ELi12ELb1E19rocblas_complex_numIfES1_PKS1_PS1_Ev13rocblas_fill_18rocblas_operation_17rocblas_diagonal_iiT3_T4_lilT5_lili
                                        ; -- End function
	.set _ZL38rocblas_trsm_small_left_device_sharedBILi12ELi12ELb1E19rocblas_complex_numIfES1_PKS1_PS1_Ev13rocblas_fill_18rocblas_operation_17rocblas_diagonal_iiT3_T4_lilT5_lili.num_vgpr, 36
	.set _ZL38rocblas_trsm_small_left_device_sharedBILi12ELi12ELb1E19rocblas_complex_numIfES1_PKS1_PS1_Ev13rocblas_fill_18rocblas_operation_17rocblas_diagonal_iiT3_T4_lilT5_lili.num_agpr, 0
	.set _ZL38rocblas_trsm_small_left_device_sharedBILi12ELi12ELb1E19rocblas_complex_numIfES1_PKS1_PS1_Ev13rocblas_fill_18rocblas_operation_17rocblas_diagonal_iiT3_T4_lilT5_lili.numbered_sgpr, 47
	.set _ZL38rocblas_trsm_small_left_device_sharedBILi12ELi12ELb1E19rocblas_complex_numIfES1_PKS1_PS1_Ev13rocblas_fill_18rocblas_operation_17rocblas_diagonal_iiT3_T4_lilT5_lili.num_named_barrier, 0
	.set _ZL38rocblas_trsm_small_left_device_sharedBILi12ELi12ELb1E19rocblas_complex_numIfES1_PKS1_PS1_Ev13rocblas_fill_18rocblas_operation_17rocblas_diagonal_iiT3_T4_lilT5_lili.private_seg_size, 0
	.set _ZL38rocblas_trsm_small_left_device_sharedBILi12ELi12ELb1E19rocblas_complex_numIfES1_PKS1_PS1_Ev13rocblas_fill_18rocblas_operation_17rocblas_diagonal_iiT3_T4_lilT5_lili.uses_vcc, 1
	.set _ZL38rocblas_trsm_small_left_device_sharedBILi12ELi12ELb1E19rocblas_complex_numIfES1_PKS1_PS1_Ev13rocblas_fill_18rocblas_operation_17rocblas_diagonal_iiT3_T4_lilT5_lili.uses_flat_scratch, 0
	.set _ZL38rocblas_trsm_small_left_device_sharedBILi12ELi12ELb1E19rocblas_complex_numIfES1_PKS1_PS1_Ev13rocblas_fill_18rocblas_operation_17rocblas_diagonal_iiT3_T4_lilT5_lili.has_dyn_sized_stack, 0
	.set _ZL38rocblas_trsm_small_left_device_sharedBILi12ELi12ELb1E19rocblas_complex_numIfES1_PKS1_PS1_Ev13rocblas_fill_18rocblas_operation_17rocblas_diagonal_iiT3_T4_lilT5_lili.has_recursion, 0
	.set _ZL38rocblas_trsm_small_left_device_sharedBILi12ELi12ELb1E19rocblas_complex_numIfES1_PKS1_PS1_Ev13rocblas_fill_18rocblas_operation_17rocblas_diagonal_iiT3_T4_lilT5_lili.has_indirect_call, 0
	.section	.AMDGPU.csdata,"",@progbits
; Kernel info:
; codeLenInByte = 3548
; TotalNumSgprs: 49
; NumVgprs: 36
; ScratchSize: 0
; MemoryBound: 0
; FloatMode: 240
; IeeeMode: 1
; LDSByteSize: 3456 bytes/workgroup (compile time only)
; SGPRBlocks: 0
; VGPRBlocks: 2
; NumSGPRsForWavesPerEU: 49
; NumVGPRsForWavesPerEU: 36
; NamedBarCnt: 0
; Occupancy: 16
; WaveLimiterHint : 0
; COMPUTE_PGM_RSRC2:SCRATCH_EN: 0
; COMPUTE_PGM_RSRC2:USER_SGPR: 4
; COMPUTE_PGM_RSRC2:TRAP_HANDLER: 0
; COMPUTE_PGM_RSRC2:TGID_X_EN: 1
; COMPUTE_PGM_RSRC2:TGID_Y_EN: 0
; COMPUTE_PGM_RSRC2:TGID_Z_EN: 1
; COMPUTE_PGM_RSRC2:TIDIG_COMP_CNT: 2
	.section	.text._ZL30rocblas_trsm_small_left_deviceILi12ELi12ELb1E19rocblas_complex_numIfES1_PKS1_PS1_Ev13rocblas_fill_18rocblas_operation_17rocblas_diagonal_iiT3_T4_lilT5_lili,"axG",@progbits,_ZL30rocblas_trsm_small_left_deviceILi12ELi12ELb1E19rocblas_complex_numIfES1_PKS1_PS1_Ev13rocblas_fill_18rocblas_operation_17rocblas_diagonal_iiT3_T4_lilT5_lili,comdat
	.globl	_ZL30rocblas_trsm_small_left_deviceILi12ELi12ELb1E19rocblas_complex_numIfES1_PKS1_PS1_Ev13rocblas_fill_18rocblas_operation_17rocblas_diagonal_iiT3_T4_lilT5_lili ; -- Begin function _ZL30rocblas_trsm_small_left_deviceILi12ELi12ELb1E19rocblas_complex_numIfES1_PKS1_PS1_Ev13rocblas_fill_18rocblas_operation_17rocblas_diagonal_iiT3_T4_lilT5_lili
	.p2align	8
	.type	_ZL30rocblas_trsm_small_left_deviceILi12ELi12ELb1E19rocblas_complex_numIfES1_PKS1_PS1_Ev13rocblas_fill_18rocblas_operation_17rocblas_diagonal_iiT3_T4_lilT5_lili,@function
_ZL30rocblas_trsm_small_left_deviceILi12ELi12ELb1E19rocblas_complex_numIfES1_PKS1_PS1_Ev13rocblas_fill_18rocblas_operation_17rocblas_diagonal_iiT3_T4_lilT5_lili: ; @_ZL30rocblas_trsm_small_left_deviceILi12ELi12ELb1E19rocblas_complex_numIfES1_PKS1_PS1_Ev13rocblas_fill_18rocblas_operation_17rocblas_diagonal_iiT3_T4_lilT5_lili
; %bb.0:
	s_load_b32 s33, s[2:3], 0x60
	s_bfe_u32 s4, ttmp6, 0x40014
	s_lshr_b32 s5, ttmp7, 16
	s_add_co_i32 s4, s4, 1
	s_bfe_u32 s6, ttmp6, 0x40008
	s_mul_i32 s4, s5, s4
	s_getreg_b32 s8, hwreg(HW_REG_IB_STS2, 6, 4)
	s_add_co_i32 s6, s6, s4
	s_cmp_eq_u32 s8, 0
	s_mov_b32 s19, 0
	s_cselect_b32 s20, s5, s6
	s_wait_kmcnt 0x0
	s_cmp_ge_u32 s20, s33
	s_cbranch_scc1 .LBB146_87
; %bb.1:
	s_clause 0x1
	s_load_b32 s26, s[2:3], 0x30
	s_load_b96 s[16:18], s[2:3], 0x48
	s_load_b64 s[28:29], s[0:1], 0x4
	s_clause 0x2
	s_load_b128 s[4:7], s[2:3], 0x4
	s_load_b32 s9, s[2:3], 0x68
	s_load_b64 s[22:23], s[2:3], 0x14
	v_and_b32_e32 v8, 0x3ff, v0
	s_load_b128 s[12:15], s[2:3], 0x20
	v_bfe_u32 v6, v0, 10, 10
	v_bfe_u32 v7, v0, 20, 10
	v_mov_b64_e32 v[10:11], 0x3f800000
	v_lshlrev_b32_e32 v0, 3, v8
	v_mul_u32_u24_e32 v12, 0x60, v8
	s_mov_b32 s40, 0
	s_delay_alu instid0(VALU_DEP_1)
	v_dual_mov_b32 v1, 0 :: v_dual_add_nc_u32 v24, v0, v12
	s_wait_kmcnt 0x0
	s_ashr_i32 s27, s26, 31
	s_ashr_i32 s1, s18, 31
	s_lshr_b32 s21, s28, 16
	s_cmp_lg_u32 s4, 0x71
	s_mul_i32 s21, s21, s29
	s_cselect_b32 s34, -1, 0
	s_bfe_u32 s0, ttmp6, 0x4000c
	s_min_i32 s35, s6, 12
	s_add_co_i32 s0, s0, 1
	s_and_b32 s6, ttmp6, 15
	s_mul_i32 s0, ttmp9, s0
	s_lshl_b64 s[30:31], s[16:17], 3
	s_add_co_i32 s28, s9, -1
	s_add_co_i32 s36, s35, -1
	s_add_co_i32 s6, s6, s0
	s_cmp_eq_u32 s8, 0
	s_mov_b32 s0, s18
	s_cselect_b32 s37, ttmp9, s6
	s_clause 0x1
	s_load_b128 s[8:11], s[2:3], 0x38
	s_load_b64 s[16:17], s[2:3], 0x58
	v_mad_u32 v2, s37, 12, v8
	v_mul_u32_u24_e32 v9, s21, v8
	v_mul_u32_u24_e32 v6, s29, v6
	s_movk_i32 s18, 0x60
	s_wait_xcnt 0x0
	s_mov_b32 s2, s22
	s_mov_b32 s3, s22
	;; [unrolled: 1-line block ×3, first 2 shown]
	v_add3_u32 v9, v9, v6, v7
	s_mov_b32 s25, s23
	s_mov_b32 s6, s23
	v_ashrrev_i32_e32 v3, 31, v2
	s_delay_alu instid0(VALU_DEP_1)
	v_mul_u64_e32 v[4:5], s[0:1], v[2:3]
	s_mul_i32 s0, s37, -12
	v_mov_b64_e32 v[2:3], 0xbf80000000000000
	s_add_co_i32 s0, s7, s0
	s_cmp_ge_u32 s37, s28
	s_mov_b32 s7, s22
	s_cselect_b32 s21, s0, 12
	s_cmp_lg_u32 s5, 0x84
	s_cselect_b32 s37, -1, 0
	s_cmp_lg_u32 s4, 0x6f
	s_wait_kmcnt 0x0
	s_add_nc_u64 s[4:5], s[10:11], s[30:31]
	s_cselect_b32 s38, -1, 0
	s_lshl_b64 s[0:1], s[14:15], 3
	s_lshl_b32 s39, s35, 3
	s_add_nc_u64 s[10:11], s[12:13], s[0:1]
	v_cmp_gt_i32_e64 s0, s35, v8
	v_add_nc_u64_e32 v[6:7], s[10:11], v[0:1]
	v_mad_u32 v1, v9, s18, 0x480
	v_cmp_gt_i32_e64 s1, s21, v8
	s_lshl_b64 s[12:13], s[16:17], 3
	s_add_co_i32 s39, s39, -8
	s_get_pc_i64 s[10:11]
	s_add_nc_u64 s[10:11], s[10:11], __const._ZL30rocblas_trsm_small_left_deviceILi12ELi12ELb1E19rocblas_complex_numIfES1_PKS1_PS1_Ev13rocblas_fill_18rocblas_operation_17rocblas_diagonal_iiT3_T4_lilT5_lili.step_sizes@rel64+4
	v_add_nc_u64_e32 v[6:7], 4, v[6:7]
	v_lshl_add_u64 v[4:5], v[4:5], 3, s[4:5]
	s_lshl_b64 s[4:5], s[8:9], 3
	s_lshl_b64 s[8:9], s[26:27], 3
	s_delay_alu instid0(VALU_DEP_1)
	v_add_nc_u64_e32 v[8:9], 4, v[4:5]
	s_branch .LBB146_4
.LBB146_2:                              ;   in Loop: Header=BB146_4 Depth=1
	s_add_co_i32 s20, s20, 0x10000
	s_delay_alu instid0(SALU_CYCLE_1) | instskip(SKIP_1) | instid1(SALU_CYCLE_1)
	s_cmp_ge_u32 s20, s33
	s_cselect_b32 s14, -1, 0
	s_or_not1_b32 s14, s14, exec_lo
.LBB146_3:                              ;   in Loop: Header=BB146_4 Depth=1
	s_wait_xcnt 0x0
	s_or_b32 exec_lo, exec_lo, s41
	s_delay_alu instid0(SALU_CYCLE_1) | instskip(NEXT) | instid1(SALU_CYCLE_1)
	s_and_b32 s14, exec_lo, s14
	s_or_b32 s40, s14, s40
	s_delay_alu instid0(SALU_CYCLE_1)
	s_and_not1_b32 exec_lo, exec_lo, s40
	s_cbranch_execz .LBB146_87
.LBB146_4:                              ; =>This Loop Header: Depth=1
                                        ;     Child Loop BB146_7 Depth 2
                                        ;     Child Loop BB146_23 Depth 2
                                        ;       Child Loop BB146_26 Depth 3
                                        ;         Child Loop BB146_28 Depth 4
                                        ;         Child Loop BB146_32 Depth 4
                                        ;         Child Loop BB146_36 Depth 4
                                        ;           Child Loop BB146_38 Depth 5
                                        ;           Child Loop BB146_44 Depth 5
                                        ;         Child Loop BB146_47 Depth 4
                                        ;           Child Loop BB146_49 Depth 5
                                        ;     Child Loop BB146_57 Depth 2
                                        ;       Child Loop BB146_60 Depth 3
                                        ;         Child Loop BB146_62 Depth 4
                                        ;         Child Loop BB146_66 Depth 4
	;; [unrolled: 1-line block ×3, first 2 shown]
                                        ;           Child Loop BB146_72 Depth 5
                                        ;           Child Loop BB146_78 Depth 5
                                        ;         Child Loop BB146_81 Depth 4
                                        ;           Child Loop BB146_83 Depth 5
	s_mov_b32 s21, s19
	s_and_saveexec_b32 s14, s0
	s_cbranch_execz .LBB146_19
; %bb.5:                                ;   in Loop: Header=BB146_4 Depth=1
	v_mad_nc_u64_u32 v[12:13], s4, s20, v[6:7]
	v_mov_b32_e32 v16, v0
	s_mov_b32 s15, s35
	s_delay_alu instid0(VALU_DEP_2)
	v_mad_u32 v13, s5, s20, v13
	s_branch .LBB146_7
.LBB146_6:                              ;   in Loop: Header=BB146_7 Depth=2
	global_load_b32 v14, v[12:13], off offset:-4
	s_wait_xcnt 0x0
	v_add_nc_u64_e32 v[12:13], s[8:9], v[12:13]
	s_add_co_i32 s15, s15, -1
	s_delay_alu instid0(SALU_CYCLE_1)
	s_cmp_eq_u32 s15, 0
	s_wait_loadcnt 0x0
	ds_store_b64 v16, v[14:15]
	v_add_nc_u32_e32 v16, 0x60, v16
	s_cbranch_scc1 .LBB146_11
.LBB146_7:                              ;   Parent Loop BB146_4 Depth=1
                                        ; =>  This Inner Loop Header: Depth=2
	s_and_b32 vcc_lo, exec_lo, s34
	s_mov_b32 s18, -1
                                        ; implicit-def: $vgpr15
	s_cbranch_vccz .LBB146_9
; %bb.8:                                ;   in Loop: Header=BB146_7 Depth=2
	global_load_b32 v15, v[12:13], off
	s_mov_b32 s18, 0
.LBB146_9:                              ;   in Loop: Header=BB146_7 Depth=2
	s_delay_alu instid0(SALU_CYCLE_1)
	s_and_not1_b32 vcc_lo, exec_lo, s18
	s_cbranch_vccnz .LBB146_6
; %bb.10:                               ;   in Loop: Header=BB146_7 Depth=2
	global_load_b32 v14, v[12:13], off
	s_wait_loadcnt 0x0
	v_xor_b32_e32 v15, 0x80000000, v14
	s_branch .LBB146_6
.LBB146_11:                             ;   in Loop: Header=BB146_4 Depth=1
	s_and_b32 vcc_lo, exec_lo, s37
	s_mov_b32 s15, -1
	s_cbranch_vccz .LBB146_17
; %bb.12:                               ;   in Loop: Header=BB146_4 Depth=1
	ds_load_b64 v[12:13], v24
                                        ; implicit-def: $vgpr14_vgpr15
	s_wait_dscnt 0x0
	v_cmp_ngt_f32_e64 s15, |v12|, |v13|
	s_and_saveexec_b32 s18, s15
	s_delay_alu instid0(SALU_CYCLE_1)
	s_xor_b32 s15, exec_lo, s18
	s_cbranch_execz .LBB146_14
; %bb.13:                               ;   in Loop: Header=BB146_4 Depth=1
	v_div_scale_f32 v14, null, v13, v13, v12
	v_div_scale_f32 v17, vcc_lo, v12, v13, v12
	s_delay_alu instid0(VALU_DEP_2) | instskip(SKIP_1) | instid1(TRANS32_DEP_1)
	v_rcp_f32_e32 v15, v14
	v_nop
	v_fma_f32 v16, -v14, v15, 1.0
	s_delay_alu instid0(VALU_DEP_1) | instskip(NEXT) | instid1(VALU_DEP_1)
	v_fmac_f32_e32 v15, v16, v15
	v_mul_f32_e32 v16, v17, v15
	s_delay_alu instid0(VALU_DEP_1) | instskip(NEXT) | instid1(VALU_DEP_1)
	v_fma_f32 v18, -v14, v16, v17
	v_fmac_f32_e32 v16, v18, v15
	s_delay_alu instid0(VALU_DEP_1) | instskip(NEXT) | instid1(VALU_DEP_1)
	v_fma_f32 v14, -v14, v16, v17
	v_div_fmas_f32 v14, v14, v15, v16
	s_delay_alu instid0(VALU_DEP_1) | instskip(NEXT) | instid1(VALU_DEP_1)
	v_div_fixup_f32 v14, v14, v13, v12
	v_fmac_f32_e32 v13, v12, v14
	s_delay_alu instid0(VALU_DEP_1) | instskip(SKIP_1) | instid1(VALU_DEP_2)
	v_div_scale_f32 v12, null, v13, v13, 1.0
	v_div_scale_f32 v17, vcc_lo, 1.0, v13, 1.0
	v_rcp_f32_e32 v15, v12
	v_nop
	s_delay_alu instid0(TRANS32_DEP_1) | instskip(NEXT) | instid1(VALU_DEP_1)
	v_fma_f32 v16, -v12, v15, 1.0
	v_fmac_f32_e32 v15, v16, v15
	s_delay_alu instid0(VALU_DEP_1) | instskip(NEXT) | instid1(VALU_DEP_1)
	v_mul_f32_e32 v16, v17, v15
	v_fma_f32 v18, -v12, v16, v17
	s_delay_alu instid0(VALU_DEP_1) | instskip(NEXT) | instid1(VALU_DEP_1)
	v_fmac_f32_e32 v16, v18, v15
	v_fma_f32 v12, -v12, v16, v17
	s_delay_alu instid0(VALU_DEP_1) | instskip(SKIP_1) | instid1(VALU_DEP_2)
	v_div_fmas_f32 v12, v12, v15, v16
	v_mul_f32_e32 v15, 0, v14
	v_div_fixup_f32 v12, v12, v13, 1.0
	s_delay_alu instid0(VALU_DEP_2) | instskip(NEXT) | instid1(VALU_DEP_1)
	v_pk_add_f32 v[14:15], v[14:15], v[2:3]
	v_pk_mul_f32 v[14:15], v[14:15], v[12:13] op_sel_hi:[1,0]
                                        ; implicit-def: $vgpr12_vgpr13
.LBB146_14:                             ;   in Loop: Header=BB146_4 Depth=1
	s_and_not1_saveexec_b32 s15, s15
	s_cbranch_execz .LBB146_16
; %bb.15:                               ;   in Loop: Header=BB146_4 Depth=1
	v_div_scale_f32 v14, null, v12, v12, v13
	v_div_scale_f32 v17, vcc_lo, v13, v12, v13
	s_delay_alu instid0(VALU_DEP_2) | instskip(SKIP_1) | instid1(TRANS32_DEP_1)
	v_rcp_f32_e32 v15, v14
	v_nop
	v_fma_f32 v16, -v14, v15, 1.0
	s_delay_alu instid0(VALU_DEP_1) | instskip(NEXT) | instid1(VALU_DEP_1)
	v_fmac_f32_e32 v15, v16, v15
	v_mul_f32_e32 v16, v17, v15
	s_delay_alu instid0(VALU_DEP_1) | instskip(NEXT) | instid1(VALU_DEP_1)
	v_fma_f32 v18, -v14, v16, v17
	v_fmac_f32_e32 v16, v18, v15
	s_delay_alu instid0(VALU_DEP_1) | instskip(NEXT) | instid1(VALU_DEP_1)
	v_fma_f32 v14, -v14, v16, v17
	v_div_fmas_f32 v14, v14, v15, v16
	s_delay_alu instid0(VALU_DEP_1) | instskip(NEXT) | instid1(VALU_DEP_1)
	v_div_fixup_f32 v15, v14, v12, v13
	v_fmac_f32_e32 v12, v13, v15
	s_delay_alu instid0(VALU_DEP_1) | instskip(SKIP_1) | instid1(VALU_DEP_2)
	v_div_scale_f32 v13, null, v12, v12, 1.0
	v_div_scale_f32 v17, vcc_lo, 1.0, v12, 1.0
	v_rcp_f32_e32 v14, v13
	v_nop
	s_delay_alu instid0(TRANS32_DEP_1) | instskip(NEXT) | instid1(VALU_DEP_1)
	v_fma_f32 v16, -v13, v14, 1.0
	v_fmac_f32_e32 v14, v16, v14
	s_delay_alu instid0(VALU_DEP_1) | instskip(NEXT) | instid1(VALU_DEP_1)
	v_mul_f32_e32 v16, v17, v14
	v_fma_f32 v18, -v13, v16, v17
	s_delay_alu instid0(VALU_DEP_1) | instskip(NEXT) | instid1(VALU_DEP_1)
	v_fmac_f32_e32 v16, v18, v14
	v_dual_fma_f32 v13, -v13, v16, v17 :: v_dual_mul_f32 v17, 0, v15
	v_sub_f32_e32 v15, 0, v15
	s_delay_alu instid0(VALU_DEP_2) | instskip(NEXT) | instid1(VALU_DEP_3)
	v_div_fmas_f32 v13, v13, v14, v16
	v_add_f32_e32 v14, 1.0, v17
	s_delay_alu instid0(VALU_DEP_2) | instskip(NEXT) | instid1(VALU_DEP_1)
	v_div_fixup_f32 v12, v13, v12, 1.0
	v_pk_mul_f32 v[14:15], v[14:15], v[12:13] op_sel_hi:[1,0]
.LBB146_16:                             ;   in Loop: Header=BB146_4 Depth=1
	s_or_b32 exec_lo, exec_lo, s15
	s_mov_b32 s15, 0
	ds_store_b64 v24, v[14:15]
.LBB146_17:                             ;   in Loop: Header=BB146_4 Depth=1
	s_and_b32 vcc_lo, exec_lo, s15
	s_cbranch_vccz .LBB146_19
; %bb.18:                               ;   in Loop: Header=BB146_4 Depth=1
	ds_store_b64 v24, v[10:11]
.LBB146_19:                             ;   in Loop: Header=BB146_4 Depth=1
	s_or_b32 exec_lo, exec_lo, s14
	s_mov_b32 s14, -1
	s_wait_dscnt 0x0
	; wave barrier
	s_and_saveexec_b32 s41, s1
	s_cbranch_execz .LBB146_3
; %bb.20:                               ;   in Loop: Header=BB146_4 Depth=1
	s_mul_u64 s[14:15], s[16:17], s[20:21]
	s_and_not1_b32 vcc_lo, exec_lo, s38
	v_lshl_add_u64 v[12:13], s[14:15], 3, v[4:5]
	s_mul_u64 s[14:15], s[12:13], s[20:21]
	s_mov_b32 s18, -1
	s_cbranch_vccnz .LBB146_54
; %bb.21:                               ;   in Loop: Header=BB146_4 Depth=1
	v_add_nc_u64_e32 v[14:15], s[14:15], v[8:9]
	s_mov_b32 s21, 0
	s_mov_b32 s26, s36
	s_branch .LBB146_23
.LBB146_22:                             ;   in Loop: Header=BB146_23 Depth=2
	s_cmp_gt_i32 s26, -1
	s_cselect_b32 s18, -1, 0
	s_add_co_i32 s27, s21, 1
	s_cmp_lt_u32 s21, 2
	s_wait_xcnt 0x0
	s_cselect_b32 s21, -1, 0
	s_delay_alu instid0(SALU_CYCLE_1)
	s_and_b32 s18, s18, s21
	s_mov_b32 s21, s27
	s_and_b32 vcc_lo, exec_lo, s18
	s_cbranch_vccz .LBB146_53
.LBB146_23:                             ;   Parent Loop BB146_4 Depth=1
                                        ; =>  This Loop Header: Depth=2
                                        ;       Child Loop BB146_26 Depth 3
                                        ;         Child Loop BB146_28 Depth 4
                                        ;         Child Loop BB146_32 Depth 4
	;; [unrolled: 1-line block ×3, first 2 shown]
                                        ;           Child Loop BB146_38 Depth 5
                                        ;           Child Loop BB146_44 Depth 5
                                        ;         Child Loop BB146_47 Depth 4
                                        ;           Child Loop BB146_49 Depth 5
	s_load_b32 s42, s[10:11], s21 offset:0x0 scale_offset
	s_wait_kmcnt 0x0
	s_add_co_i32 s43, s42, -1
	s_delay_alu instid0(SALU_CYCLE_1)
	s_cmp_lt_i32 s26, s43
	s_cbranch_scc1 .LBB146_22
; %bb.24:                               ;   in Loop: Header=BB146_23 Depth=2
	s_max_i32 s44, s42, 1
	s_cmp_lg_u32 s21, 2
	s_mul_i32 s18, s26, 0x60
	s_cselect_b32 s45, -1, 0
	s_and_b32 s46, s44, 0x7ffffffe
	s_mul_i32 s49, s42, 0xffffffa0
	s_cmp_lg_u32 s44, s46
	s_mul_i32 s50, s26, 0x68
	s_cselect_b32 s47, -1, 0
	s_add_co_i32 s48, s39, s18
	s_mul_i32 s51, s42, 0xffffff98
	s_branch .LBB146_26
.LBB146_25:                             ;   in Loop: Header=BB146_26 Depth=3
	s_sub_co_i32 s26, s26, s42
	s_add_co_i32 s48, s48, s49
	s_add_co_i32 s50, s50, s51
	s_cmp_lt_i32 s26, s43
	s_cbranch_scc1 .LBB146_22
.LBB146_26:                             ;   Parent Loop BB146_4 Depth=1
                                        ;     Parent Loop BB146_23 Depth=2
                                        ; =>    This Loop Header: Depth=3
                                        ;         Child Loop BB146_28 Depth 4
                                        ;         Child Loop BB146_32 Depth 4
	;; [unrolled: 1-line block ×3, first 2 shown]
                                        ;           Child Loop BB146_38 Depth 5
                                        ;           Child Loop BB146_44 Depth 5
                                        ;         Child Loop BB146_47 Depth 4
                                        ;           Child Loop BB146_49 Depth 5
	s_and_not1_b32 vcc_lo, exec_lo, s45
	s_cbranch_vccnz .LBB146_30
; %bb.27:                               ;   in Loop: Header=BB146_26 Depth=3
	s_wait_xcnt 0x0
	v_mov_b32_e32 v16, v1
	s_mov_b32 s27, s26
	s_mov_b32 s28, 1
	;; [unrolled: 1-line block ×4, first 2 shown]
.LBB146_28:                             ;   Parent Loop BB146_4 Depth=1
                                        ;     Parent Loop BB146_23 Depth=2
                                        ;       Parent Loop BB146_26 Depth=3
                                        ; =>      This Inner Loop Header: Depth=4
	s_sub_co_i32 s52, s27, s28
	s_sub_co_i32 s54, s26, s29
	s_ashr_i32 s53, s52, 31
	s_ashr_i32 s55, s54, 31
	v_lshl_add_u64 v[18:19], s[52:53], 3, v[12:13]
	v_lshl_add_u64 v[20:21], s[54:55], 3, v[12:13]
	s_add_co_i32 s30, s30, -2
	s_add_co_i32 s29, s29, 2
	s_add_co_i32 s28, s28, 2
	s_clause 0x1
	global_load_b64 v[22:23], v[18:19], off
	global_load_b64 v[26:27], v[20:21], off
	s_wait_xcnt 0x1
	v_mov_b64_e32 v[18:19], s[24:25]
	s_wait_xcnt 0x0
	v_mov_b64_e32 v[20:21], s[2:3]
	s_mov_b32 s18, s46
	s_cmp_lg_u32 s30, 0
	s_mov_b32 s31, s47
	s_wait_loadcnt 0x0
	v_dual_mov_b32 v29, v22 :: v_dual_mov_b32 v22, v27
	v_mov_b32_e32 v28, v26
	s_delay_alu instid0(VALU_DEP_2) | instskip(SKIP_1) | instid1(VALU_DEP_2)
	v_pk_mul_f32 v[26:27], v[22:23], v[18:19]
	v_pk_mul_f32 v[22:23], v[22:23], v[20:21]
	v_pk_fma_f32 v[26:27], v[28:29], v[20:21], v[26:27] neg_lo:[0,0,1] neg_hi:[0,0,1]
	s_delay_alu instid0(VALU_DEP_2) | instskip(NEXT) | instid1(VALU_DEP_1)
	v_pk_fma_f32 v[20:21], v[28:29], v[18:19], v[22:23]
	v_dual_mov_b32 v18, v26 :: v_dual_mov_b32 v19, v20
	s_delay_alu instid0(VALU_DEP_3)
	v_mov_b32_e32 v20, v27
	ds_store_b128 v16, v[18:21]
	v_add_nc_u32_e32 v16, 16, v16
	s_cbranch_scc1 .LBB146_28
; %bb.29:                               ;   in Loop: Header=BB146_26 Depth=3
	s_and_b32 vcc_lo, exec_lo, s31
	s_ashr_i32 s27, s26, 31
	s_cbranch_vccnz .LBB146_31
	s_branch .LBB146_33
.LBB146_30:                             ;   in Loop: Header=BB146_26 Depth=3
	s_mov_b32 s18, 0
	s_ashr_i32 s27, s26, 31
	s_cbranch_execz .LBB146_33
.LBB146_31:                             ;   in Loop: Header=BB146_26 Depth=3
	s_lshl_b64 s[28:29], s[26:27], 3
	s_lshl_b64 s[30:31], s[18:19], 3
	v_lshl_add_u32 v18, s18, 3, v1
	s_sub_nc_u64 s[28:29], s[28:29], s[30:31]
	s_sub_co_i32 s18, s44, s18
	s_wait_xcnt 0x0
	v_add_nc_u64_e32 v[16:17], s[28:29], v[14:15]
.LBB146_32:                             ;   Parent Loop BB146_4 Depth=1
                                        ;     Parent Loop BB146_23 Depth=2
                                        ;       Parent Loop BB146_26 Depth=3
                                        ; =>      This Inner Loop Header: Depth=4
	global_load_b64 v[20:21], v[16:17], off offset:-4
	v_mov_b64_e32 v[22:23], s[6:7]
	v_mov_b64_e32 v[26:27], s[22:23]
	s_wait_xcnt 0x0
	v_add_nc_u64_e32 v[16:17], -8, v[16:17]
	s_add_co_i32 s18, s18, -1
	s_delay_alu instid0(SALU_CYCLE_1) | instskip(SKIP_2) | instid1(VALU_DEP_1)
	s_cmp_eq_u32 s18, 0
	s_wait_loadcnt 0x0
	v_pk_mul_f32 v[22:23], v[20:21], v[22:23] op_sel:[1,0]
	v_pk_fma_f32 v[28:29], v[20:21], v[26:27], v[22:23] op_sel_hi:[0,1,1]
	v_pk_fma_f32 v[20:21], v[20:21], v[26:27], v[22:23] neg_lo:[0,0,1] neg_hi:[0,0,1]
	s_delay_alu instid0(VALU_DEP_2)
	v_mov_b32_e32 v21, v29
	ds_store_b64 v18, v[20:21]
	v_add_nc_u32_e32 v18, 8, v18
	s_cbranch_scc0 .LBB146_32
.LBB146_33:                             ;   in Loop: Header=BB146_26 Depth=3
	s_cmp_le_i32 s36, s26
	s_cbranch_scc1 .LBB146_45
; %bb.34:                               ;   in Loop: Header=BB146_26 Depth=3
	s_mov_b32 s18, s26
	s_mov_b32 s30, s26
	;; [unrolled: 1-line block ×4, first 2 shown]
	s_branch .LBB146_36
.LBB146_35:                             ;   in Loop: Header=BB146_36 Depth=4
	s_add_co_i32 s28, s28, -1
	s_add_co_i32 s31, s31, -8
	s_cmp_le_i32 s28, s26
	s_cbranch_scc1 .LBB146_45
.LBB146_36:                             ;   Parent Loop BB146_4 Depth=1
                                        ;     Parent Loop BB146_23 Depth=2
                                        ;       Parent Loop BB146_26 Depth=3
                                        ; =>      This Loop Header: Depth=4
                                        ;           Child Loop BB146_38 Depth 5
                                        ;           Child Loop BB146_44 Depth 5
	s_ashr_i32 s29, s28, 31
	s_and_b32 vcc_lo, exec_lo, s45
	s_wait_xcnt 0x0
	v_lshl_add_u64 v[16:17], s[28:29], 3, v[12:13]
	global_load_b64 v[16:17], v[16:17], off
	s_cbranch_vccz .LBB146_40
; %bb.37:                               ;   in Loop: Header=BB146_36 Depth=4
	s_wait_loadcnt 0x0
	v_dual_mov_b32 v20, v16 :: v_dual_mov_b32 v21, v16
	v_dual_mov_b32 v18, v17 :: v_dual_mov_b32 v22, v17
	;; [unrolled: 1-line block ×3, first 2 shown]
	s_lshl_b32 s29, s28, 3
	s_mov_b32 s52, 1
	s_mov_b32 s53, 0
	s_mov_b32 s54, s46
.LBB146_38:                             ;   Parent Loop BB146_4 Depth=1
                                        ;     Parent Loop BB146_23 Depth=2
                                        ;       Parent Loop BB146_26 Depth=3
                                        ;         Parent Loop BB146_36 Depth=4
                                        ; =>        This Inner Loop Header: Depth=5
	s_sub_co_i32 s55, s18, s53
	s_sub_co_i32 s56, s30, s52
	s_mulk_i32 s55, 0x60
	s_mulk_i32 s56, 0x60
	s_add_co_i32 s55, s29, s55
	s_add_co_i32 s56, s29, s56
	s_delay_alu instid0(SALU_CYCLE_1)
	v_dual_mov_b32 v25, s55 :: v_dual_mov_b32 v26, s56
	s_add_co_i32 s54, s54, -2
	s_add_co_i32 s53, s53, 2
	s_add_co_i32 s52, s52, 2
	ds_load_b64 v[30:31], v25
	ds_load_b64 v[32:33], v26
	ds_load_b128 v[26:29], v19
	s_cmp_lg_u32 s54, 0
	s_wait_dscnt 0x1
	v_dual_mov_b32 v36, v30 :: v_dual_mov_b32 v37, v32
	s_wait_dscnt 0x0
	v_dual_mov_b32 v32, v31 :: v_dual_mov_b32 v34, v26
	v_dual_mov_b32 v35, v28 :: v_dual_mov_b32 v28, v27
	s_delay_alu instid0(VALU_DEP_2) | instskip(SKIP_1) | instid1(VALU_DEP_2)
	v_pk_mul_f32 v[30:31], v[32:33], v[22:23]
	v_pk_mul_f32 v[32:33], v[32:33], v[20:21]
	v_pk_fma_f32 v[26:27], v[36:37], v[20:21], v[30:31] neg_lo:[0,0,1] neg_hi:[0,0,1]
	s_delay_alu instid0(VALU_DEP_2) | instskip(NEXT) | instid1(VALU_DEP_2)
	v_pk_fma_f32 v[30:31], v[36:37], v[22:23], v[32:33]
	v_pk_add_f32 v[32:33], v[34:35], v[26:27] neg_lo:[0,1] neg_hi:[0,1]
	s_delay_alu instid0(VALU_DEP_2) | instskip(NEXT) | instid1(VALU_DEP_1)
	v_pk_add_f32 v[28:29], v[28:29], v[30:31] neg_lo:[0,1] neg_hi:[0,1]
	v_dual_mov_b32 v26, v32 :: v_dual_mov_b32 v27, v28
	s_delay_alu instid0(VALU_DEP_3)
	v_mov_b32_e32 v28, v33
	ds_store_b128 v19, v[26:29]
	v_add_nc_u32_e32 v19, 16, v19
	s_cbranch_scc1 .LBB146_38
; %bb.39:                               ;   in Loop: Header=BB146_36 Depth=4
	s_mov_b32 s29, s47
	s_mov_b32 s52, s46
	s_branch .LBB146_42
.LBB146_40:                             ;   in Loop: Header=BB146_36 Depth=4
	s_wait_loadcnt 0x0
	v_mov_b32_e32 v18, v17
	s_mov_b32 s29, 0
	s_mov_b32 s52, s46
	s_cbranch_execz .LBB146_42
; %bb.41:                               ;   in Loop: Header=BB146_36 Depth=4
	s_mov_b32 s29, -1
	s_mov_b32 s52, 0
.LBB146_42:                             ;   in Loop: Header=BB146_36 Depth=4
	s_and_not1_b32 vcc_lo, exec_lo, s29
	s_cbranch_vccnz .LBB146_35
; %bb.43:                               ;   in Loop: Header=BB146_36 Depth=4
	s_wait_xcnt 0x0
	v_dual_mov_b32 v19, v17 :: v_dual_mov_b32 v17, v16
	v_lshl_add_u32 v20, s52, 3, v1
	s_mul_i32 s53, s52, 0xffffffa0
	s_sub_co_i32 s29, s44, s52
	s_add_co_i32 s52, s31, s53
.LBB146_44:                             ;   Parent Loop BB146_4 Depth=1
                                        ;     Parent Loop BB146_23 Depth=2
                                        ;       Parent Loop BB146_26 Depth=3
                                        ;         Parent Loop BB146_36 Depth=4
                                        ; =>        This Inner Loop Header: Depth=5
	s_delay_alu instid0(SALU_CYCLE_1)
	v_mov_b32_e32 v21, s52
	s_add_co_i32 s29, s29, -1
	s_addk_co_i32 s52, 0xffa0
	s_cmp_eq_u32 s29, 0
	ds_load_b64 v[22:23], v21
	ds_load_b64 v[26:27], v20
	s_wait_dscnt 0x1
	v_pk_mul_f32 v[28:29], v[22:23], v[18:19] op_sel:[1,0] op_sel_hi:[0,1]
	s_delay_alu instid0(VALU_DEP_1) | instskip(SKIP_1) | instid1(VALU_DEP_2)
	v_pk_fma_f32 v[30:31], v[22:23], v[16:17], v[28:29]
	v_pk_fma_f32 v[22:23], v[22:23], v[16:17], v[28:29] neg_lo:[0,0,1] neg_hi:[0,0,1]
	v_mov_b32_e32 v23, v31
	s_wait_dscnt 0x0
	s_delay_alu instid0(VALU_DEP_1)
	v_pk_add_f32 v[22:23], v[26:27], v[22:23] neg_lo:[0,1] neg_hi:[0,1]
	ds_store_b64 v20, v[22:23]
	v_add_nc_u32_e32 v20, 8, v20
	s_cbranch_scc0 .LBB146_44
	s_branch .LBB146_35
.LBB146_45:                             ;   in Loop: Header=BB146_26 Depth=3
	s_mov_b32 s18, 0
	s_mov_b32 s52, s50
	s_branch .LBB146_47
.LBB146_46:                             ;   in Loop: Header=BB146_47 Depth=4
	s_mulk_i32 s30, 0x68
	s_add_co_i32 s18, s18, 1
	s_wait_xcnt 0x0
	v_mov_b32_e32 v17, s30
	s_addk_co_i32 s52, 0xffa0
	s_cmp_eq_u32 s18, s44
	ds_load_b64 v[20:21], v17
	s_wait_dscnt 0x0
	v_pk_mul_f32 v[22:23], v[20:21], v[18:19] op_sel:[1,0] op_sel_hi:[0,0]
	s_delay_alu instid0(VALU_DEP_1) | instskip(SKIP_2) | instid1(VALU_DEP_3)
	v_pk_fma_f32 v[26:27], v[20:21], v[16:17], v[22:23] op_sel_hi:[1,0,1]
	v_pk_fma_f32 v[16:17], v[20:21], v[16:17], v[22:23] neg_lo:[0,0,1] neg_hi:[0,0,1]
	v_lshl_add_u64 v[20:21], s[28:29], 3, v[12:13]
	v_mov_b32_e32 v17, v27
	ds_store_b64 v19, v[16:17]
	global_store_b64 v[20:21], v[16:17], off
	s_cbranch_scc1 .LBB146_25
.LBB146_47:                             ;   Parent Loop BB146_4 Depth=1
                                        ;     Parent Loop BB146_23 Depth=2
                                        ;       Parent Loop BB146_26 Depth=3
                                        ; =>      This Loop Header: Depth=4
                                        ;           Child Loop BB146_49 Depth 5
	v_lshl_add_u32 v19, s18, 3, v1
	s_cmp_lg_u32 s18, 0
	s_cbranch_scc0 .LBB146_51
; %bb.48:                               ;   in Loop: Header=BB146_47 Depth=4
	s_wait_xcnt 0x0
	ds_load_b64 v[16:17], v19
	v_mov_b32_e32 v18, v1
	s_mov_b32 s28, s52
	s_mov_b32 s29, s18
.LBB146_49:                             ;   Parent Loop BB146_4 Depth=1
                                        ;     Parent Loop BB146_23 Depth=2
                                        ;       Parent Loop BB146_26 Depth=3
                                        ;         Parent Loop BB146_47 Depth=4
                                        ; =>        This Inner Loop Header: Depth=5
	v_mov_b32_e32 v22, s28
	s_add_co_i32 s29, s29, -1
	s_add_co_i32 s28, s28, -8
	s_cmp_eq_u32 s29, 0
	ds_load_b64 v[20:21], v18
	ds_load_b64 v[22:23], v22
	v_add_nc_u32_e32 v18, 8, v18
	s_wait_dscnt 0x0
	v_pk_mul_f32 v[26:27], v[22:23], v[20:21] op_sel:[1,1] op_sel_hi:[0,1]
	s_delay_alu instid0(VALU_DEP_1) | instskip(SKIP_1) | instid1(VALU_DEP_2)
	v_pk_fma_f32 v[28:29], v[22:23], v[20:21], v[26:27] op_sel_hi:[1,0,1]
	v_pk_fma_f32 v[20:21], v[22:23], v[20:21], v[26:27] neg_lo:[0,0,1] neg_hi:[0,0,1]
	v_mov_b32_e32 v21, v29
	s_delay_alu instid0(VALU_DEP_1)
	v_pk_add_f32 v[16:17], v[16:17], v[20:21] neg_lo:[0,1] neg_hi:[0,1]
	ds_store_b64 v19, v[16:17]
	s_cbranch_scc0 .LBB146_49
; %bb.50:                               ;   in Loop: Header=BB146_47 Depth=4
	s_sub_co_i32 s30, s26, s18
	v_mov_b32_e32 v18, v17
	s_ashr_i32 s31, s30, 31
	s_delay_alu instid0(SALU_CYCLE_1)
	s_mov_b64 s[28:29], s[30:31]
	s_branch .LBB146_46
.LBB146_51:                             ;   in Loop: Header=BB146_47 Depth=4
                                        ; implicit-def: $vgpr16
                                        ; implicit-def: $vgpr18
                                        ; implicit-def: $sgpr30
                                        ; implicit-def: $sgpr28_sgpr29
	s_cbranch_execz .LBB146_46
; %bb.52:                               ;   in Loop: Header=BB146_47 Depth=4
	s_wait_xcnt 0x0
	ds_load_b64 v[16:17], v1
	s_mov_b64 s[28:29], s[26:27]
	s_mov_b32 s30, s26
	s_wait_dscnt 0x0
	v_mov_b32_e32 v18, v17
	s_branch .LBB146_46
.LBB146_53:                             ;   in Loop: Header=BB146_4 Depth=1
	s_mov_b32 s18, 0
.LBB146_54:                             ;   in Loop: Header=BB146_4 Depth=1
	s_delay_alu instid0(SALU_CYCLE_1)
	s_and_b32 vcc_lo, exec_lo, s18
	s_cbranch_vccz .LBB146_2
; %bb.55:                               ;   in Loop: Header=BB146_4 Depth=1
	v_add_nc_u64_e32 v[14:15], s[14:15], v[8:9]
	s_mov_b32 s14, 0
	s_mov_b32 s21, 0
	s_branch .LBB146_57
.LBB146_56:                             ;   in Loop: Header=BB146_57 Depth=2
	s_cmp_lt_i32 s14, s35
	s_cselect_b32 s15, -1, 0
	s_add_co_i32 s18, s21, 1
	s_cmp_lt_u32 s21, 2
	s_cselect_b32 s21, -1, 0
	s_delay_alu instid0(SALU_CYCLE_1)
	s_and_b32 s15, s15, s21
	s_mov_b32 s21, s18
	s_and_not1_b32 vcc_lo, exec_lo, s15
	s_cbranch_vccnz .LBB146_2
.LBB146_57:                             ;   Parent Loop BB146_4 Depth=1
                                        ; =>  This Loop Header: Depth=2
                                        ;       Child Loop BB146_60 Depth 3
                                        ;         Child Loop BB146_62 Depth 4
                                        ;         Child Loop BB146_66 Depth 4
                                        ;         Child Loop BB146_70 Depth 4
                                        ;           Child Loop BB146_72 Depth 5
                                        ;           Child Loop BB146_78 Depth 5
                                        ;         Child Loop BB146_81 Depth 4
                                        ;           Child Loop BB146_83 Depth 5
	s_load_b32 s26, s[10:11], s21 offset:0x0 scale_offset
	s_wait_kmcnt 0x0
	s_add_co_i32 s28, s26, -1
	s_delay_alu instid0(SALU_CYCLE_1) | instskip(NEXT) | instid1(SALU_CYCLE_1)
	s_add_co_i32 s15, s28, s14
	s_cmp_ge_i32 s15, s35
	s_cbranch_scc1 .LBB146_56
; %bb.58:                               ;   in Loop: Header=BB146_57 Depth=2
	s_max_i32 s29, s26, 1
	s_cmp_lg_u32 s21, 2
	s_mul_i32 s45, s14, 0x68
	s_cselect_b32 s30, -1, 0
	s_and_b32 s31, s29, 0x7ffffffe
	s_mul_i32 s46, s26, 0x68
	s_cmp_lg_u32 s29, s31
	s_cselect_b32 s42, -1, 0
	s_ashr_i32 s15, s14, 31
	s_ashr_i32 s27, s26, 31
	s_lshl_b32 s43, s14, 3
	s_lshl_b32 s44, s26, 3
	s_branch .LBB146_60
.LBB146_59:                             ;   in Loop: Header=BB146_60 Depth=3
	s_add_nc_u64 s[14:15], s[14:15], s[26:27]
	s_add_co_i32 s43, s43, s44
	s_add_co_i32 s18, s28, s14
	;; [unrolled: 1-line block ×3, first 2 shown]
	s_cmp_ge_i32 s18, s35
	s_cbranch_scc1 .LBB146_56
.LBB146_60:                             ;   Parent Loop BB146_4 Depth=1
                                        ;     Parent Loop BB146_57 Depth=2
                                        ; =>    This Loop Header: Depth=3
                                        ;         Child Loop BB146_62 Depth 4
                                        ;         Child Loop BB146_66 Depth 4
	;; [unrolled: 1-line block ×3, first 2 shown]
                                        ;           Child Loop BB146_72 Depth 5
                                        ;           Child Loop BB146_78 Depth 5
                                        ;         Child Loop BB146_81 Depth 4
                                        ;           Child Loop BB146_83 Depth 5
	s_and_not1_b32 vcc_lo, exec_lo, s30
	s_cbranch_vccnz .LBB146_64
; %bb.61:                               ;   in Loop: Header=BB146_60 Depth=3
	s_wait_xcnt 0x0
	v_mov_b32_e32 v16, v1
	s_mov_b32 s47, s14
	s_mov_b32 s48, s14
	;; [unrolled: 1-line block ×5, first 2 shown]
.LBB146_62:                             ;   Parent Loop BB146_4 Depth=1
                                        ;     Parent Loop BB146_57 Depth=2
                                        ;       Parent Loop BB146_60 Depth=3
                                        ; =>      This Inner Loop Header: Depth=4
	s_add_co_i32 s52, s49, s48
	s_add_co_i32 s54, s50, s47
	s_ashr_i32 s53, s52, 31
	s_ashr_i32 s55, s54, 31
	v_lshl_add_u64 v[18:19], s[52:53], 3, v[12:13]
	v_lshl_add_u64 v[20:21], s[54:55], 3, v[12:13]
	s_add_co_i32 s51, s51, -2
	s_add_co_i32 s50, s50, 2
	s_add_co_i32 s49, s49, 2
	s_clause 0x1
	global_load_b64 v[22:23], v[18:19], off
	global_load_b64 v[26:27], v[20:21], off
	s_wait_xcnt 0x1
	v_mov_b64_e32 v[18:19], s[24:25]
	s_wait_xcnt 0x0
	v_mov_b64_e32 v[20:21], s[2:3]
	s_mov_b32 s18, s31
	s_cmp_lg_u32 s51, 0
	s_mov_b32 s52, s42
	s_wait_loadcnt 0x0
	v_dual_mov_b32 v29, v22 :: v_dual_mov_b32 v22, v27
	v_mov_b32_e32 v28, v26
	s_delay_alu instid0(VALU_DEP_2) | instskip(SKIP_1) | instid1(VALU_DEP_2)
	v_pk_mul_f32 v[26:27], v[22:23], v[18:19]
	v_pk_mul_f32 v[22:23], v[22:23], v[20:21]
	v_pk_fma_f32 v[26:27], v[28:29], v[20:21], v[26:27] neg_lo:[0,0,1] neg_hi:[0,0,1]
	s_delay_alu instid0(VALU_DEP_2) | instskip(NEXT) | instid1(VALU_DEP_1)
	v_pk_fma_f32 v[20:21], v[28:29], v[18:19], v[22:23]
	v_dual_mov_b32 v18, v26 :: v_dual_mov_b32 v19, v20
	s_delay_alu instid0(VALU_DEP_3)
	v_mov_b32_e32 v20, v27
	ds_store_b128 v16, v[18:21]
	v_add_nc_u32_e32 v16, 16, v16
	s_cbranch_scc1 .LBB146_62
; %bb.63:                               ;   in Loop: Header=BB146_60 Depth=3
	s_and_b32 vcc_lo, exec_lo, s52
	s_cbranch_vccnz .LBB146_65
	s_branch .LBB146_67
.LBB146_64:                             ;   in Loop: Header=BB146_60 Depth=3
	s_mov_b32 s18, 0
	s_cbranch_execz .LBB146_67
.LBB146_65:                             ;   in Loop: Header=BB146_60 Depth=3
	s_add_nc_u64 s[48:49], s[14:15], s[18:19]
	v_lshl_add_u32 v18, s18, 3, v1
	s_wait_xcnt 0x0
	v_lshl_add_u64 v[16:17], s[48:49], 3, v[14:15]
	s_sub_co_i32 s18, s29, s18
.LBB146_66:                             ;   Parent Loop BB146_4 Depth=1
                                        ;     Parent Loop BB146_57 Depth=2
                                        ;       Parent Loop BB146_60 Depth=3
                                        ; =>      This Inner Loop Header: Depth=4
	global_load_b64 v[20:21], v[16:17], off offset:-4
	v_mov_b64_e32 v[22:23], s[6:7]
	v_mov_b64_e32 v[26:27], s[22:23]
	s_wait_xcnt 0x0
	v_add_nc_u64_e32 v[16:17], 8, v[16:17]
	s_add_co_i32 s18, s18, -1
	s_delay_alu instid0(SALU_CYCLE_1) | instskip(SKIP_2) | instid1(VALU_DEP_1)
	s_cmp_eq_u32 s18, 0
	s_wait_loadcnt 0x0
	v_pk_mul_f32 v[22:23], v[20:21], v[22:23] op_sel:[1,0]
	v_pk_fma_f32 v[28:29], v[20:21], v[26:27], v[22:23] op_sel_hi:[0,1,1]
	v_pk_fma_f32 v[20:21], v[20:21], v[26:27], v[22:23] neg_lo:[0,0,1] neg_hi:[0,0,1]
	s_delay_alu instid0(VALU_DEP_2)
	v_mov_b32_e32 v21, v29
	ds_store_b64 v18, v[20:21]
	v_add_nc_u32_e32 v18, 8, v18
	s_cbranch_scc0 .LBB146_66
.LBB146_67:                             ;   in Loop: Header=BB146_60 Depth=3
	s_cmp_lt_i32 s14, 1
	s_cbranch_scc1 .LBB146_79
; %bb.68:                               ;   in Loop: Header=BB146_60 Depth=3
	s_mov_b32 s18, 0
	s_mov_b32 s47, s43
	s_branch .LBB146_70
.LBB146_69:                             ;   in Loop: Header=BB146_70 Depth=4
	s_add_co_i32 s18, s18, 1
	s_addk_co_i32 s47, 0x60
	s_cmp_eq_u32 s18, s14
	s_cbranch_scc1 .LBB146_79
.LBB146_70:                             ;   Parent Loop BB146_4 Depth=1
                                        ;     Parent Loop BB146_57 Depth=2
                                        ;       Parent Loop BB146_60 Depth=3
                                        ; =>      This Loop Header: Depth=4
                                        ;           Child Loop BB146_72 Depth 5
                                        ;           Child Loop BB146_78 Depth 5
	s_wait_xcnt 0x0
	v_lshl_add_u64 v[16:17], s[18:19], 3, v[12:13]
	s_and_b32 vcc_lo, exec_lo, s30
	global_load_b64 v[16:17], v[16:17], off
	s_cbranch_vccz .LBB146_74
; %bb.71:                               ;   in Loop: Header=BB146_70 Depth=4
	s_wait_loadcnt 0x0
	v_dual_mov_b32 v20, v16 :: v_dual_mov_b32 v21, v16
	v_dual_mov_b32 v18, v17 :: v_dual_mov_b32 v22, v17
	;; [unrolled: 1-line block ×3, first 2 shown]
	s_mov_b32 s48, s31
	s_mov_b32 s49, s47
.LBB146_72:                             ;   Parent Loop BB146_4 Depth=1
                                        ;     Parent Loop BB146_57 Depth=2
                                        ;       Parent Loop BB146_60 Depth=3
                                        ;         Parent Loop BB146_70 Depth=4
                                        ; =>        This Inner Loop Header: Depth=5
	s_delay_alu instid0(SALU_CYCLE_1)
	v_mov_b32_e32 v25, s49
	s_add_co_i32 s48, s48, -2
	s_add_co_i32 s49, s49, 16
	s_cmp_lg_u32 s48, 0
	ds_load_2addr_b64 v[26:29], v25 offset1:1
	ds_load_b128 v[30:33], v19
	s_wait_dscnt 0x0
	v_dual_mov_b32 v37, v28 :: v_dual_mov_b32 v35, v32
	v_dual_mov_b32 v28, v27 :: v_dual_mov_b32 v36, v26
	;; [unrolled: 1-line block ×3, first 2 shown]
	s_delay_alu instid0(VALU_DEP_2) | instskip(SKIP_1) | instid1(VALU_DEP_2)
	v_pk_mul_f32 v[26:27], v[28:29], v[22:23]
	v_pk_mul_f32 v[28:29], v[28:29], v[20:21]
	v_pk_fma_f32 v[26:27], v[36:37], v[20:21], v[26:27] neg_lo:[0,0,1] neg_hi:[0,0,1]
	s_delay_alu instid0(VALU_DEP_2) | instskip(NEXT) | instid1(VALU_DEP_2)
	v_pk_fma_f32 v[28:29], v[36:37], v[22:23], v[28:29]
	v_pk_add_f32 v[30:31], v[34:35], v[26:27] neg_lo:[0,1] neg_hi:[0,1]
	s_delay_alu instid0(VALU_DEP_1) | instskip(NEXT) | instid1(VALU_DEP_3)
	v_mov_b32_e32 v26, v30
	v_pk_add_f32 v[28:29], v[32:33], v[28:29] neg_lo:[0,1] neg_hi:[0,1]
	s_delay_alu instid0(VALU_DEP_1)
	v_dual_mov_b32 v27, v28 :: v_dual_mov_b32 v28, v31
	ds_store_b128 v19, v[26:29]
	v_add_nc_u32_e32 v19, 16, v19
	s_cbranch_scc1 .LBB146_72
; %bb.73:                               ;   in Loop: Header=BB146_70 Depth=4
	s_mov_b32 s48, s42
	s_mov_b32 s49, s31
	s_branch .LBB146_76
.LBB146_74:                             ;   in Loop: Header=BB146_70 Depth=4
	s_wait_loadcnt 0x0
	v_mov_b32_e32 v18, v17
	s_mov_b32 s48, 0
	s_mov_b32 s49, s31
	s_cbranch_execz .LBB146_76
; %bb.75:                               ;   in Loop: Header=BB146_70 Depth=4
	s_mov_b32 s48, -1
	s_mov_b32 s49, 0
.LBB146_76:                             ;   in Loop: Header=BB146_70 Depth=4
	s_and_not1_b32 vcc_lo, exec_lo, s48
	s_cbranch_vccnz .LBB146_69
; %bb.77:                               ;   in Loop: Header=BB146_70 Depth=4
	s_wait_xcnt 0x0
	v_dual_mov_b32 v19, v17 :: v_dual_mov_b32 v17, v16
	s_sub_co_i32 s48, s29, s49
	s_lshl_b32 s49, s49, 3
.LBB146_78:                             ;   Parent Loop BB146_4 Depth=1
                                        ;     Parent Loop BB146_57 Depth=2
                                        ;       Parent Loop BB146_60 Depth=3
                                        ;         Parent Loop BB146_70 Depth=4
                                        ; =>        This Inner Loop Header: Depth=5
	s_delay_alu instid0(SALU_CYCLE_1)
	s_add_co_i32 s50, s47, s49
	s_add_co_i32 s48, s48, -1
	v_dual_mov_b32 v20, s50 :: v_dual_add_nc_u32 v25, s49, v1
	s_add_co_i32 s49, s49, 8
	s_cmp_eq_u32 s48, 0
	ds_load_b64 v[20:21], v20
	ds_load_b64 v[22:23], v25
	s_wait_dscnt 0x1
	v_pk_mul_f32 v[26:27], v[20:21], v[18:19] op_sel:[1,0] op_sel_hi:[0,1]
	s_delay_alu instid0(VALU_DEP_1) | instskip(SKIP_1) | instid1(VALU_DEP_2)
	v_pk_fma_f32 v[28:29], v[20:21], v[16:17], v[26:27]
	v_pk_fma_f32 v[20:21], v[20:21], v[16:17], v[26:27] neg_lo:[0,0,1] neg_hi:[0,0,1]
	v_mov_b32_e32 v21, v29
	s_wait_dscnt 0x0
	s_delay_alu instid0(VALU_DEP_1)
	v_pk_add_f32 v[20:21], v[22:23], v[20:21] neg_lo:[0,1] neg_hi:[0,1]
	ds_store_b64 v25, v[20:21]
	s_cbranch_scc0 .LBB146_78
	s_branch .LBB146_69
.LBB146_79:                             ;   in Loop: Header=BB146_60 Depth=3
	s_mov_b32 s18, 0
	s_mov_b32 s47, s45
	s_branch .LBB146_81
.LBB146_80:                             ;   in Loop: Header=BB146_81 Depth=4
	s_add_co_i32 s48, s18, s14
	s_add_co_i32 s18, s18, 1
	s_mul_i32 s49, s48, 0x68
	s_add_co_i32 s47, s47, 8
	s_wait_xcnt 0x0
	v_mov_b32_e32 v17, s49
	s_ashr_i32 s49, s48, 31
	s_cmp_eq_u32 s18, s29
	ds_load_b64 v[20:21], v17
	s_wait_dscnt 0x0
	v_pk_mul_f32 v[22:23], v[20:21], v[18:19] op_sel:[1,0] op_sel_hi:[0,0]
	s_delay_alu instid0(VALU_DEP_1) | instskip(SKIP_2) | instid1(VALU_DEP_3)
	v_pk_fma_f32 v[26:27], v[20:21], v[16:17], v[22:23] op_sel_hi:[1,0,1]
	v_pk_fma_f32 v[16:17], v[20:21], v[16:17], v[22:23] neg_lo:[0,0,1] neg_hi:[0,0,1]
	v_lshl_add_u64 v[20:21], s[48:49], 3, v[12:13]
	v_mov_b32_e32 v17, v27
	ds_store_b64 v19, v[16:17]
	global_store_b64 v[20:21], v[16:17], off
	s_cbranch_scc1 .LBB146_59
.LBB146_81:                             ;   Parent Loop BB146_4 Depth=1
                                        ;     Parent Loop BB146_57 Depth=2
                                        ;       Parent Loop BB146_60 Depth=3
                                        ; =>      This Loop Header: Depth=4
                                        ;           Child Loop BB146_83 Depth 5
	v_lshl_add_u32 v19, s18, 3, v1
	s_cmp_lg_u32 s18, 0
	s_cbranch_scc0 .LBB146_85
; %bb.82:                               ;   in Loop: Header=BB146_81 Depth=4
	s_wait_xcnt 0x0
	ds_load_b64 v[16:17], v19
	v_mov_b32_e32 v18, v1
	s_mov_b32 s48, s47
	s_mov_b32 s49, s18
.LBB146_83:                             ;   Parent Loop BB146_4 Depth=1
                                        ;     Parent Loop BB146_57 Depth=2
                                        ;       Parent Loop BB146_60 Depth=3
                                        ;         Parent Loop BB146_81 Depth=4
                                        ; =>        This Inner Loop Header: Depth=5
	v_mov_b32_e32 v22, s48
	s_add_co_i32 s49, s49, -1
	s_addk_co_i32 s48, 0x60
	s_cmp_eq_u32 s49, 0
	ds_load_b64 v[20:21], v18
	ds_load_b64 v[22:23], v22
	v_add_nc_u32_e32 v18, 8, v18
	s_wait_dscnt 0x0
	v_pk_mul_f32 v[26:27], v[22:23], v[20:21] op_sel:[1,1] op_sel_hi:[0,1]
	s_delay_alu instid0(VALU_DEP_1) | instskip(SKIP_1) | instid1(VALU_DEP_2)
	v_pk_fma_f32 v[28:29], v[22:23], v[20:21], v[26:27] op_sel_hi:[1,0,1]
	v_pk_fma_f32 v[20:21], v[22:23], v[20:21], v[26:27] neg_lo:[0,0,1] neg_hi:[0,0,1]
	v_mov_b32_e32 v21, v29
	s_delay_alu instid0(VALU_DEP_1)
	v_pk_add_f32 v[16:17], v[16:17], v[20:21] neg_lo:[0,1] neg_hi:[0,1]
	ds_store_b64 v19, v[16:17]
	s_cbranch_scc0 .LBB146_83
; %bb.84:                               ;   in Loop: Header=BB146_81 Depth=4
	v_mov_b32_e32 v18, v17
	s_branch .LBB146_80
.LBB146_85:                             ;   in Loop: Header=BB146_81 Depth=4
                                        ; implicit-def: $vgpr16
                                        ; implicit-def: $vgpr18
	s_cbranch_execz .LBB146_80
; %bb.86:                               ;   in Loop: Header=BB146_81 Depth=4
	s_wait_xcnt 0x0
	ds_load_b64 v[16:17], v1
	s_wait_dscnt 0x0
	v_mov_b32_e32 v18, v17
	s_branch .LBB146_80
.LBB146_87:
	s_endpgm
	.section	.rodata,"a",@progbits
	.p2align	6, 0x0
	.amdhsa_kernel _ZL30rocblas_trsm_small_left_deviceILi12ELi12ELb1E19rocblas_complex_numIfES1_PKS1_PS1_Ev13rocblas_fill_18rocblas_operation_17rocblas_diagonal_iiT3_T4_lilT5_lili
		.amdhsa_group_segment_fixed_size 2304
		.amdhsa_private_segment_fixed_size 0
		.amdhsa_kernarg_size 360
		.amdhsa_user_sgpr_count 4
		.amdhsa_user_sgpr_dispatch_ptr 1
		.amdhsa_user_sgpr_queue_ptr 0
		.amdhsa_user_sgpr_kernarg_segment_ptr 1
		.amdhsa_user_sgpr_dispatch_id 0
		.amdhsa_user_sgpr_kernarg_preload_length 0
		.amdhsa_user_sgpr_kernarg_preload_offset 0
		.amdhsa_user_sgpr_private_segment_size 0
		.amdhsa_wavefront_size32 1
		.amdhsa_uses_dynamic_stack 0
		.amdhsa_enable_private_segment 0
		.amdhsa_system_sgpr_workgroup_id_x 1
		.amdhsa_system_sgpr_workgroup_id_y 0
		.amdhsa_system_sgpr_workgroup_id_z 1
		.amdhsa_system_sgpr_workgroup_info 0
		.amdhsa_system_vgpr_workitem_id 2
		.amdhsa_next_free_vgpr 38
		.amdhsa_next_free_sgpr 57
		.amdhsa_named_barrier_count 0
		.amdhsa_reserve_vcc 1
		.amdhsa_float_round_mode_32 0
		.amdhsa_float_round_mode_16_64 0
		.amdhsa_float_denorm_mode_32 3
		.amdhsa_float_denorm_mode_16_64 3
		.amdhsa_fp16_overflow 0
		.amdhsa_memory_ordered 1
		.amdhsa_forward_progress 1
		.amdhsa_inst_pref_size 32
		.amdhsa_round_robin_scheduling 0
		.amdhsa_exception_fp_ieee_invalid_op 0
		.amdhsa_exception_fp_denorm_src 0
		.amdhsa_exception_fp_ieee_div_zero 0
		.amdhsa_exception_fp_ieee_overflow 0
		.amdhsa_exception_fp_ieee_underflow 0
		.amdhsa_exception_fp_ieee_inexact 0
		.amdhsa_exception_int_div_zero 0
	.end_amdhsa_kernel
	.section	.text._ZL30rocblas_trsm_small_left_deviceILi12ELi12ELb1E19rocblas_complex_numIfES1_PKS1_PS1_Ev13rocblas_fill_18rocblas_operation_17rocblas_diagonal_iiT3_T4_lilT5_lili,"axG",@progbits,_ZL30rocblas_trsm_small_left_deviceILi12ELi12ELb1E19rocblas_complex_numIfES1_PKS1_PS1_Ev13rocblas_fill_18rocblas_operation_17rocblas_diagonal_iiT3_T4_lilT5_lili,comdat
.Lfunc_end146:
	.size	_ZL30rocblas_trsm_small_left_deviceILi12ELi12ELb1E19rocblas_complex_numIfES1_PKS1_PS1_Ev13rocblas_fill_18rocblas_operation_17rocblas_diagonal_iiT3_T4_lilT5_lili, .Lfunc_end146-_ZL30rocblas_trsm_small_left_deviceILi12ELi12ELb1E19rocblas_complex_numIfES1_PKS1_PS1_Ev13rocblas_fill_18rocblas_operation_17rocblas_diagonal_iiT3_T4_lilT5_lili
                                        ; -- End function
	.set _ZL30rocblas_trsm_small_left_deviceILi12ELi12ELb1E19rocblas_complex_numIfES1_PKS1_PS1_Ev13rocblas_fill_18rocblas_operation_17rocblas_diagonal_iiT3_T4_lilT5_lili.num_vgpr, 38
	.set _ZL30rocblas_trsm_small_left_deviceILi12ELi12ELb1E19rocblas_complex_numIfES1_PKS1_PS1_Ev13rocblas_fill_18rocblas_operation_17rocblas_diagonal_iiT3_T4_lilT5_lili.num_agpr, 0
	.set _ZL30rocblas_trsm_small_left_deviceILi12ELi12ELb1E19rocblas_complex_numIfES1_PKS1_PS1_Ev13rocblas_fill_18rocblas_operation_17rocblas_diagonal_iiT3_T4_lilT5_lili.numbered_sgpr, 57
	.set _ZL30rocblas_trsm_small_left_deviceILi12ELi12ELb1E19rocblas_complex_numIfES1_PKS1_PS1_Ev13rocblas_fill_18rocblas_operation_17rocblas_diagonal_iiT3_T4_lilT5_lili.num_named_barrier, 0
	.set _ZL30rocblas_trsm_small_left_deviceILi12ELi12ELb1E19rocblas_complex_numIfES1_PKS1_PS1_Ev13rocblas_fill_18rocblas_operation_17rocblas_diagonal_iiT3_T4_lilT5_lili.private_seg_size, 0
	.set _ZL30rocblas_trsm_small_left_deviceILi12ELi12ELb1E19rocblas_complex_numIfES1_PKS1_PS1_Ev13rocblas_fill_18rocblas_operation_17rocblas_diagonal_iiT3_T4_lilT5_lili.uses_vcc, 1
	.set _ZL30rocblas_trsm_small_left_deviceILi12ELi12ELb1E19rocblas_complex_numIfES1_PKS1_PS1_Ev13rocblas_fill_18rocblas_operation_17rocblas_diagonal_iiT3_T4_lilT5_lili.uses_flat_scratch, 0
	.set _ZL30rocblas_trsm_small_left_deviceILi12ELi12ELb1E19rocblas_complex_numIfES1_PKS1_PS1_Ev13rocblas_fill_18rocblas_operation_17rocblas_diagonal_iiT3_T4_lilT5_lili.has_dyn_sized_stack, 0
	.set _ZL30rocblas_trsm_small_left_deviceILi12ELi12ELb1E19rocblas_complex_numIfES1_PKS1_PS1_Ev13rocblas_fill_18rocblas_operation_17rocblas_diagonal_iiT3_T4_lilT5_lili.has_recursion, 0
	.set _ZL30rocblas_trsm_small_left_deviceILi12ELi12ELb1E19rocblas_complex_numIfES1_PKS1_PS1_Ev13rocblas_fill_18rocblas_operation_17rocblas_diagonal_iiT3_T4_lilT5_lili.has_indirect_call, 0
	.section	.AMDGPU.csdata,"",@progbits
; Kernel info:
; codeLenInByte = 4032
; TotalNumSgprs: 59
; NumVgprs: 38
; ScratchSize: 0
; MemoryBound: 0
; FloatMode: 240
; IeeeMode: 1
; LDSByteSize: 2304 bytes/workgroup (compile time only)
; SGPRBlocks: 0
; VGPRBlocks: 2
; NumSGPRsForWavesPerEU: 59
; NumVGPRsForWavesPerEU: 38
; NamedBarCnt: 0
; Occupancy: 16
; WaveLimiterHint : 0
; COMPUTE_PGM_RSRC2:SCRATCH_EN: 0
; COMPUTE_PGM_RSRC2:USER_SGPR: 4
; COMPUTE_PGM_RSRC2:TRAP_HANDLER: 0
; COMPUTE_PGM_RSRC2:TGID_X_EN: 1
; COMPUTE_PGM_RSRC2:TGID_Y_EN: 0
; COMPUTE_PGM_RSRC2:TGID_Z_EN: 1
; COMPUTE_PGM_RSRC2:TIDIG_COMP_CNT: 2
	.section	.text._ZL31rocblas_trsm_small_right_deviceI19rocblas_complex_numIfES1_PKS1_PS1_Li12EEv13rocblas_fill_18rocblas_operation_17rocblas_diagonal_iiT0_T1_lilT2_lili,"axG",@progbits,_ZL31rocblas_trsm_small_right_deviceI19rocblas_complex_numIfES1_PKS1_PS1_Li12EEv13rocblas_fill_18rocblas_operation_17rocblas_diagonal_iiT0_T1_lilT2_lili,comdat
	.globl	_ZL31rocblas_trsm_small_right_deviceI19rocblas_complex_numIfES1_PKS1_PS1_Li12EEv13rocblas_fill_18rocblas_operation_17rocblas_diagonal_iiT0_T1_lilT2_lili ; -- Begin function _ZL31rocblas_trsm_small_right_deviceI19rocblas_complex_numIfES1_PKS1_PS1_Li12EEv13rocblas_fill_18rocblas_operation_17rocblas_diagonal_iiT0_T1_lilT2_lili
	.p2align	8
	.type	_ZL31rocblas_trsm_small_right_deviceI19rocblas_complex_numIfES1_PKS1_PS1_Li12EEv13rocblas_fill_18rocblas_operation_17rocblas_diagonal_iiT0_T1_lilT2_lili,@function
_ZL31rocblas_trsm_small_right_deviceI19rocblas_complex_numIfES1_PKS1_PS1_Li12EEv13rocblas_fill_18rocblas_operation_17rocblas_diagonal_iiT0_T1_lilT2_lili: ; @_ZL31rocblas_trsm_small_right_deviceI19rocblas_complex_numIfES1_PKS1_PS1_Li12EEv13rocblas_fill_18rocblas_operation_17rocblas_diagonal_iiT0_T1_lilT2_lili
; %bb.0:
	s_load_b32 s33, s[0:1], 0x60
	s_bfe_u32 s2, ttmp6, 0x40014
	s_lshr_b32 s4, ttmp7, 16
	s_add_co_i32 s2, s2, 1
	s_bfe_u32 s5, ttmp6, 0x40008
	s_mul_i32 s2, s4, s2
	s_getreg_b32 s3, hwreg(HW_REG_IB_STS2, 6, 4)
	s_add_co_i32 s5, s5, s2
	s_cmp_eq_u32 s3, 0
	s_mov_b32 s19, 0
	s_cselect_b32 s2, s4, s5
	s_wait_kmcnt 0x0
	s_cmp_ge_u32 s2, s33
	s_cbranch_scc1 .LBB147_155
; %bb.1:
	s_clause 0x7
	s_load_b96 s[20:22], s[0:1], 0x48
	s_load_b32 s26, s[0:1], 0x30
	s_load_b128 s[12:15], s[0:1], 0x0
	s_load_b96 s[16:18], s[0:1], 0x10
	s_load_b32 s23, s[0:1], 0x68
	s_load_b128 s[8:11], s[0:1], 0x20
	s_load_b128 s[4:7], s[0:1], 0x38
	s_load_b64 s[24:25], s[0:1], 0x58
	v_dual_mov_b32 v15, 0 :: v_dual_lshlrev_b32 v12, 3, v0
	v_mul_u32_u24_e32 v1, 0x60, v0
	v_mov_b64_e32 v[22:23], 0x3f800000
	v_lshlrev_b32_e32 v14, 3, v0
	s_delay_alu instid0(VALU_DEP_4) | instskip(NEXT) | instid1(VALU_DEP_4)
	v_or_b32_e32 v26, 0x480, v12
	v_dual_mov_b32 v13, v15 :: v_dual_add_nc_u32 v28, v12, v1
	s_wait_kmcnt 0x0
	s_ashr_i32 s29, s22, 31
	s_mov_b32 s28, s22
	s_ashr_i32 s27, s26, 31
	s_cmp_eq_u64 s[28:29], 1
	s_mov_b32 s22, s18
	s_cselect_b32 s34, -1, 0
	s_lshl_b64 s[0:1], s[20:21], 3
	s_cmp_lg_u32 s12, 0x7a
	s_cselect_b32 s35, -1, 0
	s_cmp_lg_u32 s13, 0x71
	s_cselect_b32 s36, -1, 0
	s_bfe_u32 s20, ttmp6, 0x4000c
	s_min_i32 s37, s16, 12
	s_add_co_i32 s20, s20, 1
	s_and_b32 s21, ttmp6, 15
	s_mul_i32 s20, ttmp9, s20
	s_add_co_i32 s23, s23, -1
	s_add_co_i32 s38, s37, -1
	s_add_co_i32 s21, s21, s20
	s_cmp_eq_u32 s3, 0
	s_mov_b32 s20, s17
	s_cselect_b32 s30, ttmp9, s21
	s_mov_b32 s21, s18
	s_mul_i32 s3, s30, -12
	s_delay_alu instid0(SALU_CYCLE_1)
	s_add_co_i32 s3, s15, s3
	s_cmp_ge_u32 s30, s23
	s_mov_b32 s15, s17
	s_cselect_b32 s3, s3, 12
	s_ashr_i32 s31, s30, 31
	s_cmp_eq_u32 s14, 0x84
	v_cmp_gt_i32_e32 vcc_lo, s3, v0
	s_cselect_b32 s39, -1, 0
	s_cmp_gt_i32 s16, 0
	s_mul_u64 s[30:31], s[30:31], 0x60
	s_cselect_b32 s43, -1, 0
	s_cmp_lg_u32 s13, 0x6f
	s_mov_b32 s14, s17
	s_cselect_b32 s13, -1, 0
	s_cmp_lg_u32 s12, 0x79
	s_mov_b32 s23, s18
	s_cselect_b32 s3, -1, 0
	s_or_b32 s40, s35, s13
	s_or_b32 s41, s3, s13
	s_cmp_gt_i32 s16, 3
	v_cndmask_b32_e64 v27, 0, 1, s3
	s_cselect_b32 s42, -1, 0
	s_and_b32 s43, vcc_lo, s43
	s_cmp_gt_u32 s16, 1
	s_mov_b32 s13, s17
	s_cselect_b32 s3, -1, 0
	s_and_b32 s44, s16, 0x7ffffffe
	s_and_b32 s45, s3, s34
	s_cmp_lg_u32 s16, s44
	s_add_nc_u64 s[34:35], s[30:31], s[0:1]
	s_cselect_b32 s46, -1, 0
	s_lshl_b64 s[10:11], s[10:11], 3
	s_mul_i32 s17, s37, 0x60
	s_add_nc_u64 s[8:9], s[8:9], s[10:11]
	s_add_nc_u64 s[10:11], s[6:7], s[34:35]
	v_add_nc_u64_e32 v[2:3], s[8:9], v[12:13]
	v_add_nc_u64_e32 v[16:17], s[10:11], v[12:13]
	s_add_nc_u64 s[6:7], s[6:7], s[0:1]
	v_cmp_gt_i32_e64 s0, s37, v0
	v_add3_u32 v13, s17, v12, 0x420
	s_mul_i32 s1, s37, 0x68
	s_lshl_b32 s48, s37, 3
	v_add_nc_u64_e32 v[18:19], 4, v[2:3]
	v_add_nc_u64_e32 v[20:21], 4, v[16:17]
	s_mov_b32 s12, s18
	s_add_nc_u64 s[6:7], s[6:7], s[30:31]
	s_lshl_b64 s[4:5], s[4:5], 3
	s_lshl_b64 s[8:9], s[26:27], 3
	s_lshl_b64 s[10:11], s[28:29], 3
	s_lshl_b64 s[26:27], s[24:25], 3
	s_addk_co_i32 s17, 0xffa0
	s_add_co_i32 s47, s1, 0xfffffe78
	s_add_co_i32 s48, s48, -8
	s_branch .LBB147_3
.LBB147_2:                              ;   in Loop: Header=BB147_3 Depth=1
	s_or_b32 exec_lo, exec_lo, s3
	s_add_co_i32 s2, s2, 0x10000
	s_delay_alu instid0(SALU_CYCLE_1)
	s_cmp_lt_u32 s2, s33
	s_cbranch_scc0 .LBB147_155
.LBB147_3:                              ; =>This Loop Header: Depth=1
                                        ;     Child Loop BB147_6 Depth 2
                                        ;     Child Loop BB147_15 Depth 2
	;; [unrolled: 1-line block ×4, first 2 shown]
                                        ;       Child Loop BB147_26 Depth 3
                                        ;     Child Loop BB147_48 Depth 2
                                        ;       Child Loop BB147_49 Depth 3
                                        ;     Child Loop BB147_57 Depth 2
                                        ;       Child Loop BB147_58 Depth 3
                                        ;     Child Loop BB147_81 Depth 2
                                        ;       Child Loop BB147_82 Depth 3
                                        ;     Child Loop BB147_90 Depth 2
                                        ;       Child Loop BB147_91 Depth 3
                                        ;     Child Loop BB147_113 Depth 2
                                        ;       Child Loop BB147_114 Depth 3
                                        ;     Child Loop BB147_123 Depth 2
                                        ;       Child Loop BB147_124 Depth 3
                                        ;     Child Loop BB147_146 Depth 2
                                        ;       Child Loop BB147_147 Depth 3
                                        ;     Child Loop BB147_154 Depth 2
	s_mov_b32 s3, s19
	s_and_saveexec_b32 s18, s0
	s_cbranch_execz .LBB147_12
; %bb.4:                                ;   in Loop: Header=BB147_3 Depth=1
	v_mad_nc_u64_u32 v[0:1], s4, s2, v[18:19]
	v_mov_b32_e32 v4, v12
	s_mov_b32 s28, s37
	s_delay_alu instid0(VALU_DEP_2)
	v_mad_u32 v1, s5, s2, v1
	s_branch .LBB147_6
.LBB147_5:                              ;   in Loop: Header=BB147_6 Depth=2
	global_load_b32 v2, v[0:1], off offset:-4
	s_wait_xcnt 0x0
	v_add_nc_u64_e32 v[0:1], s[8:9], v[0:1]
	s_add_co_i32 s28, s28, -1
	s_delay_alu instid0(SALU_CYCLE_1)
	s_cmp_eq_u32 s28, 0
	s_wait_loadcnt 0x0
	ds_store_b64 v4, v[2:3]
	v_add_nc_u32_e32 v4, 0x60, v4
	s_cbranch_scc1 .LBB147_10
.LBB147_6:                              ;   Parent Loop BB147_3 Depth=1
                                        ; =>  This Inner Loop Header: Depth=2
	s_and_b32 vcc_lo, exec_lo, s36
	s_mov_b32 s29, -1
                                        ; implicit-def: $vgpr3
	s_cbranch_vccz .LBB147_8
; %bb.7:                                ;   in Loop: Header=BB147_6 Depth=2
	global_load_b32 v3, v[0:1], off
	s_mov_b32 s29, 0
.LBB147_8:                              ;   in Loop: Header=BB147_6 Depth=2
	s_delay_alu instid0(SALU_CYCLE_1)
	s_and_not1_b32 vcc_lo, exec_lo, s29
	s_cbranch_vccnz .LBB147_5
; %bb.9:                                ;   in Loop: Header=BB147_6 Depth=2
	global_load_b32 v2, v[0:1], off
	s_wait_loadcnt 0x0
	v_xor_b32_e32 v3, 0x80000000, v2
	s_branch .LBB147_5
.LBB147_10:                             ;   in Loop: Header=BB147_3 Depth=1
	s_and_b32 vcc_lo, exec_lo, s39
	s_cbranch_vccz .LBB147_12
; %bb.11:                               ;   in Loop: Header=BB147_3 Depth=1
	ds_store_b64 v28, v[22:23]
.LBB147_12:                             ;   in Loop: Header=BB147_3 Depth=1
	s_or_b32 exec_lo, exec_lo, s18
	s_mul_u64 s[28:29], s[26:27], s[2:3]
	s_and_saveexec_b32 s49, s43
	s_cbranch_execz .LBB147_20
; %bb.13:                               ;   in Loop: Header=BB147_3 Depth=1
	s_and_not1_b32 vcc_lo, exec_lo, s45
	s_cbranch_vccnz .LBB147_17
; %bb.14:                               ;   in Loop: Header=BB147_3 Depth=1
	s_mul_u64 s[30:31], s[24:25], s[2:3]
	s_mov_b32 s18, 0
	s_lshl_b64 s[30:31], s[30:31], 3
	s_mov_b32 s3, s44
	s_add_nc_u64 s[30:31], s[6:7], s[30:31]
	s_delay_alu instid0(SALU_CYCLE_1)
	v_add_nc_u64_e32 v[0:1], s[30:31], v[14:15]
	s_mov_b32 s30, 1
.LBB147_15:                             ;   Parent Loop BB147_3 Depth=1
                                        ; =>  This Inner Loop Header: Depth=2
	s_mov_b32 s31, s19
	s_delay_alu instid0(VALU_DEP_1)
	v_lshl_add_u64 v[2:3], s[18:19], 3, v[0:1]
	v_lshl_add_u64 v[4:5], s[30:31], 3, v[0:1]
	v_mad_u32 v24, 0x60, s18, v26
	v_mad_u32 v25, 0x60, s30, v26
	s_add_co_i32 s3, s3, -2
	s_clause 0x1
	global_load_b64 v[6:7], v[2:3], off
	global_load_b64 v[8:9], v[4:5], off
	s_wait_xcnt 0x1
	v_mov_b64_e32 v[2:3], s[22:23]
	s_wait_xcnt 0x0
	v_mov_b64_e32 v[4:5], s[14:15]
	s_add_co_i32 s18, s18, 2
	s_add_co_i32 s30, s30, 2
	s_mov_b32 s34, s44
	s_mov_b32 s31, s46
	s_cmp_lg_u32 s3, 0
	s_wait_loadcnt 0x0
	v_dual_mov_b32 v10, v6 :: v_dual_mov_b32 v11, v8
	v_mov_b32_e32 v8, v7
	s_delay_alu instid0(VALU_DEP_1) | instskip(SKIP_1) | instid1(VALU_DEP_2)
	v_pk_mul_f32 v[6:7], v[2:3], v[8:9]
	v_pk_mul_f32 v[8:9], v[4:5], v[8:9]
	v_pk_fma_f32 v[4:5], v[4:5], v[10:11], v[6:7] neg_lo:[0,0,1] neg_hi:[0,0,1]
	s_delay_alu instid0(VALU_DEP_2)
	v_pk_fma_f32 v[2:3], v[2:3], v[10:11], v[8:9]
	ds_store_b32 v24, v4
	ds_store_b32 v25, v5
	ds_store_b32 v24, v2 offset:4
	ds_store_b32 v25, v3 offset:4
	s_cbranch_scc1 .LBB147_15
; %bb.16:                               ;   in Loop: Header=BB147_3 Depth=1
	s_and_b32 vcc_lo, exec_lo, s31
	s_cbranch_vccnz .LBB147_18
	s_branch .LBB147_20
.LBB147_17:                             ;   in Loop: Header=BB147_3 Depth=1
	s_mov_b32 s34, 0
	s_cbranch_execz .LBB147_20
.LBB147_18:                             ;   in Loop: Header=BB147_3 Depth=1
	s_mov_b32 s35, s19
	v_mad_u32 v2, 0x60, s34, v26
	s_mul_u64 s[30:31], s[10:11], s[34:35]
	s_sub_co_i32 s3, s16, s34
	s_add_nc_u64 s[30:31], s[30:31], s[28:29]
	s_delay_alu instid0(SALU_CYCLE_1)
	v_add_nc_u64_e32 v[0:1], s[30:31], v[20:21]
.LBB147_19:                             ;   Parent Loop BB147_3 Depth=1
                                        ; =>  This Inner Loop Header: Depth=2
	global_load_b64 v[4:5], v[0:1], off offset:-4
	v_mov_b64_e32 v[6:7], s[12:13]
	v_mov_b64_e32 v[8:9], s[20:21]
	s_wait_xcnt 0x0
	v_add_nc_u64_e32 v[0:1], s[10:11], v[0:1]
	s_add_co_i32 s3, s3, -1
	s_delay_alu instid0(SALU_CYCLE_1) | instskip(SKIP_2) | instid1(VALU_DEP_1)
	s_cmp_lg_u32 s3, 0
	s_wait_loadcnt 0x0
	v_pk_mul_f32 v[6:7], v[6:7], v[4:5] op_sel:[0,1]
	v_pk_fma_f32 v[10:11], v[8:9], v[4:5], v[6:7] op_sel_hi:[1,0,1]
	v_pk_fma_f32 v[4:5], v[8:9], v[4:5], v[6:7] neg_lo:[0,0,1] neg_hi:[0,0,1]
	s_delay_alu instid0(VALU_DEP_2)
	v_mov_b32_e32 v5, v11
	ds_store_b64 v2, v[4:5]
	v_add_nc_u32_e32 v2, 0x60, v2
	s_cbranch_scc1 .LBB147_19
.LBB147_20:                             ;   in Loop: Header=BB147_3 Depth=1
	s_or_b32 exec_lo, exec_lo, s49
	s_delay_alu instid0(SALU_CYCLE_1)
	s_and_b32 vcc_lo, exec_lo, s41
	s_mov_b32 s3, -1
	s_wait_dscnt 0x0
	; wave barrier
	s_cbranch_vccz .LBB147_120
; %bb.21:                               ;   in Loop: Header=BB147_3 Depth=1
	s_and_b32 vcc_lo, exec_lo, s40
	s_cbranch_vccz .LBB147_88
; %bb.22:                               ;   in Loop: Header=BB147_3 Depth=1
	v_cmp_ne_u32_e32 vcc_lo, 1, v27
	s_cbranch_vccnz .LBB147_55
; %bb.23:                               ;   in Loop: Header=BB147_3 Depth=1
	s_and_not1_b32 vcc_lo, exec_lo, s42
	s_mov_b32 s30, 0
	s_cbranch_vccnz .LBB147_45
; %bb.24:                               ;   in Loop: Header=BB147_3 Depth=1
	s_mov_b32 s3, 0
	s_mov_b32 s18, 0
.LBB147_25:                             ;   Parent Loop BB147_3 Depth=1
                                        ; =>  This Loop Header: Depth=2
                                        ;       Child Loop BB147_26 Depth 3
	s_delay_alu instid0(SALU_CYCLE_1) | instskip(SKIP_3) | instid1(SALU_CYCLE_1)
	v_mad_u32 v30, 0x60, s18, v26
	s_or_b32 s30, s18, 3
	s_cmp_eq_u32 s18, 0
	s_mulk_i32 s30, 0x60
	v_dual_mov_b32 v4, v26 :: v_dual_add_nc_u32 v29, s30, v26
	s_mov_b32 s30, s3
	s_mov_b32 s31, s18
	ds_load_2addr_b64 v[0:3], v30 offset1:12
	ds_load_b64 v[10:11], v30 offset:192
	ds_load_b64 v[8:9], v29
	s_cbranch_scc1 .LBB147_27
.LBB147_26:                             ;   Parent Loop BB147_3 Depth=1
                                        ;     Parent Loop BB147_25 Depth=2
                                        ; =>    This Inner Loop Header: Depth=3
	v_mov_b32_e32 v5, s30
	s_add_co_i32 s31, s31, -1
	s_addk_co_i32 s30, 0x60
	s_cmp_eq_u32 s31, 0
	ds_load_b64 v[6:7], v4
	ds_load_b128 v[32:35], v5
	ds_load_b128 v[36:39], v5 offset:16
	s_wait_dscnt 0x1
	v_dual_mul_f32 v5, v33, v7 :: v_dual_add_nc_u32 v4, 0x60, v4
	v_dual_mul_f32 v31, v32, v7 :: v_dual_mul_f32 v42, v35, v7
	v_mul_f32_e32 v43, v35, v6
	s_wait_dscnt 0x0
	v_pk_mul_f32 v[24:25], v[36:37], v[6:7] op_sel:[0,1]
	v_pk_mul_f32 v[40:41], v[38:39], v[6:7] op_sel:[0,1]
	v_dual_fma_f32 v5, v32, v6, -v5 :: v_dual_fmac_f32 v31, v33, v6
	v_dual_fma_f32 v42, v34, v6, -v42 :: v_dual_fmac_f32 v43, v34, v7
	s_delay_alu instid0(VALU_DEP_4) | instskip(NEXT) | instid1(VALU_DEP_4)
	v_pk_fma_f32 v[32:33], v[36:37], v[6:7], v[24:25] op_sel:[0,0,1] op_sel_hi:[1,0,0]
	v_pk_fma_f32 v[34:35], v[38:39], v[6:7], v[40:41] op_sel:[0,0,1] op_sel_hi:[1,0,0]
	v_pk_fma_f32 v[24:25], v[36:37], v[6:7], v[24:25] op_sel:[0,0,1] op_sel_hi:[1,1,0] neg_lo:[0,0,1] neg_hi:[0,0,1]
	v_pk_fma_f32 v[6:7], v[38:39], v[6:7], v[40:41] op_sel:[0,0,1] op_sel_hi:[1,1,0] neg_lo:[0,0,1] neg_hi:[0,0,1]
	s_delay_alu instid0(VALU_DEP_4) | instskip(NEXT) | instid1(VALU_DEP_4)
	v_dual_sub_f32 v0, v0, v5 :: v_dual_mov_b32 v25, v33
	v_dual_mov_b32 v7, v35 :: v_dual_sub_f32 v1, v1, v31
	v_dual_sub_f32 v2, v2, v42 :: v_dual_sub_f32 v3, v3, v43
	s_delay_alu instid0(VALU_DEP_3) | instskip(NEXT) | instid1(VALU_DEP_3)
	v_pk_add_f32 v[10:11], v[10:11], v[24:25] neg_lo:[0,1] neg_hi:[0,1]
	v_pk_add_f32 v[8:9], v[8:9], v[6:7] neg_lo:[0,1] neg_hi:[0,1]
	s_cbranch_scc0 .LBB147_26
.LBB147_27:                             ;   in Loop: Header=BB147_25 Depth=2
	s_lshl_b32 s30, s18, 3
	s_mul_i32 s31, s18, 0x60
	s_mov_b32 s34, -1
	s_add_co_i32 s31, s30, s31
                                        ; implicit-def: $vgpr25
	s_delay_alu instid0(SALU_CYCLE_1) | instskip(SKIP_4) | instid1(VALU_DEP_1)
	v_mov_b32_e32 v4, s31
	ds_load_b64 v[4:5], v4
	s_wait_dscnt 0x0
	v_and_b32_e32 v6, 0x7fffffff, v4
	v_and_b32_e32 v7, 0x7fffffff, v5
	v_cmp_ngt_f32_e32 vcc_lo, v6, v7
	s_cbranch_vccz .LBB147_29
; %bb.28:                               ;   in Loop: Header=BB147_25 Depth=2
	v_div_scale_f32 v6, null, v5, v5, v4
	v_div_scale_f32 v25, vcc_lo, v4, v5, v4
	s_mov_b32 s34, 0
	v_rcp_f32_e32 v7, v6
	v_nop
	v_xor_b32_e32 v6, 0x80000000, v6
	s_delay_alu instid0(TRANS32_DEP_1) | instid1(VALU_DEP_1)
	v_fma_f32 v24, v6, v7, 1.0
	s_delay_alu instid0(VALU_DEP_1) | instskip(NEXT) | instid1(VALU_DEP_1)
	v_fmac_f32_e32 v7, v24, v7
	v_mul_f32_e32 v24, v25, v7
	s_delay_alu instid0(VALU_DEP_1) | instskip(NEXT) | instid1(VALU_DEP_1)
	v_fma_f32 v31, v6, v24, v25
	v_fmac_f32_e32 v24, v31, v7
	s_delay_alu instid0(VALU_DEP_1) | instskip(NEXT) | instid1(VALU_DEP_1)
	v_fmac_f32_e32 v25, v6, v24
	v_div_fmas_f32 v6, v25, v7, v24
	s_delay_alu instid0(VALU_DEP_1) | instskip(NEXT) | instid1(VALU_DEP_1)
	v_div_fixup_f32 v6, v6, v5, v4
	v_fma_f32 v7, v4, v6, v5
	s_delay_alu instid0(VALU_DEP_1) | instskip(SKIP_1) | instid1(VALU_DEP_2)
	v_div_scale_f32 v24, null, v7, v7, 1.0
	v_div_scale_f32 v32, vcc_lo, 1.0, v7, 1.0
	v_rcp_f32_e32 v25, v24
	v_nop
	v_xor_b32_e32 v24, 0x80000000, v24
	s_delay_alu instid0(TRANS32_DEP_1) | instid1(VALU_DEP_1)
	v_fma_f32 v31, v24, v25, 1.0
	s_delay_alu instid0(VALU_DEP_1) | instskip(NEXT) | instid1(VALU_DEP_1)
	v_fmac_f32_e32 v25, v31, v25
	v_mul_f32_e32 v31, v32, v25
	s_delay_alu instid0(VALU_DEP_1) | instskip(NEXT) | instid1(VALU_DEP_1)
	v_fma_f32 v33, v24, v31, v32
	v_fmac_f32_e32 v31, v33, v25
	s_delay_alu instid0(VALU_DEP_1) | instskip(NEXT) | instid1(VALU_DEP_1)
	v_fmac_f32_e32 v32, v24, v31
	v_div_fmas_f32 v24, v32, v25, v31
	v_dual_fma_f32 v25, v0, v6, v1 :: v_dual_fma_f32 v6, v1, v6, -v0
	s_delay_alu instid0(VALU_DEP_2) | instskip(NEXT) | instid1(VALU_DEP_1)
	v_div_fixup_f32 v7, v24, v7, 1.0
	v_dual_mul_f32 v24, v25, v7 :: v_dual_mul_f32 v25, v6, v7
.LBB147_29:                             ;   in Loop: Header=BB147_25 Depth=2
	s_and_not1_b32 vcc_lo, exec_lo, s34
	s_cbranch_vccnz .LBB147_31
; %bb.30:                               ;   in Loop: Header=BB147_25 Depth=2
	v_div_scale_f32 v6, null, v4, v4, v5
	v_div_scale_f32 v25, vcc_lo, v5, v4, v5
	s_delay_alu instid0(VALU_DEP_2)
	v_rcp_f32_e32 v7, v6
	v_nop
	v_xor_b32_e32 v6, 0x80000000, v6
	s_delay_alu instid0(TRANS32_DEP_1) | instid1(VALU_DEP_1)
	v_fma_f32 v24, v6, v7, 1.0
	s_delay_alu instid0(VALU_DEP_1) | instskip(NEXT) | instid1(VALU_DEP_1)
	v_fmac_f32_e32 v7, v24, v7
	v_mul_f32_e32 v24, v25, v7
	s_delay_alu instid0(VALU_DEP_1) | instskip(NEXT) | instid1(VALU_DEP_1)
	v_fma_f32 v31, v6, v24, v25
	v_fmac_f32_e32 v24, v31, v7
	s_delay_alu instid0(VALU_DEP_1) | instskip(NEXT) | instid1(VALU_DEP_1)
	v_fmac_f32_e32 v25, v6, v24
	v_div_fmas_f32 v6, v25, v7, v24
	s_delay_alu instid0(VALU_DEP_1) | instskip(NEXT) | instid1(VALU_DEP_1)
	v_div_fixup_f32 v6, v6, v4, v5
	v_fmac_f32_e32 v4, v5, v6
	s_delay_alu instid0(VALU_DEP_1) | instskip(SKIP_1) | instid1(VALU_DEP_2)
	v_div_scale_f32 v5, null, v4, v4, 1.0
	v_div_scale_f32 v25, vcc_lo, 1.0, v4, 1.0
	v_rcp_f32_e32 v7, v5
	v_nop
	v_xor_b32_e32 v5, 0x80000000, v5
	s_delay_alu instid0(TRANS32_DEP_1) | instid1(VALU_DEP_1)
	v_fma_f32 v24, v5, v7, 1.0
	s_delay_alu instid0(VALU_DEP_1) | instskip(NEXT) | instid1(VALU_DEP_1)
	v_fmac_f32_e32 v7, v24, v7
	v_mul_f32_e32 v24, v25, v7
	s_delay_alu instid0(VALU_DEP_1) | instskip(NEXT) | instid1(VALU_DEP_1)
	v_fma_f32 v31, v5, v24, v25
	v_fmac_f32_e32 v24, v31, v7
	s_delay_alu instid0(VALU_DEP_1) | instskip(NEXT) | instid1(VALU_DEP_1)
	v_fmac_f32_e32 v25, v5, v24
	v_div_fmas_f32 v5, v25, v7, v24
	v_dual_fma_f32 v7, v1, v6, v0 :: v_dual_fma_f32 v0, -v0, v6, v1
	s_delay_alu instid0(VALU_DEP_2) | instskip(NEXT) | instid1(VALU_DEP_1)
	v_div_fixup_f32 v4, v5, v4, 1.0
	v_dual_mul_f32 v24, v7, v4 :: v_dual_mul_f32 v25, v0, v4
.LBB147_31:                             ;   in Loop: Header=BB147_25 Depth=2
	v_mov_b32_e32 v0, s31
	s_mov_b32 s34, -1
	ds_store_b64 v30, v[24:25]
	ds_load_2addr_b64 v[4:7], v0 offset0:1 offset1:13
	s_wait_dscnt 0x0
	v_dual_mul_f32 v1, v24, v5 :: v_dual_mul_f32 v0, v25, v5
	v_and_b32_e32 v5, 0x7fffffff, v6
	v_and_b32_e32 v31, 0x7fffffff, v7
	s_delay_alu instid0(VALU_DEP_3) | instskip(NEXT) | instid1(VALU_DEP_2)
	v_dual_fmac_f32 v1, v25, v4 :: v_dual_fma_f32 v0, v24, v4, -v0
	v_cmp_ngt_f32_e32 vcc_lo, v5, v31
                                        ; implicit-def: $vgpr5
	s_delay_alu instid0(VALU_DEP_2)
	v_dual_sub_f32 v1, v3, v1 :: v_dual_sub_f32 v0, v2, v0
	s_cbranch_vccz .LBB147_33
; %bb.32:                               ;   in Loop: Header=BB147_25 Depth=2
	v_div_scale_f32 v2, null, v7, v7, v6
	v_div_scale_f32 v5, vcc_lo, v6, v7, v6
	s_mov_b32 s34, 0
	v_rcp_f32_e32 v3, v2
	v_nop
	v_xor_b32_e32 v2, 0x80000000, v2
	s_delay_alu instid0(TRANS32_DEP_1) | instid1(VALU_DEP_1)
	v_fma_f32 v4, v2, v3, 1.0
	s_delay_alu instid0(VALU_DEP_1) | instskip(NEXT) | instid1(VALU_DEP_1)
	v_fmac_f32_e32 v3, v4, v3
	v_mul_f32_e32 v4, v5, v3
	s_delay_alu instid0(VALU_DEP_1) | instskip(NEXT) | instid1(VALU_DEP_1)
	v_fma_f32 v31, v2, v4, v5
	v_fmac_f32_e32 v4, v31, v3
	s_delay_alu instid0(VALU_DEP_1) | instskip(NEXT) | instid1(VALU_DEP_1)
	v_fmac_f32_e32 v5, v2, v4
	v_div_fmas_f32 v2, v5, v3, v4
	s_delay_alu instid0(VALU_DEP_1) | instskip(NEXT) | instid1(VALU_DEP_1)
	v_div_fixup_f32 v2, v2, v7, v6
	v_fma_f32 v3, v6, v2, v7
	s_delay_alu instid0(VALU_DEP_1) | instskip(SKIP_1) | instid1(VALU_DEP_2)
	v_div_scale_f32 v4, null, v3, v3, 1.0
	v_div_scale_f32 v32, vcc_lo, 1.0, v3, 1.0
	v_rcp_f32_e32 v5, v4
	v_nop
	v_xor_b32_e32 v4, 0x80000000, v4
	s_delay_alu instid0(TRANS32_DEP_1) | instid1(VALU_DEP_1)
	v_fma_f32 v31, v4, v5, 1.0
	s_delay_alu instid0(VALU_DEP_1) | instskip(NEXT) | instid1(VALU_DEP_1)
	v_fmac_f32_e32 v5, v31, v5
	v_mul_f32_e32 v31, v32, v5
	s_delay_alu instid0(VALU_DEP_1) | instskip(NEXT) | instid1(VALU_DEP_1)
	v_fma_f32 v33, v4, v31, v32
	v_fmac_f32_e32 v31, v33, v5
	s_delay_alu instid0(VALU_DEP_1) | instskip(NEXT) | instid1(VALU_DEP_1)
	v_fmac_f32_e32 v32, v4, v31
	v_div_fmas_f32 v4, v32, v5, v31
	v_fma_f32 v5, v2, v0, v1
	s_delay_alu instid0(VALU_DEP_2) | instskip(NEXT) | instid1(VALU_DEP_1)
	v_div_fixup_f32 v3, v4, v3, 1.0
	v_dual_fma_f32 v2, v2, v1, -v0 :: v_dual_mul_f32 v4, v5, v3
	s_delay_alu instid0(VALU_DEP_1)
	v_mul_f32_e32 v5, v2, v3
.LBB147_33:                             ;   in Loop: Header=BB147_25 Depth=2
	s_and_not1_b32 vcc_lo, exec_lo, s34
	s_cbranch_vccnz .LBB147_35
; %bb.34:                               ;   in Loop: Header=BB147_25 Depth=2
	v_div_scale_f32 v2, null, v6, v6, v7
	v_div_scale_f32 v5, vcc_lo, v7, v6, v7
	s_delay_alu instid0(VALU_DEP_2)
	v_rcp_f32_e32 v3, v2
	v_nop
	v_xor_b32_e32 v2, 0x80000000, v2
	s_delay_alu instid0(TRANS32_DEP_1) | instid1(VALU_DEP_1)
	v_fma_f32 v4, v2, v3, 1.0
	s_delay_alu instid0(VALU_DEP_1) | instskip(NEXT) | instid1(VALU_DEP_1)
	v_fmac_f32_e32 v3, v4, v3
	v_mul_f32_e32 v4, v5, v3
	s_delay_alu instid0(VALU_DEP_1) | instskip(NEXT) | instid1(VALU_DEP_1)
	v_fma_f32 v31, v2, v4, v5
	v_fmac_f32_e32 v4, v31, v3
	s_delay_alu instid0(VALU_DEP_1) | instskip(NEXT) | instid1(VALU_DEP_1)
	v_fmac_f32_e32 v5, v2, v4
	v_div_fmas_f32 v2, v5, v3, v4
	s_delay_alu instid0(VALU_DEP_1) | instskip(NEXT) | instid1(VALU_DEP_1)
	v_div_fixup_f32 v2, v2, v6, v7
	v_fmac_f32_e32 v6, v7, v2
	s_delay_alu instid0(VALU_DEP_1) | instskip(SKIP_1) | instid1(VALU_DEP_2)
	v_div_scale_f32 v3, null, v6, v6, 1.0
	v_div_scale_f32 v7, vcc_lo, 1.0, v6, 1.0
	v_rcp_f32_e32 v4, v3
	v_nop
	v_xor_b32_e32 v3, 0x80000000, v3
	s_delay_alu instid0(TRANS32_DEP_1) | instid1(VALU_DEP_1)
	v_fma_f32 v5, v3, v4, 1.0
	s_delay_alu instid0(VALU_DEP_1) | instskip(NEXT) | instid1(VALU_DEP_1)
	v_fmac_f32_e32 v4, v5, v4
	v_mul_f32_e32 v5, v7, v4
	s_delay_alu instid0(VALU_DEP_1) | instskip(NEXT) | instid1(VALU_DEP_1)
	v_fma_f32 v31, v3, v5, v7
	v_fmac_f32_e32 v5, v31, v4
	s_delay_alu instid0(VALU_DEP_1) | instskip(NEXT) | instid1(VALU_DEP_1)
	v_fmac_f32_e32 v7, v3, v5
	v_div_fmas_f32 v3, v7, v4, v5
	v_dual_fma_f32 v4, v2, v1, v0 :: v_dual_fma_f32 v0, -v2, v0, v1
	s_delay_alu instid0(VALU_DEP_2) | instskip(NEXT) | instid1(VALU_DEP_1)
	v_div_fixup_f32 v3, v3, v6, 1.0
	v_mul_f32_e32 v4, v4, v3
	s_delay_alu instid0(VALU_DEP_3)
	v_mul_f32_e32 v5, v0, v3
.LBB147_35:                             ;   in Loop: Header=BB147_25 Depth=2
	s_add_co_i32 s34, s31, 0x68
	s_or_b32 s35, s30, 8
	s_delay_alu instid0(VALU_DEP_1) | instskip(SKIP_3) | instid1(SALU_CYCLE_1)
	v_dual_mov_b32 v32, v25 :: v_dual_mov_b32 v34, v5
	s_sub_co_i32 s35, s34, s35
	s_mov_b32 s49, -1
	s_add_co_i32 s35, s35, s30
	v_dual_mov_b32 v0, s31 :: v_dual_mov_b32 v6, s35
	ds_store_b64 v30, v[4:5] offset:96
	ds_load_2addr_b64 v[0:3], v0 offset0:2 offset1:26
	ds_load_b64 v[6:7], v6 offset:16
	s_wait_dscnt 0x1
	v_pk_mul_f32 v[32:33], v[32:33], v[0:1] op_sel_hi:[0,1]
	s_wait_dscnt 0x0
	v_pk_mul_f32 v[34:35], v[34:35], v[6:7] op_sel_hi:[0,1]
	v_and_b32_e32 v31, 0x7fffffff, v2
	s_delay_alu instid0(VALU_DEP_3) | instskip(SKIP_1) | instid1(VALU_DEP_4)
	v_pk_fma_f32 v[36:37], v[24:25], v[0:1], v[32:33] op_sel:[0,0,1] op_sel_hi:[0,1,0]
	v_pk_fma_f32 v[0:1], v[24:25], v[0:1], v[32:33] op_sel:[0,0,1] op_sel_hi:[1,1,0] neg_lo:[0,0,1] neg_hi:[0,0,1]
	v_pk_fma_f32 v[32:33], v[4:5], v[6:7], v[34:35] op_sel:[0,0,1] op_sel_hi:[0,1,0]
	v_and_b32_e32 v32, 0x7fffffff, v3
	v_pk_fma_f32 v[6:7], v[4:5], v[6:7], v[34:35] op_sel:[0,0,1] op_sel_hi:[1,1,0] neg_lo:[0,0,1] neg_hi:[0,0,1]
	s_delay_alu instid0(VALU_DEP_3) | instskip(NEXT) | instid1(VALU_DEP_3)
	v_dual_mov_b32 v1, v37 :: v_dual_mov_b32 v7, v33
	v_cmp_ngt_f32_e32 vcc_lo, v31, v32
	s_delay_alu instid0(VALU_DEP_2) | instskip(NEXT) | instid1(VALU_DEP_1)
	v_pk_add_f32 v[0:1], v[10:11], v[0:1] neg_lo:[0,1] neg_hi:[0,1]
	v_pk_add_f32 v[0:1], v[0:1], v[6:7] neg_lo:[0,1] neg_hi:[0,1]
                                        ; implicit-def: $vgpr6_vgpr7
	s_cbranch_vccz .LBB147_37
; %bb.36:                               ;   in Loop: Header=BB147_25 Depth=2
	v_div_scale_f32 v6, null, v3, v3, v2
	v_div_scale_f32 v11, vcc_lo, v2, v3, v2
	s_mov_b32 s49, 0
	v_rcp_f32_e32 v7, v6
	v_nop
	v_xor_b32_e32 v6, 0x80000000, v6
	s_delay_alu instid0(TRANS32_DEP_1) | instid1(VALU_DEP_1)
	v_fma_f32 v10, v6, v7, 1.0
	s_delay_alu instid0(VALU_DEP_1) | instskip(NEXT) | instid1(VALU_DEP_1)
	v_fmac_f32_e32 v7, v10, v7
	v_mul_f32_e32 v10, v11, v7
	s_delay_alu instid0(VALU_DEP_1) | instskip(NEXT) | instid1(VALU_DEP_1)
	v_fma_f32 v31, v6, v10, v11
	v_fmac_f32_e32 v10, v31, v7
	s_delay_alu instid0(VALU_DEP_1) | instskip(NEXT) | instid1(VALU_DEP_1)
	v_fmac_f32_e32 v11, v6, v10
	v_div_fmas_f32 v6, v11, v7, v10
	s_delay_alu instid0(VALU_DEP_1) | instskip(NEXT) | instid1(VALU_DEP_1)
	v_div_fixup_f32 v6, v6, v3, v2
	v_fma_f32 v7, v2, v6, v3
	s_delay_alu instid0(VALU_DEP_1) | instskip(NEXT) | instid1(VALU_DEP_1)
	v_div_scale_f32 v10, null, v7, v7, 1.0
	v_rcp_f32_e32 v11, v10
	v_nop
	v_xor_b32_e32 v10, 0x80000000, v10
	s_delay_alu instid0(TRANS32_DEP_1) | instid1(VALU_DEP_1)
	v_fma_f32 v31, v10, v11, 1.0
	s_delay_alu instid0(VALU_DEP_1) | instskip(SKIP_1) | instid1(VALU_DEP_1)
	v_fmac_f32_e32 v11, v31, v11
	v_div_scale_f32 v31, vcc_lo, 1.0, v7, 1.0
	v_mul_f32_e32 v32, v31, v11
	s_delay_alu instid0(VALU_DEP_1) | instskip(NEXT) | instid1(VALU_DEP_1)
	v_fma_f32 v33, v10, v32, v31
	v_fmac_f32_e32 v32, v33, v11
	s_delay_alu instid0(VALU_DEP_1) | instskip(NEXT) | instid1(VALU_DEP_1)
	v_dual_fmac_f32 v31, v10, v32 :: v_dual_mov_b32 v10, v1
	v_div_fmas_f32 v31, v31, v11, v32
	s_delay_alu instid0(VALU_DEP_2) | instskip(NEXT) | instid1(VALU_DEP_2)
	v_pk_fma_f32 v[10:11], v[6:7], v[0:1], v[10:11]
	v_div_fixup_f32 v11, v31, v7, 1.0
	s_delay_alu instid0(VALU_DEP_1) | instskip(NEXT) | instid1(VALU_DEP_1)
	v_dual_fma_f32 v7, v6, v1, -v0 :: v_dual_mov_b32 v6, v11
	v_pk_mul_f32 v[6:7], v[10:11], v[6:7]
.LBB147_37:                             ;   in Loop: Header=BB147_25 Depth=2
	s_and_not1_b32 vcc_lo, exec_lo, s49
	s_cbranch_vccnz .LBB147_39
; %bb.38:                               ;   in Loop: Header=BB147_25 Depth=2
	v_div_scale_f32 v6, null, v2, v2, v3
	v_div_scale_f32 v11, vcc_lo, v3, v2, v3
	s_delay_alu instid0(VALU_DEP_2)
	v_rcp_f32_e32 v7, v6
	v_nop
	v_xor_b32_e32 v6, 0x80000000, v6
	s_delay_alu instid0(TRANS32_DEP_1) | instid1(VALU_DEP_1)
	v_fma_f32 v10, v6, v7, 1.0
	s_delay_alu instid0(VALU_DEP_1) | instskip(NEXT) | instid1(VALU_DEP_1)
	v_fmac_f32_e32 v7, v10, v7
	v_mul_f32_e32 v10, v11, v7
	s_delay_alu instid0(VALU_DEP_1) | instskip(NEXT) | instid1(VALU_DEP_1)
	v_fma_f32 v31, v6, v10, v11
	v_fmac_f32_e32 v10, v31, v7
	s_delay_alu instid0(VALU_DEP_1) | instskip(NEXT) | instid1(VALU_DEP_1)
	v_fmac_f32_e32 v11, v6, v10
	v_div_fmas_f32 v6, v11, v7, v10
	s_delay_alu instid0(VALU_DEP_1) | instskip(NEXT) | instid1(VALU_DEP_1)
	v_div_fixup_f32 v6, v6, v2, v3
	v_fma_f32 v7, v3, v6, v2
	s_delay_alu instid0(VALU_DEP_1) | instskip(NEXT) | instid1(VALU_DEP_1)
	v_div_scale_f32 v2, null, v7, v7, 1.0
	v_rcp_f32_e32 v3, v2
	v_nop
	v_xor_b32_e32 v2, 0x80000000, v2
	s_delay_alu instid0(TRANS32_DEP_1) | instid1(VALU_DEP_1)
	v_fma_f32 v10, v2, v3, 1.0
	s_delay_alu instid0(VALU_DEP_1) | instskip(SKIP_1) | instid1(VALU_DEP_1)
	v_fmac_f32_e32 v3, v10, v3
	v_div_scale_f32 v11, vcc_lo, 1.0, v7, 1.0
	v_mul_f32_e32 v10, v11, v3
	s_delay_alu instid0(VALU_DEP_1) | instskip(NEXT) | instid1(VALU_DEP_1)
	v_fma_f32 v31, v2, v10, v11
	v_fmac_f32_e32 v10, v31, v3
	s_delay_alu instid0(VALU_DEP_1) | instskip(NEXT) | instid1(VALU_DEP_1)
	v_fmac_f32_e32 v11, v2, v10
	v_div_fmas_f32 v10, v11, v3, v10
	v_pk_fma_f32 v[2:3], v[6:7], v[0:1], v[0:1] op_sel:[0,1,0] op_sel_hi:[0,0,1] neg_lo:[1,0,0] neg_hi:[1,0,0]
	v_pk_fma_f32 v[0:1], v[6:7], v[0:1], v[0:1] op_sel:[0,1,0] op_sel_hi:[1,0,1]
	s_delay_alu instid0(VALU_DEP_3) | instskip(NEXT) | instid1(VALU_DEP_3)
	v_div_fixup_f32 v2, v10, v7, 1.0
	v_mov_b32_e32 v1, v3
	s_delay_alu instid0(VALU_DEP_1)
	v_pk_mul_f32 v[6:7], v[0:1], v[2:3] op_sel_hi:[1,0]
.LBB147_39:                             ;   in Loop: Header=BB147_25 Depth=2
	v_dual_mov_b32 v0, s31 :: v_dual_mov_b32 v10, s35
	s_or_b32 s31, s30, 16
	v_mov_b32_e32 v35, v25
	s_sub_co_i32 s31, s34, s31
	ds_load_2addr_b64 v[0:3], v0 offset0:3 offset1:39
	s_add_co_i32 s30, s31, s30
	ds_load_b64 v[10:11], v10 offset:24
	v_dual_mov_b32 v31, s30 :: v_dual_mov_b32 v34, v25
	v_dual_mov_b32 v25, v24 :: v_dual_mov_b32 v36, v5
	v_mov_b32_e32 v37, v5
	ds_load_b64 v[32:33], v31 offset:128
	s_mov_b32 s30, -1
	ds_store_b64 v30, v[6:7] offset:192
	s_wait_dscnt 0x3
	v_pk_mul_f32 v[34:35], v[34:35], v[0:1]
	s_wait_dscnt 0x2
	v_pk_mul_f32 v[36:37], v[36:37], v[10:11]
	s_delay_alu instid0(VALU_DEP_2)
	v_pk_fma_f32 v[38:39], v[24:25], v[0:1], v[34:35] op_sel:[0,0,1] op_sel_hi:[1,1,0]
	v_mov_b32_e32 v5, v4
	v_pk_fma_f32 v[0:1], v[24:25], v[0:1], v[34:35] op_sel:[0,0,1] op_sel_hi:[1,1,0] neg_lo:[0,0,1] neg_hi:[0,0,1]
	s_wait_dscnt 0x1
	v_pk_mul_f32 v[34:35], v[6:7], v[32:33] op_sel:[1,1] op_sel_hi:[1,0]
	v_mov_b32_e32 v1, v39
	v_pk_fma_f32 v[24:25], v[4:5], v[10:11], v[36:37] op_sel:[0,0,1] op_sel_hi:[1,1,0]
	v_pk_fma_f32 v[4:5], v[4:5], v[10:11], v[36:37] op_sel:[0,0,1] op_sel_hi:[1,1,0] neg_lo:[0,0,1] neg_hi:[0,0,1]
	v_and_b32_e32 v24, 0x7fffffff, v3
	v_pk_fma_f32 v[10:11], v[6:7], v[32:33], v[34:35] neg_lo:[0,0,1] neg_hi:[0,0,1]
	v_pk_add_f32 v[0:1], v[8:9], v[0:1] neg_lo:[0,1] neg_hi:[0,1]
	v_pk_fma_f32 v[8:9], v[6:7], v[32:33], v[34:35] op_sel_hi:[0,1,1]
	v_mov_b32_e32 v5, v25
	v_and_b32_e32 v8, 0x7fffffff, v2
	s_delay_alu instid0(VALU_DEP_3) | instskip(NEXT) | instid1(VALU_DEP_3)
	v_mov_b32_e32 v11, v9
	v_pk_add_f32 v[0:1], v[0:1], v[4:5] neg_lo:[0,1] neg_hi:[0,1]
	s_delay_alu instid0(VALU_DEP_3) | instskip(NEXT) | instid1(VALU_DEP_2)
	v_cmp_ngt_f32_e32 vcc_lo, v8, v24
                                        ; implicit-def: $vgpr4_vgpr5
	v_pk_add_f32 v[0:1], v[0:1], v[10:11] neg_lo:[0,1] neg_hi:[0,1]
	s_cbranch_vccz .LBB147_41
; %bb.40:                               ;   in Loop: Header=BB147_25 Depth=2
	v_div_scale_f32 v4, null, v3, v3, v2
	v_div_scale_f32 v7, vcc_lo, v2, v3, v2
	s_mov_b32 s30, 0
	v_rcp_f32_e32 v5, v4
	v_nop
	v_xor_b32_e32 v4, 0x80000000, v4
	s_delay_alu instid0(TRANS32_DEP_1) | instid1(VALU_DEP_1)
	v_fma_f32 v6, v4, v5, 1.0
	s_delay_alu instid0(VALU_DEP_1) | instskip(NEXT) | instid1(VALU_DEP_1)
	v_fmac_f32_e32 v5, v6, v5
	v_mul_f32_e32 v6, v7, v5
	s_delay_alu instid0(VALU_DEP_1) | instskip(NEXT) | instid1(VALU_DEP_1)
	v_fma_f32 v8, v4, v6, v7
	v_fmac_f32_e32 v6, v8, v5
	s_delay_alu instid0(VALU_DEP_1) | instskip(NEXT) | instid1(VALU_DEP_1)
	v_fmac_f32_e32 v7, v4, v6
	v_div_fmas_f32 v4, v7, v5, v6
	s_delay_alu instid0(VALU_DEP_1) | instskip(NEXT) | instid1(VALU_DEP_1)
	v_div_fixup_f32 v4, v4, v3, v2
	v_fma_f32 v5, v2, v4, v3
	s_delay_alu instid0(VALU_DEP_1) | instskip(NEXT) | instid1(VALU_DEP_1)
	v_div_scale_f32 v6, null, v5, v5, 1.0
	v_rcp_f32_e32 v7, v6
	v_nop
	v_xor_b32_e32 v6, 0x80000000, v6
	s_delay_alu instid0(TRANS32_DEP_1) | instid1(VALU_DEP_1)
	v_fma_f32 v8, v6, v7, 1.0
	s_delay_alu instid0(VALU_DEP_1) | instskip(SKIP_1) | instid1(VALU_DEP_1)
	v_fmac_f32_e32 v7, v8, v7
	v_div_scale_f32 v8, vcc_lo, 1.0, v5, 1.0
	v_mul_f32_e32 v9, v8, v7
	s_delay_alu instid0(VALU_DEP_1) | instskip(NEXT) | instid1(VALU_DEP_1)
	v_fma_f32 v10, v6, v9, v8
	v_fmac_f32_e32 v9, v10, v7
	s_delay_alu instid0(VALU_DEP_1) | instskip(NEXT) | instid1(VALU_DEP_1)
	v_dual_fmac_f32 v8, v6, v9 :: v_dual_mov_b32 v6, v1
	v_div_fmas_f32 v8, v8, v7, v9
	s_delay_alu instid0(VALU_DEP_2) | instskip(NEXT) | instid1(VALU_DEP_2)
	v_pk_fma_f32 v[6:7], v[4:5], v[0:1], v[6:7]
	v_div_fixup_f32 v7, v8, v5, 1.0
	s_delay_alu instid0(VALU_DEP_1) | instskip(NEXT) | instid1(VALU_DEP_1)
	v_dual_fma_f32 v5, v4, v1, -v0 :: v_dual_mov_b32 v4, v7
	v_pk_mul_f32 v[4:5], v[6:7], v[4:5]
.LBB147_41:                             ;   in Loop: Header=BB147_25 Depth=2
	s_and_not1_b32 vcc_lo, exec_lo, s30
	s_cbranch_vccnz .LBB147_43
; %bb.42:                               ;   in Loop: Header=BB147_25 Depth=2
	v_div_scale_f32 v4, null, v2, v2, v3
	v_div_scale_f32 v7, vcc_lo, v3, v2, v3
	s_delay_alu instid0(VALU_DEP_2)
	v_rcp_f32_e32 v5, v4
	v_nop
	v_xor_b32_e32 v4, 0x80000000, v4
	s_delay_alu instid0(TRANS32_DEP_1) | instid1(VALU_DEP_1)
	v_fma_f32 v6, v4, v5, 1.0
	s_delay_alu instid0(VALU_DEP_1) | instskip(NEXT) | instid1(VALU_DEP_1)
	v_fmac_f32_e32 v5, v6, v5
	v_mul_f32_e32 v6, v7, v5
	s_delay_alu instid0(VALU_DEP_1) | instskip(NEXT) | instid1(VALU_DEP_1)
	v_fma_f32 v8, v4, v6, v7
	v_fmac_f32_e32 v6, v8, v5
	s_delay_alu instid0(VALU_DEP_1) | instskip(NEXT) | instid1(VALU_DEP_1)
	v_fmac_f32_e32 v7, v4, v6
	v_div_fmas_f32 v4, v7, v5, v6
	s_delay_alu instid0(VALU_DEP_1) | instskip(NEXT) | instid1(VALU_DEP_1)
	v_div_fixup_f32 v4, v4, v2, v3
	v_fma_f32 v5, v3, v4, v2
	s_delay_alu instid0(VALU_DEP_1) | instskip(SKIP_1) | instid1(VALU_DEP_2)
	v_div_scale_f32 v2, null, v5, v5, 1.0
	v_div_scale_f32 v7, vcc_lo, 1.0, v5, 1.0
	v_rcp_f32_e32 v3, v2
	v_nop
	v_xor_b32_e32 v2, 0x80000000, v2
	s_delay_alu instid0(TRANS32_DEP_1) | instid1(VALU_DEP_1)
	v_fma_f32 v6, v2, v3, 1.0
	s_delay_alu instid0(VALU_DEP_1) | instskip(NEXT) | instid1(VALU_DEP_1)
	v_fmac_f32_e32 v3, v6, v3
	v_mul_f32_e32 v6, v7, v3
	s_delay_alu instid0(VALU_DEP_1) | instskip(NEXT) | instid1(VALU_DEP_1)
	v_fma_f32 v8, v2, v6, v7
	v_fmac_f32_e32 v6, v8, v3
	s_delay_alu instid0(VALU_DEP_1) | instskip(NEXT) | instid1(VALU_DEP_1)
	v_fmac_f32_e32 v7, v2, v6
	v_div_fmas_f32 v6, v7, v3, v6
	v_pk_fma_f32 v[2:3], v[4:5], v[0:1], v[0:1] op_sel:[0,1,0] op_sel_hi:[0,0,1] neg_lo:[1,0,0] neg_hi:[1,0,0]
	v_pk_fma_f32 v[0:1], v[4:5], v[0:1], v[0:1] op_sel:[0,1,0] op_sel_hi:[1,0,1]
	s_delay_alu instid0(VALU_DEP_3) | instskip(NEXT) | instid1(VALU_DEP_3)
	v_div_fixup_f32 v2, v6, v5, 1.0
	v_mov_b32_e32 v1, v3
	s_delay_alu instid0(VALU_DEP_1)
	v_pk_mul_f32 v[4:5], v[0:1], v[2:3] op_sel_hi:[1,0]
.LBB147_43:                             ;   in Loop: Header=BB147_25 Depth=2
	s_add_co_i32 s30, s18, 4
	s_add_co_i32 s18, s18, 7
	;; [unrolled: 1-line block ×3, first 2 shown]
	s_cmp_ge_i32 s18, s37
	ds_store_b64 v29, v[4:5]
	s_cbranch_scc1 .LBB147_45
; %bb.44:                               ;   in Loop: Header=BB147_25 Depth=2
	s_mov_b32 s18, s30
	s_branch .LBB147_25
.LBB147_45:                             ;   in Loop: Header=BB147_3 Depth=1
	s_cmp_ge_i32 s30, s37
	s_cbranch_scc1 .LBB147_54
; %bb.46:                               ;   in Loop: Header=BB147_3 Depth=1
	s_lshl_b32 s3, s30, 3
	s_branch .LBB147_48
.LBB147_47:                             ;   in Loop: Header=BB147_48 Depth=2
	s_add_co_i32 s30, s30, 1
	s_add_co_i32 s3, s3, 8
	s_cmp_ge_i32 s30, s37
	ds_store_b64 v6, v[4:5]
	s_cbranch_scc1 .LBB147_54
.LBB147_48:                             ;   Parent Loop BB147_3 Depth=1
                                        ; =>  This Loop Header: Depth=2
                                        ;       Child Loop BB147_49 Depth 3
	s_mul_i32 s18, s30, 0x60
	s_cmp_eq_u32 s30, 0
	v_dual_add_nc_u32 v6, s18, v26 :: v_dual_mov_b32 v2, v26
	s_mov_b32 s31, s3
	s_mov_b32 s34, s30
	ds_load_b64 v[0:1], v6
	s_cbranch_scc1 .LBB147_50
.LBB147_49:                             ;   Parent Loop BB147_3 Depth=1
                                        ;     Parent Loop BB147_48 Depth=2
                                        ; =>    This Inner Loop Header: Depth=3
	v_mov_b32_e32 v3, s31
	s_add_co_i32 s34, s34, -1
	s_addk_co_i32 s31, 0x60
	s_cmp_eq_u32 s34, 0
	ds_load_b64 v[4:5], v2
	ds_load_b64 v[8:9], v3
	v_add_nc_u32_e32 v2, 0x60, v2
	s_wait_dscnt 0x0
	v_pk_mul_f32 v[10:11], v[8:9], v[4:5] op_sel:[1,1] op_sel_hi:[0,1]
	s_delay_alu instid0(VALU_DEP_1) | instskip(SKIP_1) | instid1(VALU_DEP_2)
	v_pk_fma_f32 v[24:25], v[8:9], v[4:5], v[10:11] op_sel_hi:[1,0,1]
	v_pk_fma_f32 v[4:5], v[8:9], v[4:5], v[10:11] op_sel_hi:[1,0,1] neg_lo:[0,0,1] neg_hi:[0,0,1]
	v_mov_b32_e32 v5, v25
	s_delay_alu instid0(VALU_DEP_1)
	v_pk_add_f32 v[0:1], v[0:1], v[4:5] neg_lo:[0,1] neg_hi:[0,1]
	s_cbranch_scc0 .LBB147_49
.LBB147_50:                             ;   in Loop: Header=BB147_48 Depth=2
	s_lshl_b32 s31, s30, 3
	s_delay_alu instid0(SALU_CYCLE_1) | instskip(NEXT) | instid1(SALU_CYCLE_1)
	s_add_co_i32 s18, s31, s18
	v_mov_b32_e32 v2, s18
	s_mov_b32 s18, -1
	ds_load_b64 v[2:3], v2
	s_wait_dscnt 0x0
	v_and_b32_e32 v4, 0x7fffffff, v2
	v_and_b32_e32 v5, 0x7fffffff, v3
	s_delay_alu instid0(VALU_DEP_1)
	v_cmp_ngt_f32_e32 vcc_lo, v4, v5
                                        ; implicit-def: $vgpr4_vgpr5
	s_cbranch_vccz .LBB147_52
; %bb.51:                               ;   in Loop: Header=BB147_48 Depth=2
	v_div_scale_f32 v4, null, v3, v3, v2
	v_div_scale_f32 v8, vcc_lo, v2, v3, v2
	s_mov_b32 s18, 0
	v_rcp_f32_e32 v5, v4
	v_nop
	v_xor_b32_e32 v4, 0x80000000, v4
	s_delay_alu instid0(TRANS32_DEP_1) | instid1(VALU_DEP_1)
	v_fma_f32 v7, v4, v5, 1.0
	s_delay_alu instid0(VALU_DEP_1) | instskip(NEXT) | instid1(VALU_DEP_1)
	v_fmac_f32_e32 v5, v7, v5
	v_mul_f32_e32 v7, v8, v5
	s_delay_alu instid0(VALU_DEP_1) | instskip(NEXT) | instid1(VALU_DEP_1)
	v_fma_f32 v9, v4, v7, v8
	v_fmac_f32_e32 v7, v9, v5
	s_delay_alu instid0(VALU_DEP_1) | instskip(NEXT) | instid1(VALU_DEP_1)
	v_fmac_f32_e32 v8, v4, v7
	v_div_fmas_f32 v4, v8, v5, v7
	s_delay_alu instid0(VALU_DEP_1) | instskip(NEXT) | instid1(VALU_DEP_1)
	v_div_fixup_f32 v4, v4, v3, v2
	v_fma_f32 v7, v2, v4, v3
	s_delay_alu instid0(VALU_DEP_1) | instskip(SKIP_1) | instid1(VALU_DEP_2)
	v_div_scale_f32 v5, null, v7, v7, 1.0
	v_div_scale_f32 v10, vcc_lo, 1.0, v7, 1.0
	v_rcp_f32_e32 v8, v5
	v_nop
	v_xor_b32_e32 v5, 0x80000000, v5
	s_delay_alu instid0(TRANS32_DEP_1) | instid1(VALU_DEP_1)
	v_fma_f32 v9, v5, v8, 1.0
	s_delay_alu instid0(VALU_DEP_1) | instskip(NEXT) | instid1(VALU_DEP_1)
	v_fmac_f32_e32 v8, v9, v8
	v_mul_f32_e32 v9, v10, v8
	s_delay_alu instid0(VALU_DEP_1) | instskip(NEXT) | instid1(VALU_DEP_1)
	v_fma_f32 v11, v5, v9, v10
	v_fmac_f32_e32 v9, v11, v8
	s_delay_alu instid0(VALU_DEP_1) | instskip(NEXT) | instid1(VALU_DEP_1)
	v_fmac_f32_e32 v10, v5, v9
	v_div_fmas_f32 v10, v10, v8, v9
	v_pk_fma_f32 v[8:9], v[0:1], v[4:5], v[0:1] op_sel:[0,0,1] op_sel_hi:[1,0,0] neg_lo:[0,0,1] neg_hi:[0,0,1]
	v_pk_fma_f32 v[4:5], v[0:1], v[4:5], v[0:1] op_sel:[0,0,1] op_sel_hi:[1,0,0]
	s_delay_alu instid0(VALU_DEP_3) | instskip(NEXT) | instid1(VALU_DEP_3)
	v_div_fixup_f32 v8, v10, v7, 1.0
	v_mov_b32_e32 v5, v9
	s_delay_alu instid0(VALU_DEP_1)
	v_pk_mul_f32 v[4:5], v[4:5], v[8:9] op_sel_hi:[1,0]
.LBB147_52:                             ;   in Loop: Header=BB147_48 Depth=2
	s_and_not1_b32 vcc_lo, exec_lo, s18
	s_cbranch_vccnz .LBB147_47
; %bb.53:                               ;   in Loop: Header=BB147_48 Depth=2
	v_div_scale_f32 v4, null, v2, v2, v3
	v_div_scale_f32 v8, vcc_lo, v3, v2, v3
	s_delay_alu instid0(VALU_DEP_2)
	v_rcp_f32_e32 v5, v4
	v_nop
	v_xor_b32_e32 v4, 0x80000000, v4
	s_delay_alu instid0(TRANS32_DEP_1) | instid1(VALU_DEP_1)
	v_fma_f32 v7, v4, v5, 1.0
	s_delay_alu instid0(VALU_DEP_1) | instskip(NEXT) | instid1(VALU_DEP_1)
	v_fmac_f32_e32 v5, v7, v5
	v_mul_f32_e32 v7, v8, v5
	s_delay_alu instid0(VALU_DEP_1) | instskip(NEXT) | instid1(VALU_DEP_1)
	v_fma_f32 v9, v4, v7, v8
	v_fmac_f32_e32 v7, v9, v5
	s_delay_alu instid0(VALU_DEP_1) | instskip(NEXT) | instid1(VALU_DEP_1)
	v_fmac_f32_e32 v8, v4, v7
	v_div_fmas_f32 v4, v8, v5, v7
	s_delay_alu instid0(VALU_DEP_1) | instskip(NEXT) | instid1(VALU_DEP_1)
	v_div_fixup_f32 v4, v4, v2, v3
	v_fmac_f32_e32 v2, v3, v4
	s_delay_alu instid0(VALU_DEP_1) | instskip(SKIP_1) | instid1(VALU_DEP_2)
	v_div_scale_f32 v3, null, v2, v2, 1.0
	v_div_scale_f32 v8, vcc_lo, 1.0, v2, 1.0
	v_rcp_f32_e32 v5, v3
	v_nop
	v_xor_b32_e32 v3, 0x80000000, v3
	s_delay_alu instid0(TRANS32_DEP_1) | instid1(VALU_DEP_1)
	v_fma_f32 v7, v3, v5, 1.0
	s_delay_alu instid0(VALU_DEP_1) | instskip(NEXT) | instid1(VALU_DEP_1)
	v_fmac_f32_e32 v5, v7, v5
	v_mul_f32_e32 v7, v8, v5
	s_delay_alu instid0(VALU_DEP_1) | instskip(NEXT) | instid1(VALU_DEP_1)
	v_fma_f32 v9, v3, v7, v8
	v_fmac_f32_e32 v7, v9, v5
	s_delay_alu instid0(VALU_DEP_1) | instskip(NEXT) | instid1(VALU_DEP_1)
	v_fmac_f32_e32 v8, v3, v7
	v_div_fmas_f32 v3, v8, v5, v7
	v_pk_fma_f32 v[8:9], v[0:1], v[4:5], v[0:1] op_sel:[1,0,0] op_sel_hi:[0,0,1] neg_lo:[1,0,0] neg_hi:[1,0,0]
	v_pk_fma_f32 v[0:1], v[0:1], v[4:5], v[0:1] op_sel:[1,0,0] op_sel_hi:[0,0,1]
	s_delay_alu instid0(VALU_DEP_3) | instskip(NEXT) | instid1(VALU_DEP_3)
	v_div_fixup_f32 v2, v3, v2, 1.0
	v_mov_b32_e32 v1, v9
	s_delay_alu instid0(VALU_DEP_1)
	v_pk_mul_f32 v[4:5], v[0:1], v[2:3] op_sel_hi:[1,0]
	s_branch .LBB147_47
.LBB147_54:                             ;   in Loop: Header=BB147_3 Depth=1
	s_mov_b32 s3, 0
.LBB147_55:                             ;   in Loop: Header=BB147_3 Depth=1
	s_delay_alu instid0(SALU_CYCLE_1)
	s_and_b32 vcc_lo, exec_lo, s3
	s_cbranch_vccz .LBB147_87
; %bb.56:                               ;   in Loop: Header=BB147_3 Depth=1
	s_mov_b32 s30, s38
	s_and_not1_b32 vcc_lo, exec_lo, s42
	s_mov_b32 s3, s1
	s_mov_b32 s18, s38
	s_cbranch_vccnz .LBB147_78
.LBB147_57:                             ;   Parent Loop BB147_3 Depth=1
                                        ; =>  This Loop Header: Depth=2
                                        ;       Child Loop BB147_58 Depth 3
	s_mul_i32 s35, s18, 0x60
	s_mov_b32 s31, s3
	s_add_co_i32 s30, s35, 0xfffffee0
	s_delay_alu instid0(SALU_CYCLE_1) | instskip(SKIP_2) | instid1(VALU_DEP_1)
	v_dual_add_nc_u32 v30, s35, v26 :: v_dual_add_nc_u32 v24, s30, v26
	s_cmp_le_i32 s38, s18
	s_mov_b32 s34, s38
	v_dual_mov_b32 v4, v13 :: v_dual_add_nc_u32 v29, 0xffffffa0, v30
	v_add_nc_u32_e32 v25, 0xffffff40, v30
	ds_load_b64 v[8:9], v30
	ds_load_b64 v[6:7], v29
	;; [unrolled: 1-line block ×4, first 2 shown]
	s_cbranch_scc1 .LBB147_59
.LBB147_58:                             ;   Parent Loop BB147_3 Depth=1
                                        ;     Parent Loop BB147_57 Depth=2
                                        ; =>    This Inner Loop Header: Depth=3
	s_add_co_i32 s49, s31, 0xffffff90
	s_add_co_i32 s50, s31, 0xffffff80
	s_delay_alu instid0(SALU_CYCLE_1)
	v_dual_mov_b32 v5, s49 :: v_dual_mov_b32 v31, s50
	ds_load_b64 v[10:11], v4
	s_add_co_i32 s34, s34, -1
	s_addk_co_i32 s31, 0xffa0
	ds_load_2addr_b64 v[32:35], v5 offset1:1
	ds_load_2addr_b64 v[36:39], v31 offset1:1
	v_add_nc_u32_e32 v4, 0xffffffa0, v4
	s_cmp_le_i32 s34, s18
	s_wait_dscnt 0x1
	v_dual_mul_f32 v5, v35, v11 :: v_dual_mul_f32 v31, v34, v11
	v_dual_mul_f32 v44, v33, v11 :: v_dual_mul_f32 v45, v33, v10
	s_wait_dscnt 0x0
	v_pk_mul_f32 v[40:41], v[38:39], v[10:11] op_sel:[0,1]
	v_pk_mul_f32 v[42:43], v[36:37], v[10:11] op_sel:[0,1]
	v_dual_fma_f32 v5, v34, v10, -v5 :: v_dual_fmac_f32 v31, v35, v10
	v_dual_fma_f32 v44, v32, v10, -v44 :: v_dual_fmac_f32 v45, v32, v11
	s_delay_alu instid0(VALU_DEP_4) | instskip(NEXT) | instid1(VALU_DEP_4)
	v_pk_fma_f32 v[32:33], v[38:39], v[10:11], v[40:41] op_sel:[0,0,1] op_sel_hi:[1,0,0]
	v_pk_fma_f32 v[34:35], v[36:37], v[10:11], v[42:43] op_sel:[0,0,1] op_sel_hi:[1,0,0]
	v_pk_fma_f32 v[38:39], v[38:39], v[10:11], v[40:41] op_sel:[0,0,1] op_sel_hi:[1,1,0] neg_lo:[0,0,1] neg_hi:[0,0,1]
	v_pk_fma_f32 v[10:11], v[36:37], v[10:11], v[42:43] op_sel:[0,0,1] op_sel_hi:[1,1,0] neg_lo:[0,0,1] neg_hi:[0,0,1]
	s_delay_alu instid0(VALU_DEP_4) | instskip(NEXT) | instid1(VALU_DEP_4)
	v_dual_sub_f32 v8, v8, v5 :: v_dual_mov_b32 v39, v33
	v_dual_mov_b32 v11, v35 :: v_dual_sub_f32 v9, v9, v31
	v_dual_sub_f32 v6, v6, v44 :: v_dual_sub_f32 v7, v7, v45
	s_delay_alu instid0(VALU_DEP_3) | instskip(NEXT) | instid1(VALU_DEP_3)
	v_pk_add_f32 v[2:3], v[2:3], v[38:39] neg_lo:[0,1] neg_hi:[0,1]
	v_pk_add_f32 v[0:1], v[0:1], v[10:11] neg_lo:[0,1] neg_hi:[0,1]
	s_cbranch_scc0 .LBB147_58
.LBB147_59:                             ;   in Loop: Header=BB147_57 Depth=2
	s_add_co_i32 s34, s18, -3
; %bb.60:                               ;   in Loop: Header=BB147_57 Depth=2
	s_lshl_b32 s31, s18, 3
	s_mov_b32 s49, -1
	s_add_co_i32 s35, s31, s35
	s_delay_alu instid0(SALU_CYCLE_1) | instskip(SKIP_4) | instid1(VALU_DEP_1)
	v_mov_b32_e32 v4, s35
	ds_load_b64 v[10:11], v4
	s_wait_dscnt 0x0
	v_and_b32_e32 v4, 0x7fffffff, v10
	v_and_b32_e32 v5, 0x7fffffff, v11
	v_cmp_ngt_f32_e32 vcc_lo, v4, v5
                                        ; implicit-def: $vgpr5
	s_cbranch_vccz .LBB147_62
; %bb.61:                               ;   in Loop: Header=BB147_57 Depth=2
	v_div_scale_f32 v4, null, v11, v11, v10
	v_div_scale_f32 v32, vcc_lo, v10, v11, v10
	s_mov_b32 s49, 0
	v_rcp_f32_e32 v5, v4
	v_nop
	v_xor_b32_e32 v4, 0x80000000, v4
	s_delay_alu instid0(TRANS32_DEP_1) | instid1(VALU_DEP_1)
	v_fma_f32 v31, v4, v5, 1.0
	s_delay_alu instid0(VALU_DEP_1) | instskip(NEXT) | instid1(VALU_DEP_1)
	v_fmac_f32_e32 v5, v31, v5
	v_mul_f32_e32 v31, v32, v5
	s_delay_alu instid0(VALU_DEP_1) | instskip(NEXT) | instid1(VALU_DEP_1)
	v_fma_f32 v33, v4, v31, v32
	v_fmac_f32_e32 v31, v33, v5
	s_delay_alu instid0(VALU_DEP_1) | instskip(NEXT) | instid1(VALU_DEP_1)
	v_fmac_f32_e32 v32, v4, v31
	v_div_fmas_f32 v4, v32, v5, v31
	s_delay_alu instid0(VALU_DEP_1) | instskip(NEXT) | instid1(VALU_DEP_1)
	v_div_fixup_f32 v4, v4, v11, v10
	v_fma_f32 v5, v10, v4, v11
	s_delay_alu instid0(VALU_DEP_1) | instskip(SKIP_1) | instid1(VALU_DEP_2)
	v_div_scale_f32 v31, null, v5, v5, 1.0
	v_div_scale_f32 v34, vcc_lo, 1.0, v5, 1.0
	v_rcp_f32_e32 v32, v31
	v_nop
	v_xor_b32_e32 v31, 0x80000000, v31
	s_delay_alu instid0(TRANS32_DEP_1) | instid1(VALU_DEP_1)
	v_fma_f32 v33, v31, v32, 1.0
	s_delay_alu instid0(VALU_DEP_1) | instskip(NEXT) | instid1(VALU_DEP_1)
	v_fmac_f32_e32 v32, v33, v32
	v_mul_f32_e32 v33, v34, v32
	s_delay_alu instid0(VALU_DEP_1) | instskip(NEXT) | instid1(VALU_DEP_1)
	v_fma_f32 v35, v31, v33, v34
	v_fmac_f32_e32 v33, v35, v32
	s_delay_alu instid0(VALU_DEP_1) | instskip(NEXT) | instid1(VALU_DEP_1)
	v_fmac_f32_e32 v34, v31, v33
	v_div_fmas_f32 v31, v34, v32, v33
	v_fma_f32 v32, v8, v4, v9
	s_delay_alu instid0(VALU_DEP_2) | instskip(NEXT) | instid1(VALU_DEP_1)
	v_div_fixup_f32 v5, v31, v5, 1.0
	v_dual_fma_f32 v31, v9, v4, -v8 :: v_dual_mul_f32 v4, v32, v5
	s_delay_alu instid0(VALU_DEP_1)
	v_mul_f32_e32 v5, v31, v5
.LBB147_62:                             ;   in Loop: Header=BB147_57 Depth=2
	s_and_not1_b32 vcc_lo, exec_lo, s49
	s_cbranch_vccnz .LBB147_64
; %bb.63:                               ;   in Loop: Header=BB147_57 Depth=2
	v_div_scale_f32 v4, null, v10, v10, v11
	v_div_scale_f32 v32, vcc_lo, v11, v10, v11
	s_delay_alu instid0(VALU_DEP_2)
	v_rcp_f32_e32 v5, v4
	v_nop
	v_xor_b32_e32 v4, 0x80000000, v4
	s_delay_alu instid0(TRANS32_DEP_1) | instid1(VALU_DEP_1)
	v_fma_f32 v31, v4, v5, 1.0
	s_delay_alu instid0(VALU_DEP_1) | instskip(NEXT) | instid1(VALU_DEP_1)
	v_fmac_f32_e32 v5, v31, v5
	v_mul_f32_e32 v31, v32, v5
	s_delay_alu instid0(VALU_DEP_1) | instskip(NEXT) | instid1(VALU_DEP_1)
	v_fma_f32 v33, v4, v31, v32
	v_fmac_f32_e32 v31, v33, v5
	s_delay_alu instid0(VALU_DEP_1) | instskip(NEXT) | instid1(VALU_DEP_1)
	v_fmac_f32_e32 v32, v4, v31
	v_div_fmas_f32 v4, v32, v5, v31
	s_delay_alu instid0(VALU_DEP_1) | instskip(NEXT) | instid1(VALU_DEP_1)
	v_div_fixup_f32 v4, v4, v10, v11
	v_fmac_f32_e32 v10, v11, v4
	s_delay_alu instid0(VALU_DEP_1) | instskip(SKIP_1) | instid1(VALU_DEP_2)
	v_div_scale_f32 v5, null, v10, v10, 1.0
	v_div_scale_f32 v32, vcc_lo, 1.0, v10, 1.0
	v_rcp_f32_e32 v11, v5
	v_nop
	v_xor_b32_e32 v5, 0x80000000, v5
	s_delay_alu instid0(TRANS32_DEP_1) | instid1(VALU_DEP_1)
	v_fma_f32 v31, v5, v11, 1.0
	s_delay_alu instid0(VALU_DEP_1) | instskip(NEXT) | instid1(VALU_DEP_1)
	v_fmac_f32_e32 v11, v31, v11
	v_mul_f32_e32 v31, v32, v11
	s_delay_alu instid0(VALU_DEP_1) | instskip(NEXT) | instid1(VALU_DEP_1)
	v_fma_f32 v33, v5, v31, v32
	v_fmac_f32_e32 v31, v33, v11
	s_delay_alu instid0(VALU_DEP_1) | instskip(NEXT) | instid1(VALU_DEP_1)
	v_fmac_f32_e32 v32, v5, v31
	v_div_fmas_f32 v5, v32, v11, v31
	v_dual_fma_f32 v11, v9, v4, v8 :: v_dual_fma_f32 v8, -v8, v4, v9
	s_delay_alu instid0(VALU_DEP_2) | instskip(NEXT) | instid1(VALU_DEP_1)
	v_div_fixup_f32 v5, v5, v10, 1.0
	v_dual_mul_f32 v4, v11, v5 :: v_dual_mul_f32 v5, v8, v5
.LBB147_64:                             ;   in Loop: Header=BB147_57 Depth=2
	s_add_co_i32 s50, s35, -8
	s_add_co_i32 s49, s35, 0xffffff98
	s_delay_alu instid0(SALU_CYCLE_1)
	v_dual_mov_b32 v8, s50 :: v_dual_mov_b32 v9, s49
	s_mov_b32 s50, -1
	ds_load_b64 v[10:11], v8
	ds_load_b64 v[8:9], v9
	ds_store_b64 v30, v[4:5]
	s_wait_dscnt 0x2
	v_dual_mul_f32 v31, v5, v11 :: v_dual_mul_f32 v11, v4, v11
	s_wait_dscnt 0x1
	v_and_b32_e32 v32, 0x7fffffff, v8
	v_and_b32_e32 v33, 0x7fffffff, v9
	s_delay_alu instid0(VALU_DEP_3) | instskip(SKIP_1) | instid1(VALU_DEP_3)
	v_fmac_f32_e32 v11, v5, v10
	v_fma_f32 v31, v4, v10, -v31
	v_cmp_ngt_f32_e32 vcc_lo, v32, v33
	s_delay_alu instid0(VALU_DEP_3) | instskip(NEXT) | instid1(VALU_DEP_3)
	v_sub_f32_e32 v11, v7, v11
	v_sub_f32_e32 v10, v6, v31
                                        ; implicit-def: $vgpr7
	s_cbranch_vccz .LBB147_66
; %bb.65:                               ;   in Loop: Header=BB147_57 Depth=2
	v_div_scale_f32 v6, null, v9, v9, v8
	v_div_scale_f32 v31, vcc_lo, v8, v9, v8
	s_mov_b32 s50, 0
	v_rcp_f32_e32 v7, v6
	v_nop
	v_xor_b32_e32 v6, 0x80000000, v6
	s_delay_alu instid0(TRANS32_DEP_1) | instid1(VALU_DEP_1)
	v_fma_f32 v30, v6, v7, 1.0
	s_delay_alu instid0(VALU_DEP_1) | instskip(NEXT) | instid1(VALU_DEP_1)
	v_fmac_f32_e32 v7, v30, v7
	v_mul_f32_e32 v30, v31, v7
	s_delay_alu instid0(VALU_DEP_1) | instskip(NEXT) | instid1(VALU_DEP_1)
	v_fma_f32 v32, v6, v30, v31
	v_fmac_f32_e32 v30, v32, v7
	s_delay_alu instid0(VALU_DEP_1) | instskip(NEXT) | instid1(VALU_DEP_1)
	v_fmac_f32_e32 v31, v6, v30
	v_div_fmas_f32 v6, v31, v7, v30
	s_delay_alu instid0(VALU_DEP_1) | instskip(NEXT) | instid1(VALU_DEP_1)
	v_div_fixup_f32 v6, v6, v9, v8
	v_fma_f32 v7, v8, v6, v9
	s_delay_alu instid0(VALU_DEP_1) | instskip(SKIP_1) | instid1(VALU_DEP_2)
	v_div_scale_f32 v30, null, v7, v7, 1.0
	v_div_scale_f32 v33, vcc_lo, 1.0, v7, 1.0
	v_rcp_f32_e32 v31, v30
	v_nop
	v_xor_b32_e32 v30, 0x80000000, v30
	s_delay_alu instid0(TRANS32_DEP_1) | instid1(VALU_DEP_1)
	v_fma_f32 v32, v30, v31, 1.0
	s_delay_alu instid0(VALU_DEP_1) | instskip(NEXT) | instid1(VALU_DEP_1)
	v_fmac_f32_e32 v31, v32, v31
	v_mul_f32_e32 v32, v33, v31
	s_delay_alu instid0(VALU_DEP_1) | instskip(NEXT) | instid1(VALU_DEP_1)
	v_fma_f32 v34, v30, v32, v33
	v_fmac_f32_e32 v32, v34, v31
	s_delay_alu instid0(VALU_DEP_1) | instskip(NEXT) | instid1(VALU_DEP_1)
	v_fmac_f32_e32 v33, v30, v32
	v_div_fmas_f32 v30, v33, v31, v32
	v_fma_f32 v31, v6, v10, v11
	s_delay_alu instid0(VALU_DEP_2) | instskip(SKIP_1) | instid1(VALU_DEP_1)
	v_div_fixup_f32 v7, v30, v7, 1.0
	v_fma_f32 v30, v6, v11, -v10
	v_dual_mul_f32 v6, v31, v7 :: v_dual_mul_f32 v7, v30, v7
.LBB147_66:                             ;   in Loop: Header=BB147_57 Depth=2
	s_and_not1_b32 vcc_lo, exec_lo, s50
	s_cbranch_vccnz .LBB147_68
; %bb.67:                               ;   in Loop: Header=BB147_57 Depth=2
	v_div_scale_f32 v6, null, v8, v8, v9
	v_div_scale_f32 v31, vcc_lo, v9, v8, v9
	s_delay_alu instid0(VALU_DEP_2)
	v_rcp_f32_e32 v7, v6
	v_nop
	v_xor_b32_e32 v6, 0x80000000, v6
	s_delay_alu instid0(TRANS32_DEP_1) | instid1(VALU_DEP_1)
	v_fma_f32 v30, v6, v7, 1.0
	s_delay_alu instid0(VALU_DEP_1) | instskip(NEXT) | instid1(VALU_DEP_1)
	v_fmac_f32_e32 v7, v30, v7
	v_mul_f32_e32 v30, v31, v7
	s_delay_alu instid0(VALU_DEP_1) | instskip(NEXT) | instid1(VALU_DEP_1)
	v_fma_f32 v32, v6, v30, v31
	v_fmac_f32_e32 v30, v32, v7
	s_delay_alu instid0(VALU_DEP_1) | instskip(NEXT) | instid1(VALU_DEP_1)
	v_fmac_f32_e32 v31, v6, v30
	v_div_fmas_f32 v6, v31, v7, v30
	s_delay_alu instid0(VALU_DEP_1) | instskip(NEXT) | instid1(VALU_DEP_1)
	v_div_fixup_f32 v6, v6, v8, v9
	v_fmac_f32_e32 v8, v9, v6
	s_delay_alu instid0(VALU_DEP_1) | instskip(SKIP_1) | instid1(VALU_DEP_2)
	v_div_scale_f32 v7, null, v8, v8, 1.0
	v_div_scale_f32 v31, vcc_lo, 1.0, v8, 1.0
	v_rcp_f32_e32 v9, v7
	v_nop
	v_xor_b32_e32 v7, 0x80000000, v7
	s_delay_alu instid0(TRANS32_DEP_1) | instid1(VALU_DEP_1)
	v_fma_f32 v30, v7, v9, 1.0
	s_delay_alu instid0(VALU_DEP_1) | instskip(NEXT) | instid1(VALU_DEP_1)
	v_fmac_f32_e32 v9, v30, v9
	v_mul_f32_e32 v30, v31, v9
	s_delay_alu instid0(VALU_DEP_1) | instskip(NEXT) | instid1(VALU_DEP_1)
	v_fma_f32 v32, v7, v30, v31
	v_fmac_f32_e32 v30, v32, v9
	s_delay_alu instid0(VALU_DEP_1) | instskip(NEXT) | instid1(VALU_DEP_1)
	v_fmac_f32_e32 v31, v7, v30
	v_div_fmas_f32 v7, v31, v9, v30
	v_fma_f32 v9, v6, v11, v10
	s_delay_alu instid0(VALU_DEP_2) | instskip(NEXT) | instid1(VALU_DEP_1)
	v_div_fixup_f32 v7, v7, v8, 1.0
	v_dual_fma_f32 v8, -v6, v10, v11 :: v_dual_mul_f32 v6, v9, v7
	s_delay_alu instid0(VALU_DEP_1)
	v_mul_f32_e32 v7, v8, v7
.LBB147_68:                             ;   in Loop: Header=BB147_57 Depth=2
	s_add_co_i32 s52, s35, -16
	s_add_co_i32 s50, s18, -1
	v_dual_mov_b32 v8, s52 :: v_dual_mov_b32 v32, v5
	s_add_co_i32 s51, s18, -2
	s_lshl_b32 s50, s50, 3
	s_mov_b32 s52, -1
	ds_load_b64 v[10:11], v8
	s_sub_co_i32 s50, s49, s50
	s_lshl_b32 s49, s51, 3
	v_mov_b32_e32 v34, v7
	s_add_co_i32 s51, s50, s49
	ds_store_b64 v29, v[6:7]
	v_mov_b32_e32 v8, s51
	s_add_co_i32 s51, s35, 0xffffff30
	ds_load_b64 v[30:31], v8
	s_wait_dscnt 0x2
	v_pk_mul_f32 v[32:33], v[32:33], v[10:11] op_sel_hi:[0,1]
	s_delay_alu instid0(VALU_DEP_1) | instskip(SKIP_2) | instid1(VALU_DEP_3)
	v_pk_fma_f32 v[36:37], v[4:5], v[10:11], v[32:33] op_sel:[0,0,1] op_sel_hi:[0,1,0]
	v_mov_b32_e32 v8, s51
	v_pk_fma_f32 v[10:11], v[4:5], v[10:11], v[32:33] op_sel:[0,0,1] op_sel_hi:[1,1,0] neg_lo:[0,0,1] neg_hi:[0,0,1]
	v_mov_b32_e32 v11, v37
	ds_load_b64 v[8:9], v8
	s_wait_dscnt 0x1
	v_pk_mul_f32 v[34:35], v[34:35], v[30:31] op_sel_hi:[0,1]
	v_pk_add_f32 v[2:3], v[2:3], v[10:11] neg_lo:[0,1] neg_hi:[0,1]
	s_delay_alu instid0(VALU_DEP_2) | instskip(SKIP_1) | instid1(VALU_DEP_2)
	v_pk_fma_f32 v[32:33], v[6:7], v[30:31], v[34:35] op_sel:[0,0,1] op_sel_hi:[0,1,0]
	v_pk_fma_f32 v[10:11], v[6:7], v[30:31], v[34:35] op_sel:[0,0,1] op_sel_hi:[1,1,0] neg_lo:[0,0,1] neg_hi:[0,0,1]
	v_mov_b32_e32 v11, v33
	s_delay_alu instid0(VALU_DEP_1) | instskip(SKIP_3) | instid1(VALU_DEP_1)
	v_pk_add_f32 v[2:3], v[2:3], v[10:11] neg_lo:[0,1] neg_hi:[0,1]
                                        ; implicit-def: $vgpr10_vgpr11
	s_wait_dscnt 0x0
	v_and_b32_e32 v32, 0x7fffffff, v8
	v_and_b32_e32 v36, 0x7fffffff, v9
	v_cmp_ngt_f32_e32 vcc_lo, v32, v36
	s_cbranch_vccz .LBB147_70
; %bb.69:                               ;   in Loop: Header=BB147_57 Depth=2
	v_div_scale_f32 v10, null, v9, v9, v8
	v_div_scale_f32 v30, vcc_lo, v8, v9, v8
	s_mov_b32 s52, 0
	v_rcp_f32_e32 v11, v10
	v_nop
	v_xor_b32_e32 v10, 0x80000000, v10
	s_delay_alu instid0(TRANS32_DEP_1) | instid1(VALU_DEP_1)
	v_fma_f32 v29, v10, v11, 1.0
	s_delay_alu instid0(VALU_DEP_1) | instskip(NEXT) | instid1(VALU_DEP_1)
	v_fmac_f32_e32 v11, v29, v11
	v_mul_f32_e32 v29, v30, v11
	s_delay_alu instid0(VALU_DEP_1) | instskip(NEXT) | instid1(VALU_DEP_1)
	v_fma_f32 v31, v10, v29, v30
	v_fmac_f32_e32 v29, v31, v11
	s_delay_alu instid0(VALU_DEP_1) | instskip(NEXT) | instid1(VALU_DEP_1)
	v_fmac_f32_e32 v30, v10, v29
	v_div_fmas_f32 v10, v30, v11, v29
	s_delay_alu instid0(VALU_DEP_1) | instskip(NEXT) | instid1(VALU_DEP_1)
	v_div_fixup_f32 v10, v10, v9, v8
	v_fma_f32 v11, v8, v10, v9
	s_delay_alu instid0(VALU_DEP_1) | instskip(SKIP_1) | instid1(VALU_DEP_2)
	v_div_scale_f32 v29, null, v11, v11, 1.0
	v_div_scale_f32 v32, vcc_lo, 1.0, v11, 1.0
	v_rcp_f32_e32 v31, v29
	v_nop
	v_xor_b32_e32 v29, 0x80000000, v29
	s_delay_alu instid0(TRANS32_DEP_1) | instid1(VALU_DEP_1)
	v_fma_f32 v30, v29, v31, 1.0
	s_delay_alu instid0(VALU_DEP_1) | instskip(NEXT) | instid1(VALU_DEP_1)
	v_fmac_f32_e32 v31, v30, v31
	v_mul_f32_e32 v33, v32, v31
	s_delay_alu instid0(VALU_DEP_1) | instskip(NEXT) | instid1(VALU_DEP_1)
	v_fma_f32 v30, v29, v33, v32
	v_dual_fmac_f32 v33, v30, v31 :: v_dual_mov_b32 v30, v3
	s_delay_alu instid0(VALU_DEP_1) | instskip(NEXT) | instid1(VALU_DEP_1)
	v_fmac_f32_e32 v32, v29, v33
	v_div_fmas_f32 v29, v32, v31, v33
	s_delay_alu instid0(VALU_DEP_3) | instskip(NEXT) | instid1(VALU_DEP_2)
	v_pk_fma_f32 v[30:31], v[10:11], v[2:3], v[30:31]
	v_div_fixup_f32 v31, v29, v11, 1.0
	s_delay_alu instid0(VALU_DEP_1) | instskip(NEXT) | instid1(VALU_DEP_1)
	v_dual_fma_f32 v11, v10, v3, -v2 :: v_dual_mov_b32 v10, v31
	v_pk_mul_f32 v[10:11], v[30:31], v[10:11]
.LBB147_70:                             ;   in Loop: Header=BB147_57 Depth=2
	s_and_not1_b32 vcc_lo, exec_lo, s52
	s_cbranch_vccnz .LBB147_72
; %bb.71:                               ;   in Loop: Header=BB147_57 Depth=2
	v_div_scale_f32 v10, null, v8, v8, v9
	v_div_scale_f32 v30, vcc_lo, v9, v8, v9
	s_delay_alu instid0(VALU_DEP_2)
	v_rcp_f32_e32 v11, v10
	v_nop
	v_xor_b32_e32 v10, 0x80000000, v10
	s_delay_alu instid0(TRANS32_DEP_1) | instid1(VALU_DEP_1)
	v_fma_f32 v29, v10, v11, 1.0
	s_delay_alu instid0(VALU_DEP_1) | instskip(NEXT) | instid1(VALU_DEP_1)
	v_fmac_f32_e32 v11, v29, v11
	v_mul_f32_e32 v29, v30, v11
	s_delay_alu instid0(VALU_DEP_1) | instskip(NEXT) | instid1(VALU_DEP_1)
	v_fma_f32 v31, v10, v29, v30
	v_fmac_f32_e32 v29, v31, v11
	s_delay_alu instid0(VALU_DEP_1) | instskip(NEXT) | instid1(VALU_DEP_1)
	v_fmac_f32_e32 v30, v10, v29
	v_div_fmas_f32 v10, v30, v11, v29
	s_delay_alu instid0(VALU_DEP_1) | instskip(NEXT) | instid1(VALU_DEP_1)
	v_div_fixup_f32 v10, v10, v8, v9
	v_fmac_f32_e32 v8, v9, v10
	s_delay_alu instid0(VALU_DEP_1) | instskip(SKIP_1) | instid1(VALU_DEP_2)
	v_div_scale_f32 v9, null, v8, v8, 1.0
	v_div_scale_f32 v30, vcc_lo, 1.0, v8, 1.0
	v_rcp_f32_e32 v11, v9
	v_nop
	v_xor_b32_e32 v9, 0x80000000, v9
	s_delay_alu instid0(TRANS32_DEP_1) | instid1(VALU_DEP_1)
	v_fma_f32 v29, v9, v11, 1.0
	s_delay_alu instid0(VALU_DEP_1) | instskip(NEXT) | instid1(VALU_DEP_1)
	v_fmac_f32_e32 v11, v29, v11
	v_mul_f32_e32 v29, v30, v11
	s_delay_alu instid0(VALU_DEP_1) | instskip(NEXT) | instid1(VALU_DEP_1)
	v_fma_f32 v31, v9, v29, v30
	v_fmac_f32_e32 v29, v31, v11
	s_delay_alu instid0(VALU_DEP_1) | instskip(NEXT) | instid1(VALU_DEP_1)
	v_fmac_f32_e32 v30, v9, v29
	v_div_fmas_f32 v9, v30, v11, v29
	v_pk_fma_f32 v[30:31], v[10:11], v[2:3], v[2:3] op_sel:[0,1,0] op_sel_hi:[0,0,1] neg_lo:[1,0,0] neg_hi:[1,0,0]
	v_pk_fma_f32 v[2:3], v[10:11], v[2:3], v[2:3] op_sel:[0,1,0] op_sel_hi:[1,0,1]
	s_delay_alu instid0(VALU_DEP_3) | instskip(NEXT) | instid1(VALU_DEP_3)
	v_div_fixup_f32 v8, v9, v8, 1.0
	v_mov_b32_e32 v3, v31
	s_delay_alu instid0(VALU_DEP_1)
	v_pk_mul_f32 v[10:11], v[2:3], v[8:9] op_sel_hi:[1,0]
.LBB147_72:                             ;   in Loop: Header=BB147_57 Depth=2
	s_sub_co_i32 s35, s35, 24
	s_lshl_b32 s34, s34, 3
	v_mov_b32_e32 v2, s35
	s_add_co_i32 s35, s50, s34
	s_add_co_i32 s31, s31, s30
	v_mov_b32_e32 v3, s35
	s_sub_co_i32 s35, s51, s49
	ds_load_b64 v[8:9], v2
	s_add_co_i32 s34, s35, s34
	v_mov_b32_e32 v34, v5
	ds_load_b64 v[30:31], v3
	v_mov_b32_e32 v2, s34
	s_sub_co_i32 s30, s31, 24
	v_dual_mov_b32 v37, v7 :: v_dual_mov_b32 v35, v5
	v_dual_mov_b32 v5, v4 :: v_dual_mov_b32 v36, v7
	ds_load_b64 v[32:33], v2
	v_dual_mov_b32 v2, s30 :: v_dual_mov_b32 v7, v6
	s_mov_b32 s30, -1
	ds_store_b64 v25, v[10:11]
	ds_load_b64 v[2:3], v2
	s_wait_dscnt 0x4
	v_pk_mul_f32 v[34:35], v[34:35], v[8:9]
	s_wait_dscnt 0x3
	v_pk_mul_f32 v[36:37], v[36:37], v[30:31]
	s_delay_alu instid0(VALU_DEP_2) | instskip(SKIP_1) | instid1(VALU_DEP_3)
	v_pk_fma_f32 v[38:39], v[4:5], v[8:9], v[34:35] op_sel:[0,0,1] op_sel_hi:[1,1,0]
	v_pk_fma_f32 v[4:5], v[4:5], v[8:9], v[34:35] op_sel:[0,0,1] op_sel_hi:[1,1,0] neg_lo:[0,0,1] neg_hi:[0,0,1]
	v_pk_fma_f32 v[8:9], v[6:7], v[30:31], v[36:37] op_sel:[0,0,1] op_sel_hi:[1,1,0]
	v_pk_fma_f32 v[6:7], v[6:7], v[30:31], v[36:37] op_sel:[0,0,1] op_sel_hi:[1,1,0] neg_lo:[0,0,1] neg_hi:[0,0,1]
	s_delay_alu instid0(VALU_DEP_4) | instskip(SKIP_3) | instid1(VALU_DEP_3)
	v_mov_b32_e32 v5, v39
	s_wait_dscnt 0x2
	v_pk_mul_f32 v[34:35], v[10:11], v[32:33] op_sel:[1,1] op_sel_hi:[1,0]
	v_mov_b32_e32 v7, v9
	v_pk_add_f32 v[0:1], v[0:1], v[4:5] neg_lo:[0,1] neg_hi:[0,1]
	s_delay_alu instid0(VALU_DEP_3)
	v_pk_fma_f32 v[4:5], v[10:11], v[32:33], v[34:35] op_sel_hi:[0,1,1]
	s_wait_dscnt 0x0
	v_and_b32_e32 v4, 0x7fffffff, v2
	v_and_b32_e32 v29, 0x7fffffff, v3
	v_pk_fma_f32 v[8:9], v[10:11], v[32:33], v[34:35] neg_lo:[0,0,1] neg_hi:[0,0,1]
	v_pk_add_f32 v[0:1], v[0:1], v[6:7] neg_lo:[0,1] neg_hi:[0,1]
	v_mov_b32_e32 v9, v5
	s_delay_alu instid0(VALU_DEP_4) | instskip(NEXT) | instid1(VALU_DEP_2)
	v_cmp_ngt_f32_e32 vcc_lo, v4, v29
                                        ; implicit-def: $vgpr4_vgpr5
	v_pk_add_f32 v[0:1], v[0:1], v[8:9] neg_lo:[0,1] neg_hi:[0,1]
	s_cbranch_vccz .LBB147_74
; %bb.73:                               ;   in Loop: Header=BB147_57 Depth=2
	v_div_scale_f32 v4, null, v3, v3, v2
	v_div_scale_f32 v7, vcc_lo, v2, v3, v2
	s_mov_b32 s30, 0
	v_rcp_f32_e32 v5, v4
	v_nop
	v_xor_b32_e32 v4, 0x80000000, v4
	s_delay_alu instid0(TRANS32_DEP_1) | instid1(VALU_DEP_1)
	v_fma_f32 v6, v4, v5, 1.0
	s_delay_alu instid0(VALU_DEP_1) | instskip(NEXT) | instid1(VALU_DEP_1)
	v_fmac_f32_e32 v5, v6, v5
	v_mul_f32_e32 v6, v7, v5
	s_delay_alu instid0(VALU_DEP_1) | instskip(NEXT) | instid1(VALU_DEP_1)
	v_fma_f32 v8, v4, v6, v7
	v_fmac_f32_e32 v6, v8, v5
	s_delay_alu instid0(VALU_DEP_1) | instskip(NEXT) | instid1(VALU_DEP_1)
	v_fmac_f32_e32 v7, v4, v6
	v_div_fmas_f32 v4, v7, v5, v6
	s_delay_alu instid0(VALU_DEP_1) | instskip(NEXT) | instid1(VALU_DEP_1)
	v_div_fixup_f32 v4, v4, v3, v2
	v_fma_f32 v5, v2, v4, v3
	s_delay_alu instid0(VALU_DEP_1) | instskip(NEXT) | instid1(VALU_DEP_1)
	v_div_scale_f32 v6, null, v5, v5, 1.0
	v_rcp_f32_e32 v7, v6
	v_nop
	v_xor_b32_e32 v6, 0x80000000, v6
	s_delay_alu instid0(TRANS32_DEP_1) | instid1(VALU_DEP_1)
	v_fma_f32 v8, v6, v7, 1.0
	s_delay_alu instid0(VALU_DEP_1) | instskip(SKIP_1) | instid1(VALU_DEP_1)
	v_fmac_f32_e32 v7, v8, v7
	v_div_scale_f32 v8, vcc_lo, 1.0, v5, 1.0
	v_mul_f32_e32 v9, v8, v7
	s_delay_alu instid0(VALU_DEP_1) | instskip(NEXT) | instid1(VALU_DEP_1)
	v_fma_f32 v10, v6, v9, v8
	v_fmac_f32_e32 v9, v10, v7
	s_delay_alu instid0(VALU_DEP_1) | instskip(NEXT) | instid1(VALU_DEP_1)
	v_dual_fmac_f32 v8, v6, v9 :: v_dual_mov_b32 v6, v1
	v_div_fmas_f32 v8, v8, v7, v9
	s_delay_alu instid0(VALU_DEP_2) | instskip(NEXT) | instid1(VALU_DEP_2)
	v_pk_fma_f32 v[6:7], v[4:5], v[0:1], v[6:7]
	v_div_fixup_f32 v7, v8, v5, 1.0
	s_delay_alu instid0(VALU_DEP_1) | instskip(NEXT) | instid1(VALU_DEP_1)
	v_dual_fma_f32 v5, v4, v1, -v0 :: v_dual_mov_b32 v4, v7
	v_pk_mul_f32 v[4:5], v[6:7], v[4:5]
.LBB147_74:                             ;   in Loop: Header=BB147_57 Depth=2
	s_and_not1_b32 vcc_lo, exec_lo, s30
	s_cbranch_vccnz .LBB147_76
; %bb.75:                               ;   in Loop: Header=BB147_57 Depth=2
	v_div_scale_f32 v4, null, v2, v2, v3
	v_div_scale_f32 v7, vcc_lo, v3, v2, v3
	s_delay_alu instid0(VALU_DEP_2)
	v_rcp_f32_e32 v5, v4
	v_nop
	v_xor_b32_e32 v4, 0x80000000, v4
	s_delay_alu instid0(TRANS32_DEP_1) | instid1(VALU_DEP_1)
	v_fma_f32 v6, v4, v5, 1.0
	s_delay_alu instid0(VALU_DEP_1) | instskip(NEXT) | instid1(VALU_DEP_1)
	v_fmac_f32_e32 v5, v6, v5
	v_mul_f32_e32 v6, v7, v5
	s_delay_alu instid0(VALU_DEP_1) | instskip(NEXT) | instid1(VALU_DEP_1)
	v_fma_f32 v8, v4, v6, v7
	v_fmac_f32_e32 v6, v8, v5
	s_delay_alu instid0(VALU_DEP_1) | instskip(NEXT) | instid1(VALU_DEP_1)
	v_fmac_f32_e32 v7, v4, v6
	v_div_fmas_f32 v4, v7, v5, v6
	s_delay_alu instid0(VALU_DEP_1) | instskip(NEXT) | instid1(VALU_DEP_1)
	v_div_fixup_f32 v4, v4, v2, v3
	v_fmac_f32_e32 v2, v3, v4
	s_delay_alu instid0(VALU_DEP_1) | instskip(SKIP_1) | instid1(VALU_DEP_2)
	v_div_scale_f32 v3, null, v2, v2, 1.0
	v_div_scale_f32 v7, vcc_lo, 1.0, v2, 1.0
	v_rcp_f32_e32 v5, v3
	v_nop
	v_xor_b32_e32 v3, 0x80000000, v3
	s_delay_alu instid0(TRANS32_DEP_1) | instid1(VALU_DEP_1)
	v_fma_f32 v6, v3, v5, 1.0
	s_delay_alu instid0(VALU_DEP_1) | instskip(NEXT) | instid1(VALU_DEP_1)
	v_fmac_f32_e32 v5, v6, v5
	v_mul_f32_e32 v6, v7, v5
	s_delay_alu instid0(VALU_DEP_1) | instskip(NEXT) | instid1(VALU_DEP_1)
	v_fma_f32 v8, v3, v6, v7
	v_fmac_f32_e32 v6, v8, v5
	s_delay_alu instid0(VALU_DEP_1) | instskip(NEXT) | instid1(VALU_DEP_1)
	v_fmac_f32_e32 v7, v3, v6
	v_div_fmas_f32 v3, v7, v5, v6
	v_pk_fma_f32 v[6:7], v[4:5], v[0:1], v[0:1] op_sel:[0,1,0] op_sel_hi:[0,0,1] neg_lo:[1,0,0] neg_hi:[1,0,0]
	v_pk_fma_f32 v[0:1], v[4:5], v[0:1], v[0:1] op_sel:[0,1,0] op_sel_hi:[1,0,1]
	s_delay_alu instid0(VALU_DEP_3) | instskip(NEXT) | instid1(VALU_DEP_3)
	v_div_fixup_f32 v2, v3, v2, 1.0
	v_mov_b32_e32 v1, v7
	s_delay_alu instid0(VALU_DEP_1)
	v_pk_mul_f32 v[4:5], v[0:1], v[2:3] op_sel_hi:[1,0]
.LBB147_76:                             ;   in Loop: Header=BB147_57 Depth=2
	s_add_co_i32 s30, s18, -4
	s_sub_co_i32 s3, s3, 32
	s_cmp_lt_i32 s18, 7
	ds_store_b64 v24, v[4:5]
	s_cbranch_scc1 .LBB147_78
; %bb.77:                               ;   in Loop: Header=BB147_57 Depth=2
	s_mov_b32 s18, s30
	s_branch .LBB147_57
.LBB147_78:                             ;   in Loop: Header=BB147_3 Depth=1
	s_cmp_lt_i32 s30, 0
	s_cbranch_scc1 .LBB147_87
; %bb.79:                               ;   in Loop: Header=BB147_3 Depth=1
	s_lshl_b32 s3, s30, 3
	s_delay_alu instid0(SALU_CYCLE_1)
	s_add_co_i32 s3, s17, s3
	s_branch .LBB147_81
.LBB147_80:                             ;   in Loop: Header=BB147_81 Depth=2
	s_add_co_i32 s18, s30, -1
	s_add_co_i32 s3, s3, -8
	s_cmp_lt_i32 s30, 1
	s_mov_b32 s30, s18
	ds_store_b64 v6, v[4:5]
	s_cbranch_scc1 .LBB147_87
.LBB147_81:                             ;   Parent Loop BB147_3 Depth=1
                                        ; =>  This Loop Header: Depth=2
                                        ;       Child Loop BB147_82 Depth 3
	s_mul_i32 s18, s30, 0x60
	s_cmp_le_i32 s38, s30
	v_dual_add_nc_u32 v6, s18, v26 :: v_dual_mov_b32 v2, v13
	s_mov_b32 s31, s3
	s_mov_b32 s34, s38
	ds_load_b64 v[0:1], v6
	s_cbranch_scc1 .LBB147_83
.LBB147_82:                             ;   Parent Loop BB147_3 Depth=1
                                        ;     Parent Loop BB147_81 Depth=2
                                        ; =>    This Inner Loop Header: Depth=3
	v_mov_b32_e32 v3, s31
	s_add_co_i32 s34, s34, -1
	s_addk_co_i32 s31, 0xffa0
	s_cmp_le_i32 s34, s30
	ds_load_b64 v[4:5], v2
	ds_load_b64 v[8:9], v3
	v_add_nc_u32_e32 v2, 0xffffffa0, v2
	s_wait_dscnt 0x0
	v_pk_mul_f32 v[10:11], v[8:9], v[4:5] op_sel:[1,1] op_sel_hi:[0,1]
	s_delay_alu instid0(VALU_DEP_1) | instskip(SKIP_1) | instid1(VALU_DEP_2)
	v_pk_fma_f32 v[24:25], v[8:9], v[4:5], v[10:11] op_sel_hi:[1,0,1]
	v_pk_fma_f32 v[4:5], v[8:9], v[4:5], v[10:11] op_sel_hi:[1,0,1] neg_lo:[0,0,1] neg_hi:[0,0,1]
	v_mov_b32_e32 v5, v25
	s_delay_alu instid0(VALU_DEP_1)
	v_pk_add_f32 v[0:1], v[0:1], v[4:5] neg_lo:[0,1] neg_hi:[0,1]
	s_cbranch_scc0 .LBB147_82
.LBB147_83:                             ;   in Loop: Header=BB147_81 Depth=2
	s_lshl_b32 s31, s30, 3
	s_delay_alu instid0(SALU_CYCLE_1) | instskip(NEXT) | instid1(SALU_CYCLE_1)
	s_add_co_i32 s18, s31, s18
	v_mov_b32_e32 v2, s18
	s_mov_b32 s18, -1
	ds_load_b64 v[2:3], v2
	s_wait_dscnt 0x0
	v_and_b32_e32 v4, 0x7fffffff, v2
	v_and_b32_e32 v5, 0x7fffffff, v3
	s_delay_alu instid0(VALU_DEP_1)
	v_cmp_ngt_f32_e32 vcc_lo, v4, v5
                                        ; implicit-def: $vgpr4_vgpr5
	s_cbranch_vccz .LBB147_85
; %bb.84:                               ;   in Loop: Header=BB147_81 Depth=2
	v_div_scale_f32 v4, null, v3, v3, v2
	v_div_scale_f32 v8, vcc_lo, v2, v3, v2
	s_mov_b32 s18, 0
	v_rcp_f32_e32 v5, v4
	v_nop
	v_xor_b32_e32 v4, 0x80000000, v4
	s_delay_alu instid0(TRANS32_DEP_1) | instid1(VALU_DEP_1)
	v_fma_f32 v7, v4, v5, 1.0
	s_delay_alu instid0(VALU_DEP_1) | instskip(NEXT) | instid1(VALU_DEP_1)
	v_fmac_f32_e32 v5, v7, v5
	v_mul_f32_e32 v7, v8, v5
	s_delay_alu instid0(VALU_DEP_1) | instskip(NEXT) | instid1(VALU_DEP_1)
	v_fma_f32 v9, v4, v7, v8
	v_fmac_f32_e32 v7, v9, v5
	s_delay_alu instid0(VALU_DEP_1) | instskip(NEXT) | instid1(VALU_DEP_1)
	v_fmac_f32_e32 v8, v4, v7
	v_div_fmas_f32 v4, v8, v5, v7
	s_delay_alu instid0(VALU_DEP_1) | instskip(NEXT) | instid1(VALU_DEP_1)
	v_div_fixup_f32 v4, v4, v3, v2
	v_fma_f32 v7, v2, v4, v3
	s_delay_alu instid0(VALU_DEP_1) | instskip(SKIP_1) | instid1(VALU_DEP_2)
	v_div_scale_f32 v5, null, v7, v7, 1.0
	v_div_scale_f32 v10, vcc_lo, 1.0, v7, 1.0
	v_rcp_f32_e32 v8, v5
	v_nop
	v_xor_b32_e32 v5, 0x80000000, v5
	s_delay_alu instid0(TRANS32_DEP_1) | instid1(VALU_DEP_1)
	v_fma_f32 v9, v5, v8, 1.0
	s_delay_alu instid0(VALU_DEP_1) | instskip(NEXT) | instid1(VALU_DEP_1)
	v_fmac_f32_e32 v8, v9, v8
	v_mul_f32_e32 v9, v10, v8
	s_delay_alu instid0(VALU_DEP_1) | instskip(NEXT) | instid1(VALU_DEP_1)
	v_fma_f32 v11, v5, v9, v10
	v_fmac_f32_e32 v9, v11, v8
	s_delay_alu instid0(VALU_DEP_1) | instskip(NEXT) | instid1(VALU_DEP_1)
	v_fmac_f32_e32 v10, v5, v9
	v_div_fmas_f32 v10, v10, v8, v9
	v_pk_fma_f32 v[8:9], v[0:1], v[4:5], v[0:1] op_sel:[0,0,1] op_sel_hi:[1,0,0] neg_lo:[0,0,1] neg_hi:[0,0,1]
	v_pk_fma_f32 v[4:5], v[0:1], v[4:5], v[0:1] op_sel:[0,0,1] op_sel_hi:[1,0,0]
	s_delay_alu instid0(VALU_DEP_3) | instskip(NEXT) | instid1(VALU_DEP_3)
	v_div_fixup_f32 v8, v10, v7, 1.0
	v_mov_b32_e32 v5, v9
	s_delay_alu instid0(VALU_DEP_1)
	v_pk_mul_f32 v[4:5], v[4:5], v[8:9] op_sel_hi:[1,0]
.LBB147_85:                             ;   in Loop: Header=BB147_81 Depth=2
	s_and_not1_b32 vcc_lo, exec_lo, s18
	s_cbranch_vccnz .LBB147_80
; %bb.86:                               ;   in Loop: Header=BB147_81 Depth=2
	v_div_scale_f32 v4, null, v2, v2, v3
	v_div_scale_f32 v8, vcc_lo, v3, v2, v3
	s_delay_alu instid0(VALU_DEP_2)
	v_rcp_f32_e32 v5, v4
	v_nop
	v_xor_b32_e32 v4, 0x80000000, v4
	s_delay_alu instid0(TRANS32_DEP_1) | instid1(VALU_DEP_1)
	v_fma_f32 v7, v4, v5, 1.0
	s_delay_alu instid0(VALU_DEP_1) | instskip(NEXT) | instid1(VALU_DEP_1)
	v_fmac_f32_e32 v5, v7, v5
	v_mul_f32_e32 v7, v8, v5
	s_delay_alu instid0(VALU_DEP_1) | instskip(NEXT) | instid1(VALU_DEP_1)
	v_fma_f32 v9, v4, v7, v8
	v_fmac_f32_e32 v7, v9, v5
	s_delay_alu instid0(VALU_DEP_1) | instskip(NEXT) | instid1(VALU_DEP_1)
	v_fmac_f32_e32 v8, v4, v7
	v_div_fmas_f32 v4, v8, v5, v7
	s_delay_alu instid0(VALU_DEP_1) | instskip(NEXT) | instid1(VALU_DEP_1)
	v_div_fixup_f32 v4, v4, v2, v3
	v_fmac_f32_e32 v2, v3, v4
	s_delay_alu instid0(VALU_DEP_1) | instskip(SKIP_1) | instid1(VALU_DEP_2)
	v_div_scale_f32 v3, null, v2, v2, 1.0
	v_div_scale_f32 v8, vcc_lo, 1.0, v2, 1.0
	v_rcp_f32_e32 v5, v3
	v_nop
	v_xor_b32_e32 v3, 0x80000000, v3
	s_delay_alu instid0(TRANS32_DEP_1) | instid1(VALU_DEP_1)
	v_fma_f32 v7, v3, v5, 1.0
	s_delay_alu instid0(VALU_DEP_1) | instskip(NEXT) | instid1(VALU_DEP_1)
	v_fmac_f32_e32 v5, v7, v5
	v_mul_f32_e32 v7, v8, v5
	s_delay_alu instid0(VALU_DEP_1) | instskip(NEXT) | instid1(VALU_DEP_1)
	v_fma_f32 v9, v3, v7, v8
	v_fmac_f32_e32 v7, v9, v5
	s_delay_alu instid0(VALU_DEP_1) | instskip(NEXT) | instid1(VALU_DEP_1)
	v_fmac_f32_e32 v8, v3, v7
	v_div_fmas_f32 v3, v8, v5, v7
	v_pk_fma_f32 v[8:9], v[0:1], v[4:5], v[0:1] op_sel:[1,0,0] op_sel_hi:[0,0,1] neg_lo:[1,0,0] neg_hi:[1,0,0]
	v_pk_fma_f32 v[0:1], v[0:1], v[4:5], v[0:1] op_sel:[1,0,0] op_sel_hi:[0,0,1]
	s_delay_alu instid0(VALU_DEP_3) | instskip(NEXT) | instid1(VALU_DEP_3)
	v_div_fixup_f32 v2, v3, v2, 1.0
	v_mov_b32_e32 v1, v9
	s_delay_alu instid0(VALU_DEP_1)
	v_pk_mul_f32 v[4:5], v[0:1], v[2:3] op_sel_hi:[1,0]
	s_branch .LBB147_80
.LBB147_87:                             ;   in Loop: Header=BB147_3 Depth=1
	s_mov_b32 s3, 0
.LBB147_88:                             ;   in Loop: Header=BB147_3 Depth=1
	s_delay_alu instid0(SALU_CYCLE_1)
	s_and_not1_b32 vcc_lo, exec_lo, s3
	s_cbranch_vccnz .LBB147_119
; %bb.89:                               ;   in Loop: Header=BB147_3 Depth=1
	s_mov_b32 s30, s38
	s_and_not1_b32 vcc_lo, exec_lo, s42
	s_mov_b32 s3, s47
	s_mov_b32 s18, s38
	s_cbranch_vccnz .LBB147_110
.LBB147_90:                             ;   Parent Loop BB147_3 Depth=1
                                        ; =>  This Loop Header: Depth=2
                                        ;       Child Loop BB147_91 Depth 3
	s_mul_i32 s30, s18, 12
	s_cmp_le_i32 s38, s18
	v_lshl_add_u32 v30, s30, 3, v26
	s_mov_b32 s31, s3
	s_mov_b32 s34, s38
	s_delay_alu instid0(VALU_DEP_1)
	v_dual_mov_b32 v2, v13 :: v_dual_add_nc_u32 v29, 0xffffffa0, v30
	v_add_nc_u32_e32 v25, 0xffffff40, v30
	v_add_nc_u32_e32 v24, 0xfffffee0, v30
	ds_load_b64 v[0:1], v30
	ds_load_b64 v[10:11], v29
	;; [unrolled: 1-line block ×4, first 2 shown]
	s_cbranch_scc1 .LBB147_92
.LBB147_91:                             ;   Parent Loop BB147_3 Depth=1
                                        ;     Parent Loop BB147_90 Depth=2
                                        ; =>    This Inner Loop Header: Depth=3
	v_mov_b32_e32 v3, s31
	s_add_co_i32 s34, s34, -1
	s_add_co_i32 s31, s31, -8
	s_cmp_le_i32 s34, s18
	ds_load_b64 v[8:9], v2
	ds_load_2addr_b64 v[32:35], v3 offset1:12
	ds_load_2addr_b64 v[36:39], v3 offset0:24 offset1:36
	v_add_nc_u32_e32 v2, 0xffffffa0, v2
	s_wait_dscnt 0x1
	v_pk_mul_f32 v[40:41], v[34:35], v[8:9] op_sel:[0,1]
	s_wait_dscnt 0x0
	v_dual_mul_f32 v3, v39, v9 :: v_dual_mul_f32 v31, v38, v9
	v_dual_mul_f32 v44, v37, v9 :: v_dual_mul_f32 v45, v37, v8
	v_pk_mul_f32 v[42:43], v[32:33], v[8:9] op_sel:[0,1]
	s_delay_alu instid0(VALU_DEP_3) | instskip(NEXT) | instid1(VALU_DEP_3)
	v_fma_f32 v3, v38, v8, -v3
	v_dual_fmac_f32 v31, v39, v8 :: v_dual_fma_f32 v44, v36, v8, -v44
	s_delay_alu instid0(VALU_DEP_4) | instskip(SKIP_4) | instid1(VALU_DEP_4)
	v_fmac_f32_e32 v45, v36, v9
	v_pk_fma_f32 v[36:37], v[34:35], v[8:9], v[40:41] op_sel:[0,0,1] op_sel_hi:[1,0,0]
	v_pk_fma_f32 v[38:39], v[32:33], v[8:9], v[42:43] op_sel:[0,0,1] op_sel_hi:[1,0,0]
	v_pk_fma_f32 v[34:35], v[34:35], v[8:9], v[40:41] op_sel:[0,0,1] op_sel_hi:[1,1,0] neg_lo:[0,0,1] neg_hi:[0,0,1]
	v_pk_fma_f32 v[8:9], v[32:33], v[8:9], v[42:43] op_sel:[0,0,1] op_sel_hi:[1,1,0] neg_lo:[0,0,1] neg_hi:[0,0,1]
	v_dual_sub_f32 v0, v0, v3 :: v_dual_mov_b32 v35, v37
	s_delay_alu instid0(VALU_DEP_4) | instskip(SKIP_1) | instid1(VALU_DEP_3)
	v_dual_mov_b32 v9, v39 :: v_dual_sub_f32 v1, v1, v31
	v_dual_sub_f32 v10, v10, v44 :: v_dual_sub_f32 v11, v11, v45
	v_pk_add_f32 v[6:7], v[6:7], v[34:35] neg_lo:[0,1] neg_hi:[0,1]
	s_delay_alu instid0(VALU_DEP_3)
	v_pk_add_f32 v[4:5], v[4:5], v[8:9] neg_lo:[0,1] neg_hi:[0,1]
	s_cbranch_scc0 .LBB147_91
.LBB147_92:                             ;   in Loop: Header=BB147_90 Depth=2
	s_mul_i32 s31, s18, 0x68
	s_delay_alu instid0(SALU_CYCLE_1)
	v_mov_b32_e32 v2, s31
	s_mov_b32 s31, -1
	ds_load_b64 v[2:3], v2
	s_wait_dscnt 0x0
	v_and_b32_e32 v8, 0x7fffffff, v2
	v_and_b32_e32 v9, 0x7fffffff, v3
	s_delay_alu instid0(VALU_DEP_1)
	v_cmp_ngt_f32_e32 vcc_lo, v8, v9
                                        ; implicit-def: $vgpr9
	s_cbranch_vccz .LBB147_94
; %bb.93:                               ;   in Loop: Header=BB147_90 Depth=2
	v_div_scale_f32 v8, null, v3, v3, v2
	v_div_scale_f32 v32, vcc_lo, v2, v3, v2
	s_mov_b32 s31, 0
	v_rcp_f32_e32 v9, v8
	v_nop
	v_xor_b32_e32 v8, 0x80000000, v8
	s_delay_alu instid0(TRANS32_DEP_1) | instid1(VALU_DEP_1)
	v_fma_f32 v31, v8, v9, 1.0
	s_delay_alu instid0(VALU_DEP_1) | instskip(NEXT) | instid1(VALU_DEP_1)
	v_fmac_f32_e32 v9, v31, v9
	v_mul_f32_e32 v31, v32, v9
	s_delay_alu instid0(VALU_DEP_1) | instskip(NEXT) | instid1(VALU_DEP_1)
	v_fma_f32 v33, v8, v31, v32
	v_fmac_f32_e32 v31, v33, v9
	s_delay_alu instid0(VALU_DEP_1) | instskip(NEXT) | instid1(VALU_DEP_1)
	v_fmac_f32_e32 v32, v8, v31
	v_div_fmas_f32 v8, v32, v9, v31
	s_delay_alu instid0(VALU_DEP_1) | instskip(NEXT) | instid1(VALU_DEP_1)
	v_div_fixup_f32 v8, v8, v3, v2
	v_fma_f32 v9, v2, v8, v3
	s_delay_alu instid0(VALU_DEP_1) | instskip(SKIP_1) | instid1(VALU_DEP_2)
	v_div_scale_f32 v31, null, v9, v9, 1.0
	v_div_scale_f32 v34, vcc_lo, 1.0, v9, 1.0
	v_rcp_f32_e32 v32, v31
	v_nop
	v_xor_b32_e32 v31, 0x80000000, v31
	s_delay_alu instid0(TRANS32_DEP_1) | instid1(VALU_DEP_1)
	v_fma_f32 v33, v31, v32, 1.0
	s_delay_alu instid0(VALU_DEP_1) | instskip(NEXT) | instid1(VALU_DEP_1)
	v_fmac_f32_e32 v32, v33, v32
	v_mul_f32_e32 v33, v34, v32
	s_delay_alu instid0(VALU_DEP_1) | instskip(NEXT) | instid1(VALU_DEP_1)
	v_fma_f32 v35, v31, v33, v34
	v_fmac_f32_e32 v33, v35, v32
	s_delay_alu instid0(VALU_DEP_1) | instskip(NEXT) | instid1(VALU_DEP_1)
	v_fmac_f32_e32 v34, v31, v33
	v_div_fmas_f32 v31, v34, v32, v33
	v_fma_f32 v32, v0, v8, v1
	s_delay_alu instid0(VALU_DEP_2) | instskip(NEXT) | instid1(VALU_DEP_1)
	v_div_fixup_f32 v9, v31, v9, 1.0
	v_dual_fma_f32 v31, v1, v8, -v0 :: v_dual_mul_f32 v8, v32, v9
	s_delay_alu instid0(VALU_DEP_1)
	v_mul_f32_e32 v9, v31, v9
.LBB147_94:                             ;   in Loop: Header=BB147_90 Depth=2
	s_and_not1_b32 vcc_lo, exec_lo, s31
	s_cbranch_vccnz .LBB147_96
; %bb.95:                               ;   in Loop: Header=BB147_90 Depth=2
	v_div_scale_f32 v8, null, v2, v2, v3
	v_div_scale_f32 v32, vcc_lo, v3, v2, v3
	s_delay_alu instid0(VALU_DEP_2)
	v_rcp_f32_e32 v9, v8
	v_nop
	v_xor_b32_e32 v8, 0x80000000, v8
	s_delay_alu instid0(TRANS32_DEP_1) | instid1(VALU_DEP_1)
	v_fma_f32 v31, v8, v9, 1.0
	s_delay_alu instid0(VALU_DEP_1) | instskip(NEXT) | instid1(VALU_DEP_1)
	v_fmac_f32_e32 v9, v31, v9
	v_mul_f32_e32 v31, v32, v9
	s_delay_alu instid0(VALU_DEP_1) | instskip(NEXT) | instid1(VALU_DEP_1)
	v_fma_f32 v33, v8, v31, v32
	v_fmac_f32_e32 v31, v33, v9
	s_delay_alu instid0(VALU_DEP_1) | instskip(NEXT) | instid1(VALU_DEP_1)
	v_fmac_f32_e32 v32, v8, v31
	v_div_fmas_f32 v8, v32, v9, v31
	s_delay_alu instid0(VALU_DEP_1) | instskip(NEXT) | instid1(VALU_DEP_1)
	v_div_fixup_f32 v8, v8, v2, v3
	v_fmac_f32_e32 v2, v3, v8
	s_delay_alu instid0(VALU_DEP_1) | instskip(SKIP_1) | instid1(VALU_DEP_2)
	v_div_scale_f32 v3, null, v2, v2, 1.0
	v_div_scale_f32 v32, vcc_lo, 1.0, v2, 1.0
	v_rcp_f32_e32 v9, v3
	v_nop
	v_xor_b32_e32 v3, 0x80000000, v3
	s_delay_alu instid0(TRANS32_DEP_1) | instid1(VALU_DEP_1)
	v_fma_f32 v31, v3, v9, 1.0
	s_delay_alu instid0(VALU_DEP_1) | instskip(NEXT) | instid1(VALU_DEP_1)
	v_fmac_f32_e32 v9, v31, v9
	v_mul_f32_e32 v31, v32, v9
	s_delay_alu instid0(VALU_DEP_1) | instskip(NEXT) | instid1(VALU_DEP_1)
	v_fma_f32 v33, v3, v31, v32
	v_fmac_f32_e32 v31, v33, v9
	s_delay_alu instid0(VALU_DEP_1) | instskip(NEXT) | instid1(VALU_DEP_1)
	v_fmac_f32_e32 v32, v3, v31
	v_div_fmas_f32 v3, v32, v9, v31
	v_dual_fma_f32 v9, v1, v8, v0 :: v_dual_fma_f32 v0, -v0, v8, v1
	s_delay_alu instid0(VALU_DEP_2) | instskip(NEXT) | instid1(VALU_DEP_1)
	v_div_fixup_f32 v2, v3, v2, 1.0
	v_dual_mul_f32 v8, v9, v2 :: v_dual_mul_f32 v9, v0, v2
.LBB147_96:                             ;   in Loop: Header=BB147_90 Depth=2
	s_lshl_b32 s31, s30, 3
	s_lshl_b32 s30, s18, 3
	s_addk_co_i32 s31, 0xffa0
	ds_store_b64 v30, v[8:9]
	s_add_co_i32 s34, s30, s31
	s_delay_alu instid0(SALU_CYCLE_1) | instskip(NEXT) | instid1(SALU_CYCLE_1)
	s_add_co_i32 s34, s34, -8
	v_mov_b32_e32 v0, s34
	s_mov_b32 s34, -1
	ds_load_2addr_b64 v[0:3], v0 offset1:1
	s_wait_dscnt 0x0
	v_dual_mul_f32 v31, v9, v3 :: v_dual_mul_f32 v3, v8, v3
	v_and_b32_e32 v32, 0x7fffffff, v0
	v_and_b32_e32 v33, 0x7fffffff, v1
	s_delay_alu instid0(VALU_DEP_3) | instskip(NEXT) | instid1(VALU_DEP_4)
	v_fma_f32 v31, v8, v2, -v31
	v_fmac_f32_e32 v3, v9, v2
	s_delay_alu instid0(VALU_DEP_3) | instskip(NEXT) | instid1(VALU_DEP_3)
	v_cmp_ngt_f32_e32 vcc_lo, v32, v33
	v_sub_f32_e32 v2, v10, v31
	s_delay_alu instid0(VALU_DEP_3)
	v_sub_f32_e32 v3, v11, v3
                                        ; implicit-def: $vgpr11
	s_cbranch_vccz .LBB147_98
; %bb.97:                               ;   in Loop: Header=BB147_90 Depth=2
	v_div_scale_f32 v10, null, v1, v1, v0
	v_div_scale_f32 v31, vcc_lo, v0, v1, v0
	s_mov_b32 s34, 0
	v_rcp_f32_e32 v11, v10
	v_nop
	v_xor_b32_e32 v10, 0x80000000, v10
	s_delay_alu instid0(TRANS32_DEP_1) | instid1(VALU_DEP_1)
	v_fma_f32 v30, v10, v11, 1.0
	s_delay_alu instid0(VALU_DEP_1) | instskip(NEXT) | instid1(VALU_DEP_1)
	v_fmac_f32_e32 v11, v30, v11
	v_mul_f32_e32 v30, v31, v11
	s_delay_alu instid0(VALU_DEP_1) | instskip(NEXT) | instid1(VALU_DEP_1)
	v_fma_f32 v32, v10, v30, v31
	v_fmac_f32_e32 v30, v32, v11
	s_delay_alu instid0(VALU_DEP_1) | instskip(NEXT) | instid1(VALU_DEP_1)
	v_fmac_f32_e32 v31, v10, v30
	v_div_fmas_f32 v10, v31, v11, v30
	s_delay_alu instid0(VALU_DEP_1) | instskip(NEXT) | instid1(VALU_DEP_1)
	v_div_fixup_f32 v10, v10, v1, v0
	v_fma_f32 v11, v0, v10, v1
	s_delay_alu instid0(VALU_DEP_1) | instskip(SKIP_1) | instid1(VALU_DEP_2)
	v_div_scale_f32 v30, null, v11, v11, 1.0
	v_div_scale_f32 v33, vcc_lo, 1.0, v11, 1.0
	v_rcp_f32_e32 v31, v30
	v_nop
	v_xor_b32_e32 v30, 0x80000000, v30
	s_delay_alu instid0(TRANS32_DEP_1) | instid1(VALU_DEP_1)
	v_fma_f32 v32, v30, v31, 1.0
	s_delay_alu instid0(VALU_DEP_1) | instskip(NEXT) | instid1(VALU_DEP_1)
	v_fmac_f32_e32 v31, v32, v31
	v_mul_f32_e32 v32, v33, v31
	s_delay_alu instid0(VALU_DEP_1) | instskip(NEXT) | instid1(VALU_DEP_1)
	v_fma_f32 v34, v30, v32, v33
	v_fmac_f32_e32 v32, v34, v31
	s_delay_alu instid0(VALU_DEP_1) | instskip(NEXT) | instid1(VALU_DEP_1)
	v_fmac_f32_e32 v33, v30, v32
	v_div_fmas_f32 v30, v33, v31, v32
	v_fma_f32 v31, v10, v2, v3
	s_delay_alu instid0(VALU_DEP_2) | instskip(SKIP_1) | instid1(VALU_DEP_1)
	v_div_fixup_f32 v11, v30, v11, 1.0
	v_fma_f32 v30, v10, v3, -v2
	v_dual_mul_f32 v10, v31, v11 :: v_dual_mul_f32 v11, v30, v11
.LBB147_98:                             ;   in Loop: Header=BB147_90 Depth=2
	s_and_not1_b32 vcc_lo, exec_lo, s34
	s_cbranch_vccnz .LBB147_100
; %bb.99:                               ;   in Loop: Header=BB147_90 Depth=2
	v_div_scale_f32 v10, null, v0, v0, v1
	v_div_scale_f32 v31, vcc_lo, v1, v0, v1
	s_delay_alu instid0(VALU_DEP_2)
	v_rcp_f32_e32 v11, v10
	v_nop
	v_xor_b32_e32 v10, 0x80000000, v10
	s_delay_alu instid0(TRANS32_DEP_1) | instid1(VALU_DEP_1)
	v_fma_f32 v30, v10, v11, 1.0
	s_delay_alu instid0(VALU_DEP_1) | instskip(NEXT) | instid1(VALU_DEP_1)
	v_fmac_f32_e32 v11, v30, v11
	v_mul_f32_e32 v30, v31, v11
	s_delay_alu instid0(VALU_DEP_1) | instskip(NEXT) | instid1(VALU_DEP_1)
	v_fma_f32 v32, v10, v30, v31
	v_fmac_f32_e32 v30, v32, v11
	s_delay_alu instid0(VALU_DEP_1) | instskip(NEXT) | instid1(VALU_DEP_1)
	v_fmac_f32_e32 v31, v10, v30
	v_div_fmas_f32 v10, v31, v11, v30
	s_delay_alu instid0(VALU_DEP_1) | instskip(NEXT) | instid1(VALU_DEP_1)
	v_div_fixup_f32 v10, v10, v0, v1
	v_fmac_f32_e32 v0, v1, v10
	s_delay_alu instid0(VALU_DEP_1) | instskip(SKIP_1) | instid1(VALU_DEP_2)
	v_div_scale_f32 v1, null, v0, v0, 1.0
	v_div_scale_f32 v31, vcc_lo, 1.0, v0, 1.0
	v_rcp_f32_e32 v11, v1
	v_nop
	v_xor_b32_e32 v1, 0x80000000, v1
	s_delay_alu instid0(TRANS32_DEP_1) | instid1(VALU_DEP_1)
	v_fma_f32 v30, v1, v11, 1.0
	s_delay_alu instid0(VALU_DEP_1) | instskip(NEXT) | instid1(VALU_DEP_1)
	v_fmac_f32_e32 v11, v30, v11
	v_mul_f32_e32 v30, v31, v11
	s_delay_alu instid0(VALU_DEP_1) | instskip(NEXT) | instid1(VALU_DEP_1)
	v_fma_f32 v32, v1, v30, v31
	v_fmac_f32_e32 v30, v32, v11
	s_delay_alu instid0(VALU_DEP_1) | instskip(NEXT) | instid1(VALU_DEP_1)
	v_fmac_f32_e32 v31, v1, v30
	v_div_fmas_f32 v1, v31, v11, v30
	v_fma_f32 v11, v10, v3, v2
	s_delay_alu instid0(VALU_DEP_2) | instskip(NEXT) | instid1(VALU_DEP_1)
	v_div_fixup_f32 v0, v1, v0, 1.0
	v_dual_fma_f32 v1, -v10, v2, v3 :: v_dual_mul_f32 v10, v11, v0
	s_delay_alu instid0(VALU_DEP_1)
	v_mul_f32_e32 v11, v1, v0
.LBB147_100:                            ;   in Loop: Header=BB147_90 Depth=2
	s_addk_co_i32 s31, 0xffa0
	ds_store_b64 v29, v[10:11]
	s_add_co_i32 s30, s31, s30
	s_delay_alu instid0(SALU_CYCLE_1)
	v_dual_mov_b32 v32, v9 :: v_dual_mov_b32 v0, s30
	s_add_co_i32 s31, s30, -16
	v_mov_b32_e32 v34, v11
	ds_load_b64 v[30:31], v0
	v_mov_b32_e32 v0, s31
	s_mov_b32 s31, -1
	ds_load_2addr_b64 v[0:3], v0 offset1:1
	s_wait_dscnt 0x1
	v_pk_mul_f32 v[32:33], v[32:33], v[30:31] op_sel_hi:[0,1]
	s_delay_alu instid0(VALU_DEP_1) | instskip(SKIP_4) | instid1(VALU_DEP_3)
	v_pk_fma_f32 v[36:37], v[8:9], v[30:31], v[32:33] op_sel:[0,0,1] op_sel_hi:[0,1,0]
	s_wait_dscnt 0x0
	v_pk_mul_f32 v[34:35], v[34:35], v[2:3] op_sel_hi:[0,1]
	v_pk_fma_f32 v[30:31], v[8:9], v[30:31], v[32:33] op_sel:[0,0,1] op_sel_hi:[1,1,0] neg_lo:[0,0,1] neg_hi:[0,0,1]
	v_and_b32_e32 v36, 0x7fffffff, v1
	v_pk_fma_f32 v[32:33], v[10:11], v[2:3], v[34:35] op_sel:[0,0,1] op_sel_hi:[0,1,0]
	v_mov_b32_e32 v31, v37
	v_and_b32_e32 v32, 0x7fffffff, v0
	v_pk_fma_f32 v[2:3], v[10:11], v[2:3], v[34:35] op_sel:[0,0,1] op_sel_hi:[1,1,0] neg_lo:[0,0,1] neg_hi:[0,0,1]
	s_delay_alu instid0(VALU_DEP_4) | instskip(NEXT) | instid1(VALU_DEP_4)
	v_mov_b32_e32 v3, v33
	v_pk_add_f32 v[6:7], v[6:7], v[30:31] neg_lo:[0,1] neg_hi:[0,1]
	s_delay_alu instid0(VALU_DEP_4) | instskip(NEXT) | instid1(VALU_DEP_2)
	v_cmp_ngt_f32_e32 vcc_lo, v32, v36
	v_pk_add_f32 v[2:3], v[6:7], v[2:3] neg_lo:[0,1] neg_hi:[0,1]
                                        ; implicit-def: $vgpr6_vgpr7
	s_cbranch_vccz .LBB147_102
; %bb.101:                              ;   in Loop: Header=BB147_90 Depth=2
	v_div_scale_f32 v6, null, v1, v1, v0
	v_div_scale_f32 v30, vcc_lo, v0, v1, v0
	s_mov_b32 s31, 0
	v_rcp_f32_e32 v7, v6
	v_nop
	v_xor_b32_e32 v6, 0x80000000, v6
	s_delay_alu instid0(TRANS32_DEP_1) | instid1(VALU_DEP_1)
	v_fma_f32 v29, v6, v7, 1.0
	s_delay_alu instid0(VALU_DEP_1) | instskip(NEXT) | instid1(VALU_DEP_1)
	v_fmac_f32_e32 v7, v29, v7
	v_mul_f32_e32 v29, v30, v7
	s_delay_alu instid0(VALU_DEP_1) | instskip(NEXT) | instid1(VALU_DEP_1)
	v_fma_f32 v31, v6, v29, v30
	v_fmac_f32_e32 v29, v31, v7
	s_delay_alu instid0(VALU_DEP_1) | instskip(NEXT) | instid1(VALU_DEP_1)
	v_fmac_f32_e32 v30, v6, v29
	v_div_fmas_f32 v6, v30, v7, v29
	s_delay_alu instid0(VALU_DEP_1) | instskip(NEXT) | instid1(VALU_DEP_1)
	v_div_fixup_f32 v6, v6, v1, v0
	v_fma_f32 v7, v0, v6, v1
	s_delay_alu instid0(VALU_DEP_1) | instskip(SKIP_1) | instid1(VALU_DEP_2)
	v_div_scale_f32 v29, null, v7, v7, 1.0
	v_div_scale_f32 v32, vcc_lo, 1.0, v7, 1.0
	v_rcp_f32_e32 v31, v29
	v_nop
	v_xor_b32_e32 v29, 0x80000000, v29
	s_delay_alu instid0(TRANS32_DEP_1) | instid1(VALU_DEP_1)
	v_fma_f32 v30, v29, v31, 1.0
	s_delay_alu instid0(VALU_DEP_1) | instskip(NEXT) | instid1(VALU_DEP_1)
	v_fmac_f32_e32 v31, v30, v31
	v_mul_f32_e32 v33, v32, v31
	s_delay_alu instid0(VALU_DEP_1) | instskip(NEXT) | instid1(VALU_DEP_1)
	v_fma_f32 v30, v29, v33, v32
	v_dual_fmac_f32 v33, v30, v31 :: v_dual_mov_b32 v30, v3
	s_delay_alu instid0(VALU_DEP_1) | instskip(NEXT) | instid1(VALU_DEP_1)
	v_fmac_f32_e32 v32, v29, v33
	v_div_fmas_f32 v29, v32, v31, v33
	s_delay_alu instid0(VALU_DEP_3) | instskip(NEXT) | instid1(VALU_DEP_2)
	v_pk_fma_f32 v[30:31], v[6:7], v[2:3], v[30:31]
	v_div_fixup_f32 v31, v29, v7, 1.0
	s_delay_alu instid0(VALU_DEP_1) | instskip(NEXT) | instid1(VALU_DEP_1)
	v_dual_fma_f32 v7, v6, v3, -v2 :: v_dual_mov_b32 v6, v31
	v_pk_mul_f32 v[6:7], v[30:31], v[6:7]
.LBB147_102:                            ;   in Loop: Header=BB147_90 Depth=2
	s_and_not1_b32 vcc_lo, exec_lo, s31
	s_cbranch_vccnz .LBB147_104
; %bb.103:                              ;   in Loop: Header=BB147_90 Depth=2
	v_div_scale_f32 v6, null, v0, v0, v1
	v_div_scale_f32 v30, vcc_lo, v1, v0, v1
	s_delay_alu instid0(VALU_DEP_2)
	v_rcp_f32_e32 v7, v6
	v_nop
	v_xor_b32_e32 v6, 0x80000000, v6
	s_delay_alu instid0(TRANS32_DEP_1) | instid1(VALU_DEP_1)
	v_fma_f32 v29, v6, v7, 1.0
	s_delay_alu instid0(VALU_DEP_1) | instskip(NEXT) | instid1(VALU_DEP_1)
	v_fmac_f32_e32 v7, v29, v7
	v_mul_f32_e32 v29, v30, v7
	s_delay_alu instid0(VALU_DEP_1) | instskip(NEXT) | instid1(VALU_DEP_1)
	v_fma_f32 v31, v6, v29, v30
	v_fmac_f32_e32 v29, v31, v7
	s_delay_alu instid0(VALU_DEP_1) | instskip(NEXT) | instid1(VALU_DEP_1)
	v_fmac_f32_e32 v30, v6, v29
	v_div_fmas_f32 v6, v30, v7, v29
	s_delay_alu instid0(VALU_DEP_1) | instskip(NEXT) | instid1(VALU_DEP_1)
	v_div_fixup_f32 v6, v6, v0, v1
	v_fmac_f32_e32 v0, v1, v6
	s_delay_alu instid0(VALU_DEP_1) | instskip(SKIP_1) | instid1(VALU_DEP_2)
	v_div_scale_f32 v1, null, v0, v0, 1.0
	v_div_scale_f32 v30, vcc_lo, 1.0, v0, 1.0
	v_rcp_f32_e32 v7, v1
	v_nop
	v_xor_b32_e32 v1, 0x80000000, v1
	s_delay_alu instid0(TRANS32_DEP_1) | instid1(VALU_DEP_1)
	v_fma_f32 v29, v1, v7, 1.0
	s_delay_alu instid0(VALU_DEP_1) | instskip(NEXT) | instid1(VALU_DEP_1)
	v_fmac_f32_e32 v7, v29, v7
	v_mul_f32_e32 v29, v30, v7
	s_delay_alu instid0(VALU_DEP_1) | instskip(NEXT) | instid1(VALU_DEP_1)
	v_fma_f32 v31, v1, v29, v30
	v_fmac_f32_e32 v29, v31, v7
	s_delay_alu instid0(VALU_DEP_1) | instskip(NEXT) | instid1(VALU_DEP_1)
	v_fmac_f32_e32 v30, v1, v29
	v_div_fmas_f32 v1, v30, v7, v29
	v_pk_fma_f32 v[30:31], v[6:7], v[2:3], v[2:3] op_sel:[0,1,0] op_sel_hi:[0,0,1] neg_lo:[1,0,0] neg_hi:[1,0,0]
	v_pk_fma_f32 v[2:3], v[6:7], v[2:3], v[2:3] op_sel:[0,1,0] op_sel_hi:[1,0,1]
	s_delay_alu instid0(VALU_DEP_3) | instskip(NEXT) | instid1(VALU_DEP_3)
	v_div_fixup_f32 v0, v1, v0, 1.0
	v_mov_b32_e32 v3, v31
	s_delay_alu instid0(VALU_DEP_1)
	v_pk_mul_f32 v[6:7], v[2:3], v[0:1] op_sel_hi:[1,0]
.LBB147_104:                            ;   in Loop: Header=BB147_90 Depth=2
	s_add_co_i32 s31, s30, 0xffffff98
	s_addk_co_i32 s30, 0xff88
	s_delay_alu instid0(SALU_CYCLE_1)
	v_dual_mov_b32 v0, s31 :: v_dual_mov_b32 v1, s30
	v_dual_mov_b32 v34, v9 :: v_dual_mov_b32 v35, v9
	;; [unrolled: 1-line block ×3, first 2 shown]
	ds_load_2addr_b64 v[30:33], v0 offset1:1
	ds_load_2addr_b64 v[0:3], v1 offset1:1
	v_dual_mov_b32 v9, v8 :: v_dual_mov_b32 v11, v10
	s_mov_b32 s30, -1
	ds_store_b64 v25, v[6:7]
	s_wait_dscnt 0x2
	v_pk_mul_f32 v[34:35], v[34:35], v[32:33]
	v_pk_mul_f32 v[36:37], v[36:37], v[30:31]
	s_wait_dscnt 0x1
	v_dual_mov_b32 v38, v3 :: v_dual_mov_b32 v39, v2
	v_and_b32_e32 v29, 0x7fffffff, v1
	v_pk_fma_f32 v[40:41], v[8:9], v[32:33], v[34:35] op_sel:[0,0,1] op_sel_hi:[1,1,0]
	v_pk_fma_f32 v[8:9], v[8:9], v[32:33], v[34:35] op_sel:[0,0,1] op_sel_hi:[1,1,0] neg_lo:[0,0,1] neg_hi:[0,0,1]
	v_pk_fma_f32 v[32:33], v[10:11], v[30:31], v[36:37] op_sel:[0,0,1] op_sel_hi:[1,1,0]
	v_pk_mul_f32 v[34:35], v[6:7], v[38:39] op_sel:[1,0]
	v_pk_fma_f32 v[10:11], v[10:11], v[30:31], v[36:37] op_sel:[0,0,1] op_sel_hi:[1,1,0] neg_lo:[0,0,1] neg_hi:[0,0,1]
	s_delay_alu instid0(VALU_DEP_3) | instskip(NEXT) | instid1(VALU_DEP_1)
	v_dual_mov_b32 v9, v41 :: v_dual_mov_b32 v11, v33
	v_pk_add_f32 v[4:5], v[4:5], v[8:9] neg_lo:[0,1] neg_hi:[0,1]
	s_delay_alu instid0(VALU_DEP_4) | instskip(SKIP_2) | instid1(VALU_DEP_4)
	v_pk_fma_f32 v[8:9], v[6:7], v[2:3], v[34:35] op_sel_hi:[0,1,1]
	v_and_b32_e32 v8, 0x7fffffff, v0
	v_pk_fma_f32 v[2:3], v[6:7], v[2:3], v[34:35] neg_lo:[0,0,1] neg_hi:[0,0,1]
	v_pk_add_f32 v[4:5], v[4:5], v[10:11] neg_lo:[0,1] neg_hi:[0,1]
	s_delay_alu instid0(VALU_DEP_4) | instskip(NEXT) | instid1(VALU_DEP_4)
	v_mov_b32_e32 v3, v9
	v_cmp_ngt_f32_e32 vcc_lo, v8, v29
	s_delay_alu instid0(VALU_DEP_2)
	v_pk_add_f32 v[2:3], v[4:5], v[2:3] neg_lo:[0,1] neg_hi:[0,1]
                                        ; implicit-def: $vgpr4_vgpr5
	s_cbranch_vccz .LBB147_106
; %bb.105:                              ;   in Loop: Header=BB147_90 Depth=2
	v_div_scale_f32 v4, null, v1, v1, v0
	v_div_scale_f32 v7, vcc_lo, v0, v1, v0
	s_mov_b32 s30, 0
	v_rcp_f32_e32 v5, v4
	v_nop
	v_xor_b32_e32 v4, 0x80000000, v4
	s_delay_alu instid0(TRANS32_DEP_1) | instid1(VALU_DEP_1)
	v_fma_f32 v6, v4, v5, 1.0
	s_delay_alu instid0(VALU_DEP_1) | instskip(NEXT) | instid1(VALU_DEP_1)
	v_fmac_f32_e32 v5, v6, v5
	v_mul_f32_e32 v6, v7, v5
	s_delay_alu instid0(VALU_DEP_1) | instskip(NEXT) | instid1(VALU_DEP_1)
	v_fma_f32 v8, v4, v6, v7
	v_fmac_f32_e32 v6, v8, v5
	s_delay_alu instid0(VALU_DEP_1) | instskip(NEXT) | instid1(VALU_DEP_1)
	v_fmac_f32_e32 v7, v4, v6
	v_div_fmas_f32 v4, v7, v5, v6
	s_delay_alu instid0(VALU_DEP_1) | instskip(NEXT) | instid1(VALU_DEP_1)
	v_div_fixup_f32 v4, v4, v1, v0
	v_fma_f32 v5, v0, v4, v1
	s_delay_alu instid0(VALU_DEP_1) | instskip(NEXT) | instid1(VALU_DEP_1)
	v_div_scale_f32 v6, null, v5, v5, 1.0
	v_rcp_f32_e32 v7, v6
	v_nop
	v_xor_b32_e32 v6, 0x80000000, v6
	s_delay_alu instid0(TRANS32_DEP_1) | instid1(VALU_DEP_1)
	v_fma_f32 v8, v6, v7, 1.0
	s_delay_alu instid0(VALU_DEP_1) | instskip(SKIP_1) | instid1(VALU_DEP_1)
	v_fmac_f32_e32 v7, v8, v7
	v_div_scale_f32 v8, vcc_lo, 1.0, v5, 1.0
	v_mul_f32_e32 v9, v8, v7
	s_delay_alu instid0(VALU_DEP_1) | instskip(NEXT) | instid1(VALU_DEP_1)
	v_fma_f32 v10, v6, v9, v8
	v_fmac_f32_e32 v9, v10, v7
	s_delay_alu instid0(VALU_DEP_1) | instskip(NEXT) | instid1(VALU_DEP_1)
	v_dual_fmac_f32 v8, v6, v9 :: v_dual_mov_b32 v6, v3
	v_div_fmas_f32 v8, v8, v7, v9
	s_delay_alu instid0(VALU_DEP_2) | instskip(NEXT) | instid1(VALU_DEP_2)
	v_pk_fma_f32 v[6:7], v[4:5], v[2:3], v[6:7]
	v_div_fixup_f32 v7, v8, v5, 1.0
	s_delay_alu instid0(VALU_DEP_1) | instskip(NEXT) | instid1(VALU_DEP_1)
	v_dual_fma_f32 v5, v4, v3, -v2 :: v_dual_mov_b32 v4, v7
	v_pk_mul_f32 v[4:5], v[6:7], v[4:5]
.LBB147_106:                            ;   in Loop: Header=BB147_90 Depth=2
	s_and_not1_b32 vcc_lo, exec_lo, s30
	s_cbranch_vccnz .LBB147_108
; %bb.107:                              ;   in Loop: Header=BB147_90 Depth=2
	v_div_scale_f32 v4, null, v0, v0, v1
	v_div_scale_f32 v7, vcc_lo, v1, v0, v1
	s_delay_alu instid0(VALU_DEP_2)
	v_rcp_f32_e32 v5, v4
	v_nop
	v_xor_b32_e32 v4, 0x80000000, v4
	s_delay_alu instid0(TRANS32_DEP_1) | instid1(VALU_DEP_1)
	v_fma_f32 v6, v4, v5, 1.0
	s_delay_alu instid0(VALU_DEP_1) | instskip(NEXT) | instid1(VALU_DEP_1)
	v_fmac_f32_e32 v5, v6, v5
	v_mul_f32_e32 v6, v7, v5
	s_delay_alu instid0(VALU_DEP_1) | instskip(NEXT) | instid1(VALU_DEP_1)
	v_fma_f32 v8, v4, v6, v7
	v_fmac_f32_e32 v6, v8, v5
	s_delay_alu instid0(VALU_DEP_1) | instskip(NEXT) | instid1(VALU_DEP_1)
	v_fmac_f32_e32 v7, v4, v6
	v_div_fmas_f32 v4, v7, v5, v6
	s_delay_alu instid0(VALU_DEP_1) | instskip(NEXT) | instid1(VALU_DEP_1)
	v_div_fixup_f32 v4, v4, v0, v1
	v_fmac_f32_e32 v0, v1, v4
	s_delay_alu instid0(VALU_DEP_1) | instskip(SKIP_1) | instid1(VALU_DEP_2)
	v_div_scale_f32 v1, null, v0, v0, 1.0
	v_div_scale_f32 v7, vcc_lo, 1.0, v0, 1.0
	v_rcp_f32_e32 v5, v1
	v_nop
	v_xor_b32_e32 v1, 0x80000000, v1
	s_delay_alu instid0(TRANS32_DEP_1) | instid1(VALU_DEP_1)
	v_fma_f32 v6, v1, v5, 1.0
	s_delay_alu instid0(VALU_DEP_1) | instskip(NEXT) | instid1(VALU_DEP_1)
	v_fmac_f32_e32 v5, v6, v5
	v_mul_f32_e32 v6, v7, v5
	s_delay_alu instid0(VALU_DEP_1) | instskip(NEXT) | instid1(VALU_DEP_1)
	v_fma_f32 v8, v1, v6, v7
	v_fmac_f32_e32 v6, v8, v5
	s_delay_alu instid0(VALU_DEP_1) | instskip(NEXT) | instid1(VALU_DEP_1)
	v_fmac_f32_e32 v7, v1, v6
	v_div_fmas_f32 v1, v7, v5, v6
	v_pk_fma_f32 v[6:7], v[4:5], v[2:3], v[2:3] op_sel:[0,1,0] op_sel_hi:[0,0,1] neg_lo:[1,0,0] neg_hi:[1,0,0]
	v_pk_fma_f32 v[2:3], v[4:5], v[2:3], v[2:3] op_sel:[0,1,0] op_sel_hi:[1,0,1]
	s_delay_alu instid0(VALU_DEP_3) | instskip(NEXT) | instid1(VALU_DEP_3)
	v_div_fixup_f32 v0, v1, v0, 1.0
	v_mov_b32_e32 v3, v7
	s_delay_alu instid0(VALU_DEP_1)
	v_pk_mul_f32 v[4:5], v[2:3], v[0:1] op_sel_hi:[1,0]
.LBB147_108:                            ;   in Loop: Header=BB147_90 Depth=2
	s_add_co_i32 s30, s18, -4
	s_addk_co_i32 s3, 0xfe80
	s_cmp_lt_i32 s18, 7
	ds_store_b64 v24, v[4:5]
	s_cbranch_scc1 .LBB147_110
; %bb.109:                              ;   in Loop: Header=BB147_90 Depth=2
	s_mov_b32 s18, s30
	s_branch .LBB147_90
.LBB147_110:                            ;   in Loop: Header=BB147_3 Depth=1
	s_cmp_lt_i32 s30, 0
	s_cbranch_scc1 .LBB147_119
; %bb.111:                              ;   in Loop: Header=BB147_3 Depth=1
	s_mul_i32 s3, s30, 0x60
	s_delay_alu instid0(SALU_CYCLE_1)
	s_add_co_i32 s3, s48, s3
	s_branch .LBB147_113
.LBB147_112:                            ;   in Loop: Header=BB147_113 Depth=2
	v_sub_co_u32 v0, s18, s30, 1
	s_and_b32 vcc_lo, exec_lo, s18
	s_addk_co_i32 s3, 0xffa0
	ds_store_b64 v6, v[4:5]
	v_readfirstlane_b32 s30, v0
	s_cbranch_vccnz .LBB147_119
.LBB147_113:                            ;   Parent Loop BB147_3 Depth=1
                                        ; =>  This Loop Header: Depth=2
                                        ;       Child Loop BB147_114 Depth 3
	v_mad_u32 v6, 0x60, s30, v26
	v_mov_b32_e32 v2, v13
	s_cmp_le_i32 s38, s30
	s_mov_b32 s18, s3
	s_mov_b32 s31, s38
	ds_load_b64 v[0:1], v6
	s_cbranch_scc1 .LBB147_115
.LBB147_114:                            ;   Parent Loop BB147_3 Depth=1
                                        ;     Parent Loop BB147_113 Depth=2
                                        ; =>    This Inner Loop Header: Depth=3
	v_mov_b32_e32 v3, s18
	s_add_co_i32 s31, s31, -1
	s_add_co_i32 s18, s18, -8
	s_cmp_le_u32 s31, s30
	ds_load_b64 v[4:5], v2
	ds_load_b64 v[8:9], v3
	v_add_nc_u32_e32 v2, 0xffffffa0, v2
	s_wait_dscnt 0x0
	v_pk_mul_f32 v[10:11], v[8:9], v[4:5] op_sel:[1,1] op_sel_hi:[0,1]
	s_delay_alu instid0(VALU_DEP_1) | instskip(SKIP_1) | instid1(VALU_DEP_2)
	v_pk_fma_f32 v[24:25], v[8:9], v[4:5], v[10:11] op_sel_hi:[1,0,1]
	v_pk_fma_f32 v[4:5], v[8:9], v[4:5], v[10:11] op_sel_hi:[1,0,1] neg_lo:[0,0,1] neg_hi:[0,0,1]
	v_mov_b32_e32 v5, v25
	s_delay_alu instid0(VALU_DEP_1)
	v_pk_add_f32 v[0:1], v[0:1], v[4:5] neg_lo:[0,1] neg_hi:[0,1]
	s_cbranch_scc0 .LBB147_114
.LBB147_115:                            ;   in Loop: Header=BB147_113 Depth=2
	s_mul_i32 s18, s30, 0x68
	s_delay_alu instid0(SALU_CYCLE_1)
	v_mov_b32_e32 v2, s18
	s_mov_b32 s18, -1
	ds_load_b64 v[2:3], v2
	s_wait_dscnt 0x0
	v_and_b32_e32 v4, 0x7fffffff, v2
	v_and_b32_e32 v5, 0x7fffffff, v3
	s_delay_alu instid0(VALU_DEP_1)
	v_cmp_ngt_f32_e32 vcc_lo, v4, v5
                                        ; implicit-def: $vgpr4_vgpr5
	s_cbranch_vccz .LBB147_117
; %bb.116:                              ;   in Loop: Header=BB147_113 Depth=2
	v_div_scale_f32 v4, null, v3, v3, v2
	v_div_scale_f32 v8, vcc_lo, v2, v3, v2
	s_mov_b32 s18, 0
	v_rcp_f32_e32 v5, v4
	v_nop
	v_xor_b32_e32 v4, 0x80000000, v4
	s_delay_alu instid0(TRANS32_DEP_1) | instid1(VALU_DEP_1)
	v_fma_f32 v7, v4, v5, 1.0
	s_delay_alu instid0(VALU_DEP_1) | instskip(NEXT) | instid1(VALU_DEP_1)
	v_fmac_f32_e32 v5, v7, v5
	v_mul_f32_e32 v7, v8, v5
	s_delay_alu instid0(VALU_DEP_1) | instskip(NEXT) | instid1(VALU_DEP_1)
	v_fma_f32 v9, v4, v7, v8
	v_fmac_f32_e32 v7, v9, v5
	s_delay_alu instid0(VALU_DEP_1) | instskip(NEXT) | instid1(VALU_DEP_1)
	v_fmac_f32_e32 v8, v4, v7
	v_div_fmas_f32 v4, v8, v5, v7
	s_delay_alu instid0(VALU_DEP_1) | instskip(NEXT) | instid1(VALU_DEP_1)
	v_div_fixup_f32 v4, v4, v3, v2
	v_fma_f32 v7, v2, v4, v3
	s_delay_alu instid0(VALU_DEP_1) | instskip(SKIP_1) | instid1(VALU_DEP_2)
	v_div_scale_f32 v5, null, v7, v7, 1.0
	v_div_scale_f32 v10, vcc_lo, 1.0, v7, 1.0
	v_rcp_f32_e32 v8, v5
	v_nop
	v_xor_b32_e32 v5, 0x80000000, v5
	s_delay_alu instid0(TRANS32_DEP_1) | instid1(VALU_DEP_1)
	v_fma_f32 v9, v5, v8, 1.0
	s_delay_alu instid0(VALU_DEP_1) | instskip(NEXT) | instid1(VALU_DEP_1)
	v_fmac_f32_e32 v8, v9, v8
	v_mul_f32_e32 v9, v10, v8
	s_delay_alu instid0(VALU_DEP_1) | instskip(NEXT) | instid1(VALU_DEP_1)
	v_fma_f32 v11, v5, v9, v10
	v_fmac_f32_e32 v9, v11, v8
	s_delay_alu instid0(VALU_DEP_1) | instskip(NEXT) | instid1(VALU_DEP_1)
	v_fmac_f32_e32 v10, v5, v9
	v_div_fmas_f32 v10, v10, v8, v9
	v_pk_fma_f32 v[8:9], v[0:1], v[4:5], v[0:1] op_sel:[0,0,1] op_sel_hi:[1,0,0] neg_lo:[0,0,1] neg_hi:[0,0,1]
	v_pk_fma_f32 v[4:5], v[0:1], v[4:5], v[0:1] op_sel:[0,0,1] op_sel_hi:[1,0,0]
	s_delay_alu instid0(VALU_DEP_3) | instskip(NEXT) | instid1(VALU_DEP_3)
	v_div_fixup_f32 v8, v10, v7, 1.0
	v_mov_b32_e32 v5, v9
	s_delay_alu instid0(VALU_DEP_1)
	v_pk_mul_f32 v[4:5], v[4:5], v[8:9] op_sel_hi:[1,0]
.LBB147_117:                            ;   in Loop: Header=BB147_113 Depth=2
	s_and_not1_b32 vcc_lo, exec_lo, s18
	s_cbranch_vccnz .LBB147_112
; %bb.118:                              ;   in Loop: Header=BB147_113 Depth=2
	v_div_scale_f32 v4, null, v2, v2, v3
	v_div_scale_f32 v8, vcc_lo, v3, v2, v3
	s_delay_alu instid0(VALU_DEP_2)
	v_rcp_f32_e32 v5, v4
	v_nop
	v_xor_b32_e32 v4, 0x80000000, v4
	s_delay_alu instid0(TRANS32_DEP_1) | instid1(VALU_DEP_1)
	v_fma_f32 v7, v4, v5, 1.0
	s_delay_alu instid0(VALU_DEP_1) | instskip(NEXT) | instid1(VALU_DEP_1)
	v_fmac_f32_e32 v5, v7, v5
	v_mul_f32_e32 v7, v8, v5
	s_delay_alu instid0(VALU_DEP_1) | instskip(NEXT) | instid1(VALU_DEP_1)
	v_fma_f32 v9, v4, v7, v8
	v_fmac_f32_e32 v7, v9, v5
	s_delay_alu instid0(VALU_DEP_1) | instskip(NEXT) | instid1(VALU_DEP_1)
	v_fmac_f32_e32 v8, v4, v7
	v_div_fmas_f32 v4, v8, v5, v7
	s_delay_alu instid0(VALU_DEP_1) | instskip(NEXT) | instid1(VALU_DEP_1)
	v_div_fixup_f32 v4, v4, v2, v3
	v_fmac_f32_e32 v2, v3, v4
	s_delay_alu instid0(VALU_DEP_1) | instskip(SKIP_1) | instid1(VALU_DEP_2)
	v_div_scale_f32 v3, null, v2, v2, 1.0
	v_div_scale_f32 v8, vcc_lo, 1.0, v2, 1.0
	v_rcp_f32_e32 v5, v3
	v_nop
	v_xor_b32_e32 v3, 0x80000000, v3
	s_delay_alu instid0(TRANS32_DEP_1) | instid1(VALU_DEP_1)
	v_fma_f32 v7, v3, v5, 1.0
	s_delay_alu instid0(VALU_DEP_1) | instskip(NEXT) | instid1(VALU_DEP_1)
	v_fmac_f32_e32 v5, v7, v5
	v_mul_f32_e32 v7, v8, v5
	s_delay_alu instid0(VALU_DEP_1) | instskip(NEXT) | instid1(VALU_DEP_1)
	v_fma_f32 v9, v3, v7, v8
	v_fmac_f32_e32 v7, v9, v5
	s_delay_alu instid0(VALU_DEP_1) | instskip(NEXT) | instid1(VALU_DEP_1)
	v_fmac_f32_e32 v8, v3, v7
	v_div_fmas_f32 v3, v8, v5, v7
	v_pk_fma_f32 v[8:9], v[0:1], v[4:5], v[0:1] op_sel:[1,0,0] op_sel_hi:[0,0,1] neg_lo:[1,0,0] neg_hi:[1,0,0]
	v_pk_fma_f32 v[0:1], v[0:1], v[4:5], v[0:1] op_sel:[1,0,0] op_sel_hi:[0,0,1]
	s_delay_alu instid0(VALU_DEP_3) | instskip(NEXT) | instid1(VALU_DEP_3)
	v_div_fixup_f32 v2, v3, v2, 1.0
	v_mov_b32_e32 v1, v9
	s_delay_alu instid0(VALU_DEP_1)
	v_pk_mul_f32 v[4:5], v[0:1], v[2:3] op_sel_hi:[1,0]
	s_branch .LBB147_112
.LBB147_119:                            ;   in Loop: Header=BB147_3 Depth=1
	s_mov_b32 s3, 0
.LBB147_120:                            ;   in Loop: Header=BB147_3 Depth=1
	s_delay_alu instid0(SALU_CYCLE_1)
	s_and_not1_b32 vcc_lo, exec_lo, s3
	s_cbranch_vccnz .LBB147_152
; %bb.121:                              ;   in Loop: Header=BB147_3 Depth=1
	s_and_not1_b32 vcc_lo, exec_lo, s42
	s_mov_b32 s30, 0
	s_cbranch_vccnz .LBB147_143
; %bb.122:                              ;   in Loop: Header=BB147_3 Depth=1
	s_mov_b32 s3, 0
	s_mov_b32 s18, 0
.LBB147_123:                            ;   Parent Loop BB147_3 Depth=1
                                        ; =>  This Loop Header: Depth=2
                                        ;       Child Loop BB147_124 Depth 3
	s_delay_alu instid0(SALU_CYCLE_1)
	s_mul_i32 s30, s18, 12
	v_mov_b32_e32 v8, v26
	v_lshl_add_u32 v29, s30, 3, v26
	s_cmp_eq_u32 s18, 0
	s_mov_b32 s31, s3
	s_mov_b32 s34, s18
	ds_load_2addr_b64 v[4:7], v29 offset1:12
	ds_load_2addr_b64 v[0:3], v29 offset0:24 offset1:36
	s_cbranch_scc1 .LBB147_125
.LBB147_124:                            ;   Parent Loop BB147_3 Depth=1
                                        ;     Parent Loop BB147_123 Depth=2
                                        ; =>    This Inner Loop Header: Depth=3
	v_mov_b32_e32 v9, s31
	s_add_co_i32 s34, s34, -1
	s_add_co_i32 s31, s31, 8
	s_cmp_eq_u32 s34, 0
	ds_load_b64 v[10:11], v8
	ds_load_2addr_b64 v[30:33], v9 offset0:24 offset1:36
	ds_load_2addr_b64 v[34:37], v9 offset1:12
	v_add_nc_u32_e32 v8, 0x60, v8
	s_wait_dscnt 0x1
	v_pk_mul_f32 v[24:25], v[30:31], v[10:11] op_sel:[0,1]
	s_wait_dscnt 0x0
	v_dual_mul_f32 v9, v35, v11 :: v_dual_mul_f32 v40, v34, v11
	v_dual_mul_f32 v41, v37, v11 :: v_dual_mul_f32 v42, v37, v10
	v_pk_mul_f32 v[38:39], v[32:33], v[10:11] op_sel:[0,1]
	s_delay_alu instid0(VALU_DEP_3) | instskip(NEXT) | instid1(VALU_DEP_3)
	v_dual_fma_f32 v9, v34, v10, -v9 :: v_dual_fmac_f32 v40, v35, v10
	v_dual_fma_f32 v41, v36, v10, -v41 :: v_dual_fmac_f32 v42, v36, v11
	v_pk_fma_f32 v[34:35], v[30:31], v[10:11], v[24:25] op_sel:[0,0,1] op_sel_hi:[1,0,0]
	s_delay_alu instid0(VALU_DEP_4) | instskip(SKIP_2) | instid1(VALU_DEP_4)
	v_pk_fma_f32 v[36:37], v[32:33], v[10:11], v[38:39] op_sel:[0,0,1] op_sel_hi:[1,0,0]
	v_pk_fma_f32 v[24:25], v[30:31], v[10:11], v[24:25] op_sel:[0,0,1] op_sel_hi:[1,1,0] neg_lo:[0,0,1] neg_hi:[0,0,1]
	v_pk_fma_f32 v[10:11], v[32:33], v[10:11], v[38:39] op_sel:[0,0,1] op_sel_hi:[1,1,0] neg_lo:[0,0,1] neg_hi:[0,0,1]
	v_dual_sub_f32 v4, v4, v9 :: v_dual_mov_b32 v25, v35
	s_delay_alu instid0(VALU_DEP_4) | instskip(SKIP_1) | instid1(VALU_DEP_3)
	v_dual_mov_b32 v11, v37 :: v_dual_sub_f32 v6, v6, v41
	v_dual_sub_f32 v5, v5, v40 :: v_dual_sub_f32 v7, v7, v42
	v_pk_add_f32 v[0:1], v[0:1], v[24:25] neg_lo:[0,1] neg_hi:[0,1]
	s_delay_alu instid0(VALU_DEP_3)
	v_pk_add_f32 v[2:3], v[2:3], v[10:11] neg_lo:[0,1] neg_hi:[0,1]
	s_cbranch_scc0 .LBB147_124
.LBB147_125:                            ;   in Loop: Header=BB147_123 Depth=2
	s_mul_i32 s31, s18, 0x68
                                        ; implicit-def: $vgpr25
	s_delay_alu instid0(SALU_CYCLE_1)
	v_mov_b32_e32 v8, s31
	s_mov_b32 s31, -1
	ds_load_b64 v[8:9], v8
	s_wait_dscnt 0x0
	v_and_b32_e32 v10, 0x7fffffff, v8
	v_and_b32_e32 v11, 0x7fffffff, v9
	s_delay_alu instid0(VALU_DEP_1)
	v_cmp_ngt_f32_e32 vcc_lo, v10, v11
	s_cbranch_vccz .LBB147_127
; %bb.126:                              ;   in Loop: Header=BB147_123 Depth=2
	v_div_scale_f32 v10, null, v9, v9, v8
	v_div_scale_f32 v25, vcc_lo, v8, v9, v8
	s_mov_b32 s31, 0
	v_rcp_f32_e32 v11, v10
	v_nop
	v_xor_b32_e32 v10, 0x80000000, v10
	s_delay_alu instid0(TRANS32_DEP_1) | instid1(VALU_DEP_1)
	v_fma_f32 v24, v10, v11, 1.0
	s_delay_alu instid0(VALU_DEP_1) | instskip(NEXT) | instid1(VALU_DEP_1)
	v_fmac_f32_e32 v11, v24, v11
	v_mul_f32_e32 v24, v25, v11
	s_delay_alu instid0(VALU_DEP_1) | instskip(NEXT) | instid1(VALU_DEP_1)
	v_fma_f32 v30, v10, v24, v25
	v_fmac_f32_e32 v24, v30, v11
	s_delay_alu instid0(VALU_DEP_1) | instskip(NEXT) | instid1(VALU_DEP_1)
	v_fmac_f32_e32 v25, v10, v24
	v_div_fmas_f32 v10, v25, v11, v24
	s_delay_alu instid0(VALU_DEP_1) | instskip(NEXT) | instid1(VALU_DEP_1)
	v_div_fixup_f32 v10, v10, v9, v8
	v_fma_f32 v11, v8, v10, v9
	s_delay_alu instid0(VALU_DEP_1) | instskip(SKIP_1) | instid1(VALU_DEP_2)
	v_div_scale_f32 v24, null, v11, v11, 1.0
	v_div_scale_f32 v31, vcc_lo, 1.0, v11, 1.0
	v_rcp_f32_e32 v25, v24
	v_nop
	v_xor_b32_e32 v24, 0x80000000, v24
	s_delay_alu instid0(TRANS32_DEP_1) | instid1(VALU_DEP_1)
	v_fma_f32 v30, v24, v25, 1.0
	s_delay_alu instid0(VALU_DEP_1) | instskip(NEXT) | instid1(VALU_DEP_1)
	v_fmac_f32_e32 v25, v30, v25
	v_mul_f32_e32 v30, v31, v25
	s_delay_alu instid0(VALU_DEP_1) | instskip(NEXT) | instid1(VALU_DEP_1)
	v_fma_f32 v32, v24, v30, v31
	v_fmac_f32_e32 v30, v32, v25
	s_delay_alu instid0(VALU_DEP_1) | instskip(NEXT) | instid1(VALU_DEP_1)
	v_fmac_f32_e32 v31, v24, v30
	v_div_fmas_f32 v24, v31, v25, v30
	v_dual_fma_f32 v25, v4, v10, v5 :: v_dual_fma_f32 v10, v5, v10, -v4
	s_delay_alu instid0(VALU_DEP_2) | instskip(NEXT) | instid1(VALU_DEP_1)
	v_div_fixup_f32 v11, v24, v11, 1.0
	v_dual_mul_f32 v24, v25, v11 :: v_dual_mul_f32 v25, v10, v11
.LBB147_127:                            ;   in Loop: Header=BB147_123 Depth=2
	s_and_not1_b32 vcc_lo, exec_lo, s31
	s_cbranch_vccnz .LBB147_129
; %bb.128:                              ;   in Loop: Header=BB147_123 Depth=2
	v_div_scale_f32 v10, null, v8, v8, v9
	v_div_scale_f32 v25, vcc_lo, v9, v8, v9
	s_delay_alu instid0(VALU_DEP_2)
	v_rcp_f32_e32 v11, v10
	v_nop
	v_xor_b32_e32 v10, 0x80000000, v10
	s_delay_alu instid0(TRANS32_DEP_1) | instid1(VALU_DEP_1)
	v_fma_f32 v24, v10, v11, 1.0
	s_delay_alu instid0(VALU_DEP_1) | instskip(NEXT) | instid1(VALU_DEP_1)
	v_fmac_f32_e32 v11, v24, v11
	v_mul_f32_e32 v24, v25, v11
	s_delay_alu instid0(VALU_DEP_1) | instskip(NEXT) | instid1(VALU_DEP_1)
	v_fma_f32 v30, v10, v24, v25
	v_fmac_f32_e32 v24, v30, v11
	s_delay_alu instid0(VALU_DEP_1) | instskip(NEXT) | instid1(VALU_DEP_1)
	v_fmac_f32_e32 v25, v10, v24
	v_div_fmas_f32 v10, v25, v11, v24
	s_delay_alu instid0(VALU_DEP_1) | instskip(NEXT) | instid1(VALU_DEP_1)
	v_div_fixup_f32 v10, v10, v8, v9
	v_fmac_f32_e32 v8, v9, v10
	s_delay_alu instid0(VALU_DEP_1) | instskip(SKIP_1) | instid1(VALU_DEP_2)
	v_div_scale_f32 v9, null, v8, v8, 1.0
	v_div_scale_f32 v25, vcc_lo, 1.0, v8, 1.0
	v_rcp_f32_e32 v11, v9
	v_nop
	v_xor_b32_e32 v9, 0x80000000, v9
	s_delay_alu instid0(TRANS32_DEP_1) | instid1(VALU_DEP_1)
	v_fma_f32 v24, v9, v11, 1.0
	s_delay_alu instid0(VALU_DEP_1) | instskip(NEXT) | instid1(VALU_DEP_1)
	v_fmac_f32_e32 v11, v24, v11
	v_mul_f32_e32 v24, v25, v11
	s_delay_alu instid0(VALU_DEP_1) | instskip(NEXT) | instid1(VALU_DEP_1)
	v_fma_f32 v30, v9, v24, v25
	v_fmac_f32_e32 v24, v30, v11
	s_delay_alu instid0(VALU_DEP_1) | instskip(NEXT) | instid1(VALU_DEP_1)
	v_fmac_f32_e32 v25, v9, v24
	v_div_fmas_f32 v9, v25, v11, v24
	v_dual_fma_f32 v11, v5, v10, v4 :: v_dual_fma_f32 v4, -v4, v10, v5
	s_delay_alu instid0(VALU_DEP_2) | instskip(NEXT) | instid1(VALU_DEP_1)
	v_div_fixup_f32 v8, v9, v8, 1.0
	v_dual_mul_f32 v24, v11, v8 :: v_dual_mul_f32 v25, v4, v8
.LBB147_129:                            ;   in Loop: Header=BB147_123 Depth=2
	s_lshl_b32 s31, s30, 3
	s_lshl_b32 s30, s18, 3
	s_addk_co_i32 s31, 0x60
	ds_store_b64 v29, v[24:25]
	s_add_co_i32 s34, s31, s30
	s_delay_alu instid0(SALU_CYCLE_1)
	v_mov_b32_e32 v4, s34
	s_mov_b32 s34, -1
	ds_load_b128 v[8:11], v4
	s_wait_dscnt 0x0
	v_dual_mul_f32 v5, v24, v9 :: v_dual_mul_f32 v4, v25, v9
	v_and_b32_e32 v9, 0x7fffffff, v10
	v_and_b32_e32 v30, 0x7fffffff, v11
	s_delay_alu instid0(VALU_DEP_3) | instskip(NEXT) | instid1(VALU_DEP_2)
	v_dual_fmac_f32 v5, v25, v8 :: v_dual_fma_f32 v4, v24, v8, -v4
	v_cmp_ngt_f32_e32 vcc_lo, v9, v30
                                        ; implicit-def: $vgpr9
	s_delay_alu instid0(VALU_DEP_2)
	v_dual_sub_f32 v5, v7, v5 :: v_dual_sub_f32 v4, v6, v4
	s_cbranch_vccz .LBB147_131
; %bb.130:                              ;   in Loop: Header=BB147_123 Depth=2
	v_div_scale_f32 v6, null, v11, v11, v10
	v_div_scale_f32 v9, vcc_lo, v10, v11, v10
	s_mov_b32 s34, 0
	v_rcp_f32_e32 v7, v6
	v_nop
	v_xor_b32_e32 v6, 0x80000000, v6
	s_delay_alu instid0(TRANS32_DEP_1) | instid1(VALU_DEP_1)
	v_fma_f32 v8, v6, v7, 1.0
	s_delay_alu instid0(VALU_DEP_1) | instskip(NEXT) | instid1(VALU_DEP_1)
	v_fmac_f32_e32 v7, v8, v7
	v_mul_f32_e32 v8, v9, v7
	s_delay_alu instid0(VALU_DEP_1) | instskip(NEXT) | instid1(VALU_DEP_1)
	v_fma_f32 v30, v6, v8, v9
	v_fmac_f32_e32 v8, v30, v7
	s_delay_alu instid0(VALU_DEP_1) | instskip(NEXT) | instid1(VALU_DEP_1)
	v_fmac_f32_e32 v9, v6, v8
	v_div_fmas_f32 v6, v9, v7, v8
	s_delay_alu instid0(VALU_DEP_1) | instskip(NEXT) | instid1(VALU_DEP_1)
	v_div_fixup_f32 v6, v6, v11, v10
	v_fma_f32 v7, v10, v6, v11
	s_delay_alu instid0(VALU_DEP_1) | instskip(SKIP_1) | instid1(VALU_DEP_2)
	v_div_scale_f32 v8, null, v7, v7, 1.0
	v_div_scale_f32 v31, vcc_lo, 1.0, v7, 1.0
	v_rcp_f32_e32 v9, v8
	v_nop
	v_xor_b32_e32 v8, 0x80000000, v8
	s_delay_alu instid0(TRANS32_DEP_1) | instid1(VALU_DEP_1)
	v_fma_f32 v30, v8, v9, 1.0
	s_delay_alu instid0(VALU_DEP_1) | instskip(NEXT) | instid1(VALU_DEP_1)
	v_fmac_f32_e32 v9, v30, v9
	v_mul_f32_e32 v30, v31, v9
	s_delay_alu instid0(VALU_DEP_1) | instskip(NEXT) | instid1(VALU_DEP_1)
	v_fma_f32 v32, v8, v30, v31
	v_fmac_f32_e32 v30, v32, v9
	s_delay_alu instid0(VALU_DEP_1) | instskip(NEXT) | instid1(VALU_DEP_1)
	v_fmac_f32_e32 v31, v8, v30
	v_div_fmas_f32 v8, v31, v9, v30
	v_dual_fma_f32 v9, v6, v4, v5 :: v_dual_fma_f32 v6, v6, v5, -v4
	s_delay_alu instid0(VALU_DEP_2) | instskip(NEXT) | instid1(VALU_DEP_1)
	v_div_fixup_f32 v7, v8, v7, 1.0
	v_dual_mul_f32 v8, v9, v7 :: v_dual_mul_f32 v9, v6, v7
.LBB147_131:                            ;   in Loop: Header=BB147_123 Depth=2
	s_and_not1_b32 vcc_lo, exec_lo, s34
	s_cbranch_vccnz .LBB147_133
; %bb.132:                              ;   in Loop: Header=BB147_123 Depth=2
	v_div_scale_f32 v6, null, v10, v10, v11
	v_div_scale_f32 v9, vcc_lo, v11, v10, v11
	s_delay_alu instid0(VALU_DEP_2)
	v_rcp_f32_e32 v7, v6
	v_nop
	v_xor_b32_e32 v6, 0x80000000, v6
	s_delay_alu instid0(TRANS32_DEP_1) | instid1(VALU_DEP_1)
	v_fma_f32 v8, v6, v7, 1.0
	s_delay_alu instid0(VALU_DEP_1) | instskip(NEXT) | instid1(VALU_DEP_1)
	v_fmac_f32_e32 v7, v8, v7
	v_mul_f32_e32 v8, v9, v7
	s_delay_alu instid0(VALU_DEP_1) | instskip(NEXT) | instid1(VALU_DEP_1)
	v_fma_f32 v30, v6, v8, v9
	v_fmac_f32_e32 v8, v30, v7
	s_delay_alu instid0(VALU_DEP_1) | instskip(NEXT) | instid1(VALU_DEP_1)
	v_fmac_f32_e32 v9, v6, v8
	v_div_fmas_f32 v6, v9, v7, v8
	s_delay_alu instid0(VALU_DEP_1) | instskip(NEXT) | instid1(VALU_DEP_1)
	v_div_fixup_f32 v6, v6, v10, v11
	v_fmac_f32_e32 v10, v11, v6
	s_delay_alu instid0(VALU_DEP_1) | instskip(SKIP_1) | instid1(VALU_DEP_2)
	v_div_scale_f32 v7, null, v10, v10, 1.0
	v_div_scale_f32 v11, vcc_lo, 1.0, v10, 1.0
	v_rcp_f32_e32 v8, v7
	v_nop
	v_xor_b32_e32 v7, 0x80000000, v7
	s_delay_alu instid0(TRANS32_DEP_1) | instid1(VALU_DEP_1)
	v_fma_f32 v9, v7, v8, 1.0
	s_delay_alu instid0(VALU_DEP_1) | instskip(NEXT) | instid1(VALU_DEP_1)
	v_fmac_f32_e32 v8, v9, v8
	v_mul_f32_e32 v9, v11, v8
	s_delay_alu instid0(VALU_DEP_1) | instskip(NEXT) | instid1(VALU_DEP_1)
	v_fma_f32 v30, v7, v9, v11
	v_fmac_f32_e32 v9, v30, v8
	s_delay_alu instid0(VALU_DEP_1) | instskip(NEXT) | instid1(VALU_DEP_1)
	v_fmac_f32_e32 v11, v7, v9
	v_div_fmas_f32 v7, v11, v8, v9
	v_dual_fma_f32 v8, v6, v5, v4 :: v_dual_fma_f32 v4, -v6, v4, v5
	s_delay_alu instid0(VALU_DEP_2) | instskip(NEXT) | instid1(VALU_DEP_1)
	v_div_fixup_f32 v7, v7, v10, 1.0
	v_mul_f32_e32 v8, v8, v7
	s_delay_alu instid0(VALU_DEP_3)
	v_mul_f32_e32 v9, v4, v7
.LBB147_133:                            ;   in Loop: Header=BB147_123 Depth=2
	s_addk_co_i32 s31, 0x60
	v_mov_b32_e32 v6, v25
	s_add_co_i32 s30, s31, s30
	s_mov_b32 s31, -1
	v_mov_b32_e32 v4, s30
	ds_load_b128 v[30:33], v4
	ds_load_b64 v[4:5], v4 offset:16
	ds_store_b64 v29, v[8:9] offset:96
	s_wait_dscnt 0x2
	v_pk_mul_f32 v[6:7], v[6:7], v[30:31] op_sel_hi:[0,1]
	s_delay_alu instid0(VALU_DEP_1)
	v_pk_fma_f32 v[34:35], v[24:25], v[30:31], v[6:7] op_sel:[0,0,1] op_sel_hi:[0,1,0]
	v_mov_b32_e32 v10, v9
	v_pk_fma_f32 v[6:7], v[24:25], v[30:31], v[6:7] op_sel:[0,0,1] op_sel_hi:[1,1,0] neg_lo:[0,0,1] neg_hi:[0,0,1]
	s_wait_dscnt 0x1
	v_and_b32_e32 v34, 0x7fffffff, v5
	v_mov_b32_e32 v7, v35
	v_pk_mul_f32 v[10:11], v[10:11], v[32:33] op_sel_hi:[0,1]
	s_delay_alu instid0(VALU_DEP_2) | instskip(NEXT) | instid1(VALU_DEP_2)
	v_pk_add_f32 v[0:1], v[0:1], v[6:7] neg_lo:[0,1] neg_hi:[0,1]
	v_pk_fma_f32 v[30:31], v[8:9], v[32:33], v[10:11] op_sel:[0,0,1] op_sel_hi:[0,1,0]
	v_and_b32_e32 v30, 0x7fffffff, v4
	v_pk_fma_f32 v[10:11], v[8:9], v[32:33], v[10:11] op_sel:[0,0,1] op_sel_hi:[1,1,0] neg_lo:[0,0,1] neg_hi:[0,0,1]
	s_delay_alu instid0(VALU_DEP_3) | instskip(NEXT) | instid1(VALU_DEP_3)
	v_mov_b32_e32 v11, v31
	v_cmp_ngt_f32_e32 vcc_lo, v30, v34
	s_delay_alu instid0(VALU_DEP_2)
	v_pk_add_f32 v[0:1], v[0:1], v[10:11] neg_lo:[0,1] neg_hi:[0,1]
                                        ; implicit-def: $vgpr10_vgpr11
	s_cbranch_vccz .LBB147_135
; %bb.134:                              ;   in Loop: Header=BB147_123 Depth=2
	v_div_scale_f32 v6, null, v5, v5, v4
	v_div_scale_f32 v11, vcc_lo, v4, v5, v4
	s_mov_b32 s31, 0
	v_rcp_f32_e32 v7, v6
	v_nop
	v_xor_b32_e32 v6, 0x80000000, v6
	s_delay_alu instid0(TRANS32_DEP_1) | instid1(VALU_DEP_1)
	v_fma_f32 v10, v6, v7, 1.0
	s_delay_alu instid0(VALU_DEP_1) | instskip(NEXT) | instid1(VALU_DEP_1)
	v_fmac_f32_e32 v7, v10, v7
	v_mul_f32_e32 v10, v11, v7
	s_delay_alu instid0(VALU_DEP_1) | instskip(NEXT) | instid1(VALU_DEP_1)
	v_fma_f32 v30, v6, v10, v11
	v_fmac_f32_e32 v10, v30, v7
	s_delay_alu instid0(VALU_DEP_1) | instskip(NEXT) | instid1(VALU_DEP_1)
	v_fmac_f32_e32 v11, v6, v10
	v_div_fmas_f32 v6, v11, v7, v10
	s_delay_alu instid0(VALU_DEP_1) | instskip(NEXT) | instid1(VALU_DEP_1)
	v_div_fixup_f32 v6, v6, v5, v4
	v_fma_f32 v7, v4, v6, v5
	s_delay_alu instid0(VALU_DEP_1) | instskip(NEXT) | instid1(VALU_DEP_1)
	v_div_scale_f32 v10, null, v7, v7, 1.0
	v_rcp_f32_e32 v11, v10
	v_nop
	v_xor_b32_e32 v10, 0x80000000, v10
	s_delay_alu instid0(TRANS32_DEP_1) | instid1(VALU_DEP_1)
	v_fma_f32 v30, v10, v11, 1.0
	s_delay_alu instid0(VALU_DEP_1) | instskip(SKIP_1) | instid1(VALU_DEP_1)
	v_fmac_f32_e32 v11, v30, v11
	v_div_scale_f32 v30, vcc_lo, 1.0, v7, 1.0
	v_mul_f32_e32 v31, v30, v11
	s_delay_alu instid0(VALU_DEP_1) | instskip(NEXT) | instid1(VALU_DEP_1)
	v_fma_f32 v32, v10, v31, v30
	v_fmac_f32_e32 v31, v32, v11
	s_delay_alu instid0(VALU_DEP_1) | instskip(NEXT) | instid1(VALU_DEP_1)
	v_dual_fmac_f32 v30, v10, v31 :: v_dual_mov_b32 v10, v1
	v_div_fmas_f32 v30, v30, v11, v31
	s_delay_alu instid0(VALU_DEP_2) | instskip(NEXT) | instid1(VALU_DEP_2)
	v_pk_fma_f32 v[10:11], v[6:7], v[0:1], v[10:11]
	v_div_fixup_f32 v11, v30, v7, 1.0
	s_delay_alu instid0(VALU_DEP_1) | instskip(NEXT) | instid1(VALU_DEP_1)
	v_dual_fma_f32 v7, v6, v1, -v0 :: v_dual_mov_b32 v6, v11
	v_pk_mul_f32 v[10:11], v[10:11], v[6:7]
.LBB147_135:                            ;   in Loop: Header=BB147_123 Depth=2
	s_and_not1_b32 vcc_lo, exec_lo, s31
	s_cbranch_vccnz .LBB147_137
; %bb.136:                              ;   in Loop: Header=BB147_123 Depth=2
	v_div_scale_f32 v6, null, v4, v4, v5
	v_div_scale_f32 v11, vcc_lo, v5, v4, v5
	s_delay_alu instid0(VALU_DEP_2)
	v_rcp_f32_e32 v7, v6
	v_nop
	v_xor_b32_e32 v6, 0x80000000, v6
	s_delay_alu instid0(TRANS32_DEP_1) | instid1(VALU_DEP_1)
	v_fma_f32 v10, v6, v7, 1.0
	s_delay_alu instid0(VALU_DEP_1) | instskip(NEXT) | instid1(VALU_DEP_1)
	v_fmac_f32_e32 v7, v10, v7
	v_mul_f32_e32 v10, v11, v7
	s_delay_alu instid0(VALU_DEP_1) | instskip(NEXT) | instid1(VALU_DEP_1)
	v_fma_f32 v30, v6, v10, v11
	v_fmac_f32_e32 v10, v30, v7
	s_delay_alu instid0(VALU_DEP_1) | instskip(NEXT) | instid1(VALU_DEP_1)
	v_fmac_f32_e32 v11, v6, v10
	v_div_fmas_f32 v6, v11, v7, v10
	s_delay_alu instid0(VALU_DEP_1) | instskip(NEXT) | instid1(VALU_DEP_1)
	v_div_fixup_f32 v6, v6, v4, v5
	v_fmac_f32_e32 v4, v5, v6
	s_delay_alu instid0(VALU_DEP_1) | instskip(SKIP_1) | instid1(VALU_DEP_2)
	v_div_scale_f32 v5, null, v4, v4, 1.0
	v_div_scale_f32 v11, vcc_lo, 1.0, v4, 1.0
	v_rcp_f32_e32 v7, v5
	v_nop
	v_xor_b32_e32 v5, 0x80000000, v5
	s_delay_alu instid0(TRANS32_DEP_1) | instid1(VALU_DEP_1)
	v_fma_f32 v10, v5, v7, 1.0
	s_delay_alu instid0(VALU_DEP_1) | instskip(NEXT) | instid1(VALU_DEP_1)
	v_fmac_f32_e32 v7, v10, v7
	v_mul_f32_e32 v10, v11, v7
	s_delay_alu instid0(VALU_DEP_1) | instskip(NEXT) | instid1(VALU_DEP_1)
	v_fma_f32 v30, v5, v10, v11
	v_fmac_f32_e32 v10, v30, v7
	s_delay_alu instid0(VALU_DEP_1) | instskip(NEXT) | instid1(VALU_DEP_1)
	v_fmac_f32_e32 v11, v5, v10
	v_div_fmas_f32 v5, v11, v7, v10
	v_pk_fma_f32 v[10:11], v[6:7], v[0:1], v[0:1] op_sel:[0,1,0] op_sel_hi:[0,0,1] neg_lo:[1,0,0] neg_hi:[1,0,0]
	v_pk_fma_f32 v[0:1], v[6:7], v[0:1], v[0:1] op_sel:[0,1,0] op_sel_hi:[1,0,1]
	s_delay_alu instid0(VALU_DEP_3) | instskip(NEXT) | instid1(VALU_DEP_3)
	v_div_fixup_f32 v4, v5, v4, 1.0
	v_mov_b32_e32 v1, v11
	s_delay_alu instid0(VALU_DEP_1)
	v_pk_mul_f32 v[10:11], v[0:1], v[4:5] op_sel_hi:[1,0]
.LBB147_137:                            ;   in Loop: Header=BB147_123 Depth=2
	v_dual_mov_b32 v0, s30 :: v_dual_mov_b32 v1, v25
	v_dual_mov_b32 v34, v9 :: v_dual_mov_b32 v35, v9
	s_mov_b32 s30, -1
	ds_load_b128 v[30:33], v0 offset:96
	ds_load_b128 v[4:7], v0 offset:112
	v_dual_mov_b32 v0, v25 :: v_dual_mov_b32 v25, v24
	ds_store_b64 v29, v[10:11] offset:192
	s_wait_dscnt 0x2
	v_pk_mul_f32 v[0:1], v[0:1], v[30:31]
	v_pk_mul_f32 v[34:35], v[34:35], v[32:33]
	s_delay_alu instid0(VALU_DEP_2)
	v_pk_fma_f32 v[36:37], v[24:25], v[30:31], v[0:1] op_sel:[0,0,1] op_sel_hi:[1,1,0]
	v_mov_b32_e32 v9, v8
	v_pk_fma_f32 v[0:1], v[24:25], v[30:31], v[0:1] op_sel:[0,0,1] op_sel_hi:[1,1,0] neg_lo:[0,0,1] neg_hi:[0,0,1]
	s_wait_dscnt 0x1
	v_pk_mul_f32 v[30:31], v[10:11], v[4:5] op_sel:[1,1] op_sel_hi:[1,0]
	v_mov_b32_e32 v1, v37
	v_pk_fma_f32 v[24:25], v[8:9], v[32:33], v[34:35] op_sel:[0,0,1] op_sel_hi:[1,1,0]
	v_pk_fma_f32 v[8:9], v[8:9], v[32:33], v[34:35] op_sel:[0,0,1] op_sel_hi:[1,1,0] neg_lo:[0,0,1] neg_hi:[0,0,1]
	v_and_b32_e32 v24, 0x7fffffff, v7
	s_delay_alu instid0(VALU_DEP_4) | instskip(SKIP_4) | instid1(VALU_DEP_4)
	v_pk_add_f32 v[0:1], v[2:3], v[0:1] neg_lo:[0,1] neg_hi:[0,1]
	v_pk_fma_f32 v[2:3], v[10:11], v[4:5], v[30:31] op_sel_hi:[0,1,1]
	v_mov_b32_e32 v9, v25
	v_and_b32_e32 v2, 0x7fffffff, v6
	v_pk_fma_f32 v[4:5], v[10:11], v[4:5], v[30:31] neg_lo:[0,0,1] neg_hi:[0,0,1]
	v_mov_b32_e32 v5, v3
	s_delay_alu instid0(VALU_DEP_4) | instskip(NEXT) | instid1(VALU_DEP_4)
	v_pk_add_f32 v[0:1], v[0:1], v[8:9] neg_lo:[0,1] neg_hi:[0,1]
	v_cmp_ngt_f32_e32 vcc_lo, v2, v24
                                        ; implicit-def: $vgpr2_vgpr3
	s_delay_alu instid0(VALU_DEP_2)
	v_pk_add_f32 v[0:1], v[0:1], v[4:5] neg_lo:[0,1] neg_hi:[0,1]
	s_cbranch_vccz .LBB147_139
; %bb.138:                              ;   in Loop: Header=BB147_123 Depth=2
	v_div_scale_f32 v2, null, v7, v7, v6
	v_div_scale_f32 v5, vcc_lo, v6, v7, v6
	s_mov_b32 s30, 0
	v_rcp_f32_e32 v3, v2
	v_nop
	v_xor_b32_e32 v2, 0x80000000, v2
	s_delay_alu instid0(TRANS32_DEP_1) | instid1(VALU_DEP_1)
	v_fma_f32 v4, v2, v3, 1.0
	s_delay_alu instid0(VALU_DEP_1) | instskip(NEXT) | instid1(VALU_DEP_1)
	v_fmac_f32_e32 v3, v4, v3
	v_mul_f32_e32 v4, v5, v3
	s_delay_alu instid0(VALU_DEP_1) | instskip(NEXT) | instid1(VALU_DEP_1)
	v_fma_f32 v8, v2, v4, v5
	v_fmac_f32_e32 v4, v8, v3
	s_delay_alu instid0(VALU_DEP_1) | instskip(NEXT) | instid1(VALU_DEP_1)
	v_fmac_f32_e32 v5, v2, v4
	v_div_fmas_f32 v2, v5, v3, v4
	s_delay_alu instid0(VALU_DEP_1) | instskip(NEXT) | instid1(VALU_DEP_1)
	v_div_fixup_f32 v2, v2, v7, v6
	v_fma_f32 v3, v6, v2, v7
	s_delay_alu instid0(VALU_DEP_1) | instskip(NEXT) | instid1(VALU_DEP_1)
	v_div_scale_f32 v4, null, v3, v3, 1.0
	v_rcp_f32_e32 v5, v4
	v_nop
	v_xor_b32_e32 v4, 0x80000000, v4
	s_delay_alu instid0(TRANS32_DEP_1) | instid1(VALU_DEP_1)
	v_fma_f32 v8, v4, v5, 1.0
	s_delay_alu instid0(VALU_DEP_1) | instskip(SKIP_1) | instid1(VALU_DEP_1)
	v_fmac_f32_e32 v5, v8, v5
	v_div_scale_f32 v8, vcc_lo, 1.0, v3, 1.0
	v_mul_f32_e32 v9, v8, v5
	s_delay_alu instid0(VALU_DEP_1) | instskip(NEXT) | instid1(VALU_DEP_1)
	v_fma_f32 v10, v4, v9, v8
	v_fmac_f32_e32 v9, v10, v5
	s_delay_alu instid0(VALU_DEP_1) | instskip(NEXT) | instid1(VALU_DEP_1)
	v_dual_fmac_f32 v8, v4, v9 :: v_dual_mov_b32 v4, v1
	v_div_fmas_f32 v8, v8, v5, v9
	s_delay_alu instid0(VALU_DEP_2) | instskip(NEXT) | instid1(VALU_DEP_2)
	v_pk_fma_f32 v[4:5], v[2:3], v[0:1], v[4:5]
	v_div_fixup_f32 v5, v8, v3, 1.0
	s_delay_alu instid0(VALU_DEP_1) | instskip(NEXT) | instid1(VALU_DEP_1)
	v_dual_fma_f32 v3, v2, v1, -v0 :: v_dual_mov_b32 v2, v5
	v_pk_mul_f32 v[2:3], v[4:5], v[2:3]
.LBB147_139:                            ;   in Loop: Header=BB147_123 Depth=2
	s_and_not1_b32 vcc_lo, exec_lo, s30
	s_cbranch_vccnz .LBB147_141
; %bb.140:                              ;   in Loop: Header=BB147_123 Depth=2
	v_div_scale_f32 v2, null, v6, v6, v7
	v_div_scale_f32 v5, vcc_lo, v7, v6, v7
	s_delay_alu instid0(VALU_DEP_2)
	v_rcp_f32_e32 v3, v2
	v_nop
	v_xor_b32_e32 v2, 0x80000000, v2
	s_delay_alu instid0(TRANS32_DEP_1) | instid1(VALU_DEP_1)
	v_fma_f32 v4, v2, v3, 1.0
	s_delay_alu instid0(VALU_DEP_1) | instskip(NEXT) | instid1(VALU_DEP_1)
	v_fmac_f32_e32 v3, v4, v3
	v_mul_f32_e32 v4, v5, v3
	s_delay_alu instid0(VALU_DEP_1) | instskip(NEXT) | instid1(VALU_DEP_1)
	v_fma_f32 v8, v2, v4, v5
	v_fmac_f32_e32 v4, v8, v3
	s_delay_alu instid0(VALU_DEP_1) | instskip(NEXT) | instid1(VALU_DEP_1)
	v_fmac_f32_e32 v5, v2, v4
	v_div_fmas_f32 v2, v5, v3, v4
	s_delay_alu instid0(VALU_DEP_1) | instskip(NEXT) | instid1(VALU_DEP_1)
	v_div_fixup_f32 v2, v2, v6, v7
	v_fmac_f32_e32 v6, v7, v2
	s_delay_alu instid0(VALU_DEP_1) | instskip(SKIP_1) | instid1(VALU_DEP_2)
	v_div_scale_f32 v3, null, v6, v6, 1.0
	v_div_scale_f32 v7, vcc_lo, 1.0, v6, 1.0
	v_rcp_f32_e32 v4, v3
	v_nop
	v_xor_b32_e32 v3, 0x80000000, v3
	s_delay_alu instid0(TRANS32_DEP_1) | instid1(VALU_DEP_1)
	v_fma_f32 v5, v3, v4, 1.0
	s_delay_alu instid0(VALU_DEP_1) | instskip(NEXT) | instid1(VALU_DEP_1)
	v_fmac_f32_e32 v4, v5, v4
	v_mul_f32_e32 v5, v7, v4
	s_delay_alu instid0(VALU_DEP_1) | instskip(NEXT) | instid1(VALU_DEP_1)
	v_fma_f32 v8, v3, v5, v7
	v_fmac_f32_e32 v5, v8, v4
	s_delay_alu instid0(VALU_DEP_1) | instskip(NEXT) | instid1(VALU_DEP_1)
	v_fmac_f32_e32 v7, v3, v5
	v_div_fmas_f32 v3, v7, v4, v5
	s_delay_alu instid0(VALU_DEP_1) | instskip(SKIP_2) | instid1(VALU_DEP_3)
	v_pk_fma_f32 v[4:5], v[2:3], v[0:1], v[0:1] op_sel:[0,1,0] op_sel_hi:[0,0,1] neg_lo:[1,0,0] neg_hi:[1,0,0]
	v_pk_fma_f32 v[0:1], v[2:3], v[0:1], v[0:1] op_sel:[0,1,0] op_sel_hi:[1,0,1]
	v_div_fixup_f32 v2, v3, v6, 1.0
	v_mov_b32_e32 v1, v5
	s_delay_alu instid0(VALU_DEP_1)
	v_pk_mul_f32 v[2:3], v[0:1], v[2:3] op_sel_hi:[1,0]
.LBB147_141:                            ;   in Loop: Header=BB147_123 Depth=2
	s_add_co_i32 s30, s18, 4
	s_add_co_i32 s18, s18, 7
	s_addk_co_i32 s3, 0x180
	s_cmp_ge_i32 s18, s37
	ds_store_b64 v29, v[2:3] offset:288
	s_cbranch_scc1 .LBB147_143
; %bb.142:                              ;   in Loop: Header=BB147_123 Depth=2
	s_mov_b32 s18, s30
	s_branch .LBB147_123
.LBB147_143:                            ;   in Loop: Header=BB147_3 Depth=1
	s_cmp_ge_i32 s30, s37
	s_cbranch_scc1 .LBB147_152
; %bb.144:                              ;   in Loop: Header=BB147_3 Depth=1
	s_mul_i32 s3, s30, 0x60
	s_branch .LBB147_146
.LBB147_145:                            ;   in Loop: Header=BB147_146 Depth=2
	s_add_co_i32 s30, s30, 1
	s_addk_co_i32 s3, 0x60
	s_cmp_ge_i32 s30, s37
	ds_store_b64 v6, v[4:5]
	s_cbranch_scc1 .LBB147_152
.LBB147_146:                            ;   Parent Loop BB147_3 Depth=1
                                        ; =>  This Loop Header: Depth=2
                                        ;       Child Loop BB147_147 Depth 3
	v_mad_u32 v6, 0x60, s30, v26
	v_mov_b32_e32 v2, v26
	s_cmp_eq_u32 s30, 0
	s_mov_b32 s18, s3
	s_mov_b32 s31, s30
	ds_load_b64 v[0:1], v6
	s_cbranch_scc1 .LBB147_148
.LBB147_147:                            ;   Parent Loop BB147_3 Depth=1
                                        ;     Parent Loop BB147_146 Depth=2
                                        ; =>    This Inner Loop Header: Depth=3
	v_mov_b32_e32 v3, s18
	s_add_co_i32 s31, s31, -1
	s_add_co_i32 s18, s18, 8
	s_cmp_eq_u32 s31, 0
	ds_load_b64 v[4:5], v2
	ds_load_b64 v[8:9], v3
	v_add_nc_u32_e32 v2, 0x60, v2
	s_wait_dscnt 0x0
	v_pk_mul_f32 v[10:11], v[8:9], v[4:5] op_sel:[1,1] op_sel_hi:[0,1]
	s_delay_alu instid0(VALU_DEP_1) | instskip(SKIP_1) | instid1(VALU_DEP_2)
	v_pk_fma_f32 v[24:25], v[8:9], v[4:5], v[10:11] op_sel_hi:[1,0,1]
	v_pk_fma_f32 v[4:5], v[8:9], v[4:5], v[10:11] op_sel_hi:[1,0,1] neg_lo:[0,0,1] neg_hi:[0,0,1]
	v_mov_b32_e32 v5, v25
	s_delay_alu instid0(VALU_DEP_1)
	v_pk_add_f32 v[0:1], v[0:1], v[4:5] neg_lo:[0,1] neg_hi:[0,1]
	s_cbranch_scc0 .LBB147_147
.LBB147_148:                            ;   in Loop: Header=BB147_146 Depth=2
	s_mul_i32 s18, s30, 0x68
	s_delay_alu instid0(SALU_CYCLE_1)
	v_mov_b32_e32 v2, s18
	s_mov_b32 s18, -1
	ds_load_b64 v[2:3], v2
	s_wait_dscnt 0x0
	v_and_b32_e32 v4, 0x7fffffff, v2
	v_and_b32_e32 v5, 0x7fffffff, v3
	s_delay_alu instid0(VALU_DEP_1)
	v_cmp_ngt_f32_e32 vcc_lo, v4, v5
                                        ; implicit-def: $vgpr4_vgpr5
	s_cbranch_vccz .LBB147_150
; %bb.149:                              ;   in Loop: Header=BB147_146 Depth=2
	v_div_scale_f32 v4, null, v3, v3, v2
	v_div_scale_f32 v8, vcc_lo, v2, v3, v2
	s_mov_b32 s18, 0
	v_rcp_f32_e32 v5, v4
	v_nop
	v_xor_b32_e32 v4, 0x80000000, v4
	s_delay_alu instid0(TRANS32_DEP_1) | instid1(VALU_DEP_1)
	v_fma_f32 v7, v4, v5, 1.0
	s_delay_alu instid0(VALU_DEP_1) | instskip(NEXT) | instid1(VALU_DEP_1)
	v_fmac_f32_e32 v5, v7, v5
	v_mul_f32_e32 v7, v8, v5
	s_delay_alu instid0(VALU_DEP_1) | instskip(NEXT) | instid1(VALU_DEP_1)
	v_fma_f32 v9, v4, v7, v8
	v_fmac_f32_e32 v7, v9, v5
	s_delay_alu instid0(VALU_DEP_1) | instskip(NEXT) | instid1(VALU_DEP_1)
	v_fmac_f32_e32 v8, v4, v7
	v_div_fmas_f32 v4, v8, v5, v7
	s_delay_alu instid0(VALU_DEP_1) | instskip(NEXT) | instid1(VALU_DEP_1)
	v_div_fixup_f32 v4, v4, v3, v2
	v_fma_f32 v7, v2, v4, v3
	s_delay_alu instid0(VALU_DEP_1) | instskip(SKIP_1) | instid1(VALU_DEP_2)
	v_div_scale_f32 v5, null, v7, v7, 1.0
	v_div_scale_f32 v10, vcc_lo, 1.0, v7, 1.0
	v_rcp_f32_e32 v8, v5
	v_nop
	v_xor_b32_e32 v5, 0x80000000, v5
	s_delay_alu instid0(TRANS32_DEP_1) | instid1(VALU_DEP_1)
	v_fma_f32 v9, v5, v8, 1.0
	s_delay_alu instid0(VALU_DEP_1) | instskip(NEXT) | instid1(VALU_DEP_1)
	v_fmac_f32_e32 v8, v9, v8
	v_mul_f32_e32 v9, v10, v8
	s_delay_alu instid0(VALU_DEP_1) | instskip(NEXT) | instid1(VALU_DEP_1)
	v_fma_f32 v11, v5, v9, v10
	v_fmac_f32_e32 v9, v11, v8
	s_delay_alu instid0(VALU_DEP_1) | instskip(NEXT) | instid1(VALU_DEP_1)
	v_fmac_f32_e32 v10, v5, v9
	v_div_fmas_f32 v10, v10, v8, v9
	v_pk_fma_f32 v[8:9], v[0:1], v[4:5], v[0:1] op_sel:[0,0,1] op_sel_hi:[1,0,0] neg_lo:[0,0,1] neg_hi:[0,0,1]
	v_pk_fma_f32 v[4:5], v[0:1], v[4:5], v[0:1] op_sel:[0,0,1] op_sel_hi:[1,0,0]
	s_delay_alu instid0(VALU_DEP_3) | instskip(NEXT) | instid1(VALU_DEP_3)
	v_div_fixup_f32 v8, v10, v7, 1.0
	v_mov_b32_e32 v5, v9
	s_delay_alu instid0(VALU_DEP_1)
	v_pk_mul_f32 v[4:5], v[4:5], v[8:9] op_sel_hi:[1,0]
.LBB147_150:                            ;   in Loop: Header=BB147_146 Depth=2
	s_and_not1_b32 vcc_lo, exec_lo, s18
	s_cbranch_vccnz .LBB147_145
; %bb.151:                              ;   in Loop: Header=BB147_146 Depth=2
	v_div_scale_f32 v4, null, v2, v2, v3
	v_div_scale_f32 v8, vcc_lo, v3, v2, v3
	s_delay_alu instid0(VALU_DEP_2)
	v_rcp_f32_e32 v5, v4
	v_nop
	v_xor_b32_e32 v4, 0x80000000, v4
	s_delay_alu instid0(TRANS32_DEP_1) | instid1(VALU_DEP_1)
	v_fma_f32 v7, v4, v5, 1.0
	s_delay_alu instid0(VALU_DEP_1) | instskip(NEXT) | instid1(VALU_DEP_1)
	v_fmac_f32_e32 v5, v7, v5
	v_mul_f32_e32 v7, v8, v5
	s_delay_alu instid0(VALU_DEP_1) | instskip(NEXT) | instid1(VALU_DEP_1)
	v_fma_f32 v9, v4, v7, v8
	v_fmac_f32_e32 v7, v9, v5
	s_delay_alu instid0(VALU_DEP_1) | instskip(NEXT) | instid1(VALU_DEP_1)
	v_fmac_f32_e32 v8, v4, v7
	v_div_fmas_f32 v4, v8, v5, v7
	s_delay_alu instid0(VALU_DEP_1) | instskip(NEXT) | instid1(VALU_DEP_1)
	v_div_fixup_f32 v4, v4, v2, v3
	v_fmac_f32_e32 v2, v3, v4
	s_delay_alu instid0(VALU_DEP_1) | instskip(SKIP_1) | instid1(VALU_DEP_2)
	v_div_scale_f32 v3, null, v2, v2, 1.0
	v_div_scale_f32 v8, vcc_lo, 1.0, v2, 1.0
	v_rcp_f32_e32 v5, v3
	v_nop
	v_xor_b32_e32 v3, 0x80000000, v3
	s_delay_alu instid0(TRANS32_DEP_1) | instid1(VALU_DEP_1)
	v_fma_f32 v7, v3, v5, 1.0
	s_delay_alu instid0(VALU_DEP_1) | instskip(NEXT) | instid1(VALU_DEP_1)
	v_fmac_f32_e32 v5, v7, v5
	v_mul_f32_e32 v7, v8, v5
	s_delay_alu instid0(VALU_DEP_1) | instskip(NEXT) | instid1(VALU_DEP_1)
	v_fma_f32 v9, v3, v7, v8
	v_fmac_f32_e32 v7, v9, v5
	s_delay_alu instid0(VALU_DEP_1) | instskip(NEXT) | instid1(VALU_DEP_1)
	v_fmac_f32_e32 v8, v3, v7
	v_div_fmas_f32 v3, v8, v5, v7
	v_pk_fma_f32 v[8:9], v[0:1], v[4:5], v[0:1] op_sel:[1,0,0] op_sel_hi:[0,0,1] neg_lo:[1,0,0] neg_hi:[1,0,0]
	v_pk_fma_f32 v[0:1], v[0:1], v[4:5], v[0:1] op_sel:[1,0,0] op_sel_hi:[0,0,1]
	s_delay_alu instid0(VALU_DEP_3) | instskip(NEXT) | instid1(VALU_DEP_3)
	v_div_fixup_f32 v2, v3, v2, 1.0
	v_mov_b32_e32 v1, v9
	s_delay_alu instid0(VALU_DEP_1)
	v_pk_mul_f32 v[4:5], v[0:1], v[2:3] op_sel_hi:[1,0]
	s_branch .LBB147_145
.LBB147_152:                            ;   in Loop: Header=BB147_3 Depth=1
	s_and_saveexec_b32 s3, s43
	s_cbranch_execz .LBB147_2
; %bb.153:                              ;   in Loop: Header=BB147_3 Depth=1
	v_add_nc_u64_e32 v[0:1], s[28:29], v[16:17]
	v_mov_b32_e32 v2, v26
	s_mov_b32 s18, s16
.LBB147_154:                            ;   Parent Loop BB147_3 Depth=1
                                        ; =>  This Inner Loop Header: Depth=2
	ds_load_b64 v[4:5], v2
	v_add_nc_u32_e32 v2, 0x60, v2
	s_add_co_i32 s18, s18, -1
	s_delay_alu instid0(SALU_CYCLE_1)
	s_cmp_lg_u32 s18, 0
	s_wait_dscnt 0x0
	global_store_b64 v[0:1], v[4:5], off
	s_wait_xcnt 0x0
	v_add_nc_u64_e32 v[0:1], s[10:11], v[0:1]
	s_cbranch_scc1 .LBB147_154
	s_branch .LBB147_2
.LBB147_155:
	s_endpgm
	.section	.rodata,"a",@progbits
	.p2align	6, 0x0
	.amdhsa_kernel _ZL31rocblas_trsm_small_right_deviceI19rocblas_complex_numIfES1_PKS1_PS1_Li12EEv13rocblas_fill_18rocblas_operation_17rocblas_diagonal_iiT0_T1_lilT2_lili
		.amdhsa_group_segment_fixed_size 2304
		.amdhsa_private_segment_fixed_size 0
		.amdhsa_kernarg_size 360
		.amdhsa_user_sgpr_count 2
		.amdhsa_user_sgpr_dispatch_ptr 0
		.amdhsa_user_sgpr_queue_ptr 0
		.amdhsa_user_sgpr_kernarg_segment_ptr 1
		.amdhsa_user_sgpr_dispatch_id 0
		.amdhsa_user_sgpr_kernarg_preload_length 0
		.amdhsa_user_sgpr_kernarg_preload_offset 0
		.amdhsa_user_sgpr_private_segment_size 0
		.amdhsa_wavefront_size32 1
		.amdhsa_uses_dynamic_stack 0
		.amdhsa_enable_private_segment 0
		.amdhsa_system_sgpr_workgroup_id_x 1
		.amdhsa_system_sgpr_workgroup_id_y 0
		.amdhsa_system_sgpr_workgroup_id_z 1
		.amdhsa_system_sgpr_workgroup_info 0
		.amdhsa_system_vgpr_workitem_id 0
		.amdhsa_next_free_vgpr 46
		.amdhsa_next_free_sgpr 53
		.amdhsa_named_barrier_count 0
		.amdhsa_reserve_vcc 1
		.amdhsa_float_round_mode_32 0
		.amdhsa_float_round_mode_16_64 0
		.amdhsa_float_denorm_mode_32 3
		.amdhsa_float_denorm_mode_16_64 3
		.amdhsa_fp16_overflow 0
		.amdhsa_memory_ordered 1
		.amdhsa_forward_progress 1
		.amdhsa_inst_pref_size 126
		.amdhsa_round_robin_scheduling 0
		.amdhsa_exception_fp_ieee_invalid_op 0
		.amdhsa_exception_fp_denorm_src 0
		.amdhsa_exception_fp_ieee_div_zero 0
		.amdhsa_exception_fp_ieee_overflow 0
		.amdhsa_exception_fp_ieee_underflow 0
		.amdhsa_exception_fp_ieee_inexact 0
		.amdhsa_exception_int_div_zero 0
	.end_amdhsa_kernel
	.section	.text._ZL31rocblas_trsm_small_right_deviceI19rocblas_complex_numIfES1_PKS1_PS1_Li12EEv13rocblas_fill_18rocblas_operation_17rocblas_diagonal_iiT0_T1_lilT2_lili,"axG",@progbits,_ZL31rocblas_trsm_small_right_deviceI19rocblas_complex_numIfES1_PKS1_PS1_Li12EEv13rocblas_fill_18rocblas_operation_17rocblas_diagonal_iiT0_T1_lilT2_lili,comdat
.Lfunc_end147:
	.size	_ZL31rocblas_trsm_small_right_deviceI19rocblas_complex_numIfES1_PKS1_PS1_Li12EEv13rocblas_fill_18rocblas_operation_17rocblas_diagonal_iiT0_T1_lilT2_lili, .Lfunc_end147-_ZL31rocblas_trsm_small_right_deviceI19rocblas_complex_numIfES1_PKS1_PS1_Li12EEv13rocblas_fill_18rocblas_operation_17rocblas_diagonal_iiT0_T1_lilT2_lili
                                        ; -- End function
	.set _ZL31rocblas_trsm_small_right_deviceI19rocblas_complex_numIfES1_PKS1_PS1_Li12EEv13rocblas_fill_18rocblas_operation_17rocblas_diagonal_iiT0_T1_lilT2_lili.num_vgpr, 46
	.set _ZL31rocblas_trsm_small_right_deviceI19rocblas_complex_numIfES1_PKS1_PS1_Li12EEv13rocblas_fill_18rocblas_operation_17rocblas_diagonal_iiT0_T1_lilT2_lili.num_agpr, 0
	.set _ZL31rocblas_trsm_small_right_deviceI19rocblas_complex_numIfES1_PKS1_PS1_Li12EEv13rocblas_fill_18rocblas_operation_17rocblas_diagonal_iiT0_T1_lilT2_lili.numbered_sgpr, 53
	.set _ZL31rocblas_trsm_small_right_deviceI19rocblas_complex_numIfES1_PKS1_PS1_Li12EEv13rocblas_fill_18rocblas_operation_17rocblas_diagonal_iiT0_T1_lilT2_lili.num_named_barrier, 0
	.set _ZL31rocblas_trsm_small_right_deviceI19rocblas_complex_numIfES1_PKS1_PS1_Li12EEv13rocblas_fill_18rocblas_operation_17rocblas_diagonal_iiT0_T1_lilT2_lili.private_seg_size, 0
	.set _ZL31rocblas_trsm_small_right_deviceI19rocblas_complex_numIfES1_PKS1_PS1_Li12EEv13rocblas_fill_18rocblas_operation_17rocblas_diagonal_iiT0_T1_lilT2_lili.uses_vcc, 1
	.set _ZL31rocblas_trsm_small_right_deviceI19rocblas_complex_numIfES1_PKS1_PS1_Li12EEv13rocblas_fill_18rocblas_operation_17rocblas_diagonal_iiT0_T1_lilT2_lili.uses_flat_scratch, 0
	.set _ZL31rocblas_trsm_small_right_deviceI19rocblas_complex_numIfES1_PKS1_PS1_Li12EEv13rocblas_fill_18rocblas_operation_17rocblas_diagonal_iiT0_T1_lilT2_lili.has_dyn_sized_stack, 0
	.set _ZL31rocblas_trsm_small_right_deviceI19rocblas_complex_numIfES1_PKS1_PS1_Li12EEv13rocblas_fill_18rocblas_operation_17rocblas_diagonal_iiT0_T1_lilT2_lili.has_recursion, 0
	.set _ZL31rocblas_trsm_small_right_deviceI19rocblas_complex_numIfES1_PKS1_PS1_Li12EEv13rocblas_fill_18rocblas_operation_17rocblas_diagonal_iiT0_T1_lilT2_lili.has_indirect_call, 0
	.section	.AMDGPU.csdata,"",@progbits
; Kernel info:
; codeLenInByte = 16092
; TotalNumSgprs: 55
; NumVgprs: 46
; ScratchSize: 0
; MemoryBound: 0
; FloatMode: 240
; IeeeMode: 1
; LDSByteSize: 2304 bytes/workgroup (compile time only)
; SGPRBlocks: 0
; VGPRBlocks: 2
; NumSGPRsForWavesPerEU: 55
; NumVGPRsForWavesPerEU: 46
; NamedBarCnt: 0
; Occupancy: 16
; WaveLimiterHint : 0
; COMPUTE_PGM_RSRC2:SCRATCH_EN: 0
; COMPUTE_PGM_RSRC2:USER_SGPR: 2
; COMPUTE_PGM_RSRC2:TRAP_HANDLER: 0
; COMPUTE_PGM_RSRC2:TGID_X_EN: 1
; COMPUTE_PGM_RSRC2:TGID_Y_EN: 0
; COMPUTE_PGM_RSRC2:TGID_Z_EN: 1
; COMPUTE_PGM_RSRC2:TIDIG_COMP_CNT: 0
	.section	.text._ZL38rocblas_trsm_small_left_device_sharedBILi16ELi16ELb0E19rocblas_complex_numIfES1_PKS1_PS1_Ev13rocblas_fill_18rocblas_operation_17rocblas_diagonal_iiT3_T4_lilT5_lili,"axG",@progbits,_ZL38rocblas_trsm_small_left_device_sharedBILi16ELi16ELb0E19rocblas_complex_numIfES1_PKS1_PS1_Ev13rocblas_fill_18rocblas_operation_17rocblas_diagonal_iiT3_T4_lilT5_lili,comdat
	.globl	_ZL38rocblas_trsm_small_left_device_sharedBILi16ELi16ELb0E19rocblas_complex_numIfES1_PKS1_PS1_Ev13rocblas_fill_18rocblas_operation_17rocblas_diagonal_iiT3_T4_lilT5_lili ; -- Begin function _ZL38rocblas_trsm_small_left_device_sharedBILi16ELi16ELb0E19rocblas_complex_numIfES1_PKS1_PS1_Ev13rocblas_fill_18rocblas_operation_17rocblas_diagonal_iiT3_T4_lilT5_lili
	.p2align	8
	.type	_ZL38rocblas_trsm_small_left_device_sharedBILi16ELi16ELb0E19rocblas_complex_numIfES1_PKS1_PS1_Ev13rocblas_fill_18rocblas_operation_17rocblas_diagonal_iiT3_T4_lilT5_lili,@function
_ZL38rocblas_trsm_small_left_device_sharedBILi16ELi16ELb0E19rocblas_complex_numIfES1_PKS1_PS1_Ev13rocblas_fill_18rocblas_operation_17rocblas_diagonal_iiT3_T4_lilT5_lili: ; @_ZL38rocblas_trsm_small_left_device_sharedBILi16ELi16ELb0E19rocblas_complex_numIfES1_PKS1_PS1_Ev13rocblas_fill_18rocblas_operation_17rocblas_diagonal_iiT3_T4_lilT5_lili
; %bb.0:
	s_load_b32 s30, s[0:1], 0x60
	s_bfe_u32 s2, ttmp6, 0x40014
	s_lshr_b32 s4, ttmp7, 16
	s_add_co_i32 s2, s2, 1
	s_bfe_u32 s5, ttmp6, 0x40008
	s_mul_i32 s2, s4, s2
	s_getreg_b32 s3, hwreg(HW_REG_IB_STS2, 6, 4)
	s_add_co_i32 s5, s5, s2
	s_cmp_eq_u32 s3, 0
	s_mov_b32 s15, 0
	s_cselect_b32 s2, s4, s5
	s_wait_kmcnt 0x0
	s_cmp_ge_u32 s2, s30
	s_cbranch_scc1 .LBB148_86
; %bb.1:
	s_clause 0x4
	s_load_b32 s20, s[0:1], 0x30
	s_load_b96 s[12:14], s[0:1], 0x48
	s_load_b128 s[8:11], s[0:1], 0x4
	s_load_b32 s4, s[0:1], 0x68
	s_load_b64 s[16:17], s[0:1], 0x14
	v_dual_mov_b32 v1, 0 :: v_dual_lshlrev_b32 v2, 3, v0
	v_mov_b64_e32 v[8:9], 0xbf80000000000000
	v_mov_b64_e32 v[12:13], 0x3f800000
	s_load_b128 s[24:27], s[0:1], 0x20
	s_delay_alu instid0(VALU_DEP_3)
	v_or_b32_e32 v22, 0x800, v2
	v_dual_mov_b32 v3, v1 :: v_dual_lshlrev_b32 v14, 7, v0
	s_wait_kmcnt 0x0
	s_ashr_i32 s21, s20, 31
	s_ashr_i32 s19, s14, 31
	s_cmp_lg_u32 s8, 0x71
	s_mov_b32 s18, s14
	s_cselect_b32 s31, -1, 0
	s_bfe_u32 s5, ttmp6, 0x4000c
	s_min_i32 s33, s10, 16
	s_add_co_i32 s5, s5, 1
	s_and_b32 s6, ttmp6, 15
	s_mul_i32 s5, ttmp9, s5
	s_lshl_b64 s[12:13], s[12:13], 3
	s_add_co_i32 s4, s4, -1
	s_add_co_i32 s34, s33, -1
	s_add_co_i32 s6, s6, s5
	s_cmp_eq_u32 s3, 0
	v_mul_u64_e32 v[6:7], s[18:19], v[0:1]
	s_cselect_b32 s3, ttmp9, s6
	s_delay_alu instid0(SALU_CYCLE_1) | instskip(NEXT) | instid1(SALU_CYCLE_1)
	s_lshl_b32 s22, s3, 4
	s_sub_co_i32 s5, s11, s22
	s_cmp_ge_u32 s3, s4
	s_mov_b32 s11, s17
	s_cselect_b32 s3, s5, 16
	s_ashr_i32 s23, s22, 31
	v_cmp_gt_i32_e32 vcc_lo, s3, v0
	s_mul_u64 s[4:5], s[18:19], s[22:23]
	s_delay_alu instid0(SALU_CYCLE_1)
	s_lshl_b64 s[28:29], s[4:5], 3
	s_load_b128 s[4:7], s[0:1], 0x38
	s_cmp_lg_u32 s9, 0x84
	s_cselect_b32 s35, -1, 0
	s_cmp_gt_i32 s10, 0
	s_cselect_b32 s3, -1, 0
	s_cmp_lg_u32 s8, 0x6f
	s_cselect_b32 s36, -1, 0
	s_and_b32 s37, vcc_lo, s3
	s_cmp_gt_i32 s10, 1
	s_mov_b32 s10, s17
	s_cselect_b32 s38, -1, 0
	s_and_b32 s39, s33, 30
	s_delay_alu instid0(SALU_CYCLE_1)
	s_cmp_lg_u32 s33, s39
	s_cselect_b32 s40, -1, 0
	s_lshl_b64 s[8:9], s[22:23], 3
	s_wait_kmcnt 0x0
	s_add_nc_u64 s[22:23], s[6:7], s[12:13]
	v_or_b32_e32 v10, s8, v2
	s_load_b64 s[6:7], s[0:1], 0x58
	s_wait_xcnt 0x0
	s_lshl_b64 s[0:1], s[26:27], 3
	s_lshl_b32 s41, s33, 7
	s_add_nc_u64 s[0:1], s[24:25], s[0:1]
	v_mad_nc_u64_u32 v[4:5], v10, s14, s[22:23]
	s_mov_b32 s8, s16
	s_mov_b32 s12, s17
	s_mov_b32 s13, s16
	s_lshl_b64 s[4:5], s[4:5], 3
	s_lshl_b64 s[20:21], s[20:21], 3
	s_addk_co_i32 s41, 0xff80
	s_get_pc_i64 s[24:25]
	s_add_nc_u64 s[24:25], s[24:25], __const._ZL38rocblas_trsm_small_left_device_sharedBILi16ELi16ELb0E19rocblas_complex_numIfES1_PKS1_PS1_Ev13rocblas_fill_18rocblas_operation_17rocblas_diagonal_iiT3_T4_lilT5_lili.step_sizes@rel64+4
	s_delay_alu instid0(VALU_DEP_1) | instskip(SKIP_1) | instid1(VALU_DEP_1)
	v_mad_u32 v5, s9, s14, v5
	s_mov_b32 s9, s16
	v_mad_u32 v5, v10, s19, v5
	v_add_nc_u64_e32 v[10:11], s[0:1], v[2:3]
	v_cmp_gt_i32_e64 s0, s33, v0
	v_add_nc_u32_e32 v3, v2, v14
	s_add_nc_u64 s[18:19], s[22:23], s[28:29]
	s_wait_kmcnt 0x0
	s_lshl_b64 s[22:23], s[6:7], 3
	s_or_b32 s1, 0, 8
	v_add_nc_u64_e32 v[0:1], 4, v[10:11]
	v_add_nc_u64_e32 v[10:11], 4, v[4:5]
	s_branch .LBB148_3
.LBB148_2:                              ;   in Loop: Header=BB148_3 Depth=1
	s_or_b32 exec_lo, exec_lo, s3
	s_add_co_i32 s2, s2, 0x10000
	s_delay_alu instid0(SALU_CYCLE_1)
	s_cmp_lt_u32 s2, s30
	s_cbranch_scc0 .LBB148_86
.LBB148_3:                              ; =>This Loop Header: Depth=1
                                        ;     Child Loop BB148_6 Depth 2
                                        ;     Child Loop BB148_21 Depth 2
	;; [unrolled: 1-line block ×4, first 2 shown]
                                        ;       Child Loop BB148_32 Depth 3
                                        ;         Child Loop BB148_33 Depth 4
                                        ;         Child Loop BB148_37 Depth 4
                                        ;           Child Loop BB148_39 Depth 5
                                        ;           Child Loop BB148_45 Depth 5
                                        ;         Child Loop BB148_48 Depth 4
                                        ;           Child Loop BB148_50 Depth 5
                                        ;     Child Loop BB148_58 Depth 2
                                        ;       Child Loop BB148_61 Depth 3
                                        ;         Child Loop BB148_62 Depth 4
                                        ;         Child Loop BB148_66 Depth 4
                                        ;           Child Loop BB148_68 Depth 5
                                        ;           Child Loop BB148_74 Depth 5
                                        ;         Child Loop BB148_77 Depth 4
                                        ;           Child Loop BB148_79 Depth 5
                                        ;     Child Loop BB148_85 Depth 2
	s_mov_b32 s3, s15
	s_and_saveexec_b32 s14, s0
	s_cbranch_execz .LBB148_18
; %bb.4:                                ;   in Loop: Header=BB148_3 Depth=1
	s_delay_alu instid0(VALU_DEP_2) | instskip(SKIP_2) | instid1(VALU_DEP_2)
	v_mad_nc_u64_u32 v[14:15], s4, s2, v[0:1]
	v_mov_b32_e32 v18, v2
	s_mov_b32 s26, s33
	v_mad_u32 v15, s5, s2, v15
	s_branch .LBB148_6
.LBB148_5:                              ;   in Loop: Header=BB148_6 Depth=2
	global_load_b32 v16, v[14:15], off offset:-4
	s_wait_xcnt 0x0
	v_add_nc_u64_e32 v[14:15], s[20:21], v[14:15]
	s_add_co_i32 s26, s26, -1
	s_delay_alu instid0(SALU_CYCLE_1)
	s_cmp_eq_u32 s26, 0
	s_wait_loadcnt 0x0
	ds_store_b64 v18, v[16:17]
	v_add_nc_u32_e32 v18, 0x80, v18
	s_cbranch_scc1 .LBB148_10
.LBB148_6:                              ;   Parent Loop BB148_3 Depth=1
                                        ; =>  This Inner Loop Header: Depth=2
	s_and_b32 vcc_lo, exec_lo, s31
	s_mov_b32 s27, -1
                                        ; implicit-def: $vgpr17
	s_cbranch_vccz .LBB148_8
; %bb.7:                                ;   in Loop: Header=BB148_6 Depth=2
	global_load_b32 v17, v[14:15], off
	s_mov_b32 s27, 0
.LBB148_8:                              ;   in Loop: Header=BB148_6 Depth=2
	s_delay_alu instid0(SALU_CYCLE_1)
	s_and_not1_b32 vcc_lo, exec_lo, s27
	s_cbranch_vccnz .LBB148_5
; %bb.9:                                ;   in Loop: Header=BB148_6 Depth=2
	global_load_b32 v16, v[14:15], off
	s_wait_loadcnt 0x0
	v_xor_b32_e32 v17, 0x80000000, v16
	s_branch .LBB148_5
.LBB148_10:                             ;   in Loop: Header=BB148_3 Depth=1
	s_and_b32 vcc_lo, exec_lo, s35
	s_mov_b32 s26, -1
	s_cbranch_vccz .LBB148_16
; %bb.11:                               ;   in Loop: Header=BB148_3 Depth=1
	ds_load_b64 v[14:15], v3
                                        ; implicit-def: $vgpr16_vgpr17
	s_wait_dscnt 0x0
	v_cmp_ngt_f32_e64 s26, |v14|, |v15|
	s_and_saveexec_b32 s27, s26
	s_delay_alu instid0(SALU_CYCLE_1)
	s_xor_b32 s26, exec_lo, s27
	s_cbranch_execz .LBB148_13
; %bb.12:                               ;   in Loop: Header=BB148_3 Depth=1
	v_div_scale_f32 v16, null, v15, v15, v14
	v_div_scale_f32 v19, vcc_lo, v14, v15, v14
	s_delay_alu instid0(VALU_DEP_2) | instskip(SKIP_1) | instid1(TRANS32_DEP_1)
	v_rcp_f32_e32 v17, v16
	v_nop
	v_fma_f32 v18, -v16, v17, 1.0
	s_delay_alu instid0(VALU_DEP_1) | instskip(NEXT) | instid1(VALU_DEP_1)
	v_fmac_f32_e32 v17, v18, v17
	v_mul_f32_e32 v18, v19, v17
	s_delay_alu instid0(VALU_DEP_1) | instskip(NEXT) | instid1(VALU_DEP_1)
	v_fma_f32 v20, -v16, v18, v19
	v_fmac_f32_e32 v18, v20, v17
	s_delay_alu instid0(VALU_DEP_1) | instskip(NEXT) | instid1(VALU_DEP_1)
	v_fma_f32 v16, -v16, v18, v19
	v_div_fmas_f32 v16, v16, v17, v18
	s_delay_alu instid0(VALU_DEP_1) | instskip(NEXT) | instid1(VALU_DEP_1)
	v_div_fixup_f32 v16, v16, v15, v14
	v_fmac_f32_e32 v15, v14, v16
	s_delay_alu instid0(VALU_DEP_1) | instskip(SKIP_1) | instid1(VALU_DEP_2)
	v_div_scale_f32 v14, null, v15, v15, 1.0
	v_div_scale_f32 v19, vcc_lo, 1.0, v15, 1.0
	v_rcp_f32_e32 v17, v14
	v_nop
	s_delay_alu instid0(TRANS32_DEP_1) | instskip(NEXT) | instid1(VALU_DEP_1)
	v_fma_f32 v18, -v14, v17, 1.0
	v_fmac_f32_e32 v17, v18, v17
	s_delay_alu instid0(VALU_DEP_1) | instskip(NEXT) | instid1(VALU_DEP_1)
	v_mul_f32_e32 v18, v19, v17
	v_fma_f32 v20, -v14, v18, v19
	s_delay_alu instid0(VALU_DEP_1) | instskip(NEXT) | instid1(VALU_DEP_1)
	v_fmac_f32_e32 v18, v20, v17
	v_fma_f32 v14, -v14, v18, v19
	s_delay_alu instid0(VALU_DEP_1) | instskip(SKIP_1) | instid1(VALU_DEP_2)
	v_div_fmas_f32 v14, v14, v17, v18
	v_mul_f32_e32 v17, 0, v16
	v_div_fixup_f32 v14, v14, v15, 1.0
	s_delay_alu instid0(VALU_DEP_2) | instskip(NEXT) | instid1(VALU_DEP_1)
	v_pk_add_f32 v[16:17], v[16:17], v[8:9]
	v_pk_mul_f32 v[16:17], v[16:17], v[14:15] op_sel_hi:[1,0]
                                        ; implicit-def: $vgpr14_vgpr15
.LBB148_13:                             ;   in Loop: Header=BB148_3 Depth=1
	s_and_not1_saveexec_b32 s26, s26
	s_cbranch_execz .LBB148_15
; %bb.14:                               ;   in Loop: Header=BB148_3 Depth=1
	v_div_scale_f32 v16, null, v14, v14, v15
	v_div_scale_f32 v19, vcc_lo, v15, v14, v15
	s_delay_alu instid0(VALU_DEP_2) | instskip(SKIP_1) | instid1(TRANS32_DEP_1)
	v_rcp_f32_e32 v17, v16
	v_nop
	v_fma_f32 v18, -v16, v17, 1.0
	s_delay_alu instid0(VALU_DEP_1) | instskip(NEXT) | instid1(VALU_DEP_1)
	v_fmac_f32_e32 v17, v18, v17
	v_mul_f32_e32 v18, v19, v17
	s_delay_alu instid0(VALU_DEP_1) | instskip(NEXT) | instid1(VALU_DEP_1)
	v_fma_f32 v20, -v16, v18, v19
	v_fmac_f32_e32 v18, v20, v17
	s_delay_alu instid0(VALU_DEP_1) | instskip(NEXT) | instid1(VALU_DEP_1)
	v_fma_f32 v16, -v16, v18, v19
	v_div_fmas_f32 v16, v16, v17, v18
	s_delay_alu instid0(VALU_DEP_1) | instskip(NEXT) | instid1(VALU_DEP_1)
	v_div_fixup_f32 v17, v16, v14, v15
	v_fmac_f32_e32 v14, v15, v17
	s_delay_alu instid0(VALU_DEP_1) | instskip(SKIP_1) | instid1(VALU_DEP_2)
	v_div_scale_f32 v15, null, v14, v14, 1.0
	v_div_scale_f32 v19, vcc_lo, 1.0, v14, 1.0
	v_rcp_f32_e32 v16, v15
	v_nop
	s_delay_alu instid0(TRANS32_DEP_1) | instskip(NEXT) | instid1(VALU_DEP_1)
	v_fma_f32 v18, -v15, v16, 1.0
	v_fmac_f32_e32 v16, v18, v16
	s_delay_alu instid0(VALU_DEP_1) | instskip(NEXT) | instid1(VALU_DEP_1)
	v_mul_f32_e32 v18, v19, v16
	v_fma_f32 v20, -v15, v18, v19
	s_delay_alu instid0(VALU_DEP_1) | instskip(NEXT) | instid1(VALU_DEP_1)
	v_fmac_f32_e32 v18, v20, v16
	v_dual_fma_f32 v15, -v15, v18, v19 :: v_dual_mul_f32 v19, 0, v17
	v_sub_f32_e32 v17, 0, v17
	s_delay_alu instid0(VALU_DEP_2) | instskip(NEXT) | instid1(VALU_DEP_3)
	v_div_fmas_f32 v15, v15, v16, v18
	v_add_f32_e32 v16, 1.0, v19
	s_delay_alu instid0(VALU_DEP_2) | instskip(NEXT) | instid1(VALU_DEP_1)
	v_div_fixup_f32 v14, v15, v14, 1.0
	v_pk_mul_f32 v[16:17], v[16:17], v[14:15] op_sel_hi:[1,0]
.LBB148_15:                             ;   in Loop: Header=BB148_3 Depth=1
	s_or_b32 exec_lo, exec_lo, s26
	s_mov_b32 s26, 0
	ds_store_b64 v3, v[16:17]
.LBB148_16:                             ;   in Loop: Header=BB148_3 Depth=1
	s_and_b32 vcc_lo, exec_lo, s26
	s_cbranch_vccz .LBB148_18
; %bb.17:                               ;   in Loop: Header=BB148_3 Depth=1
	ds_store_b64 v3, v[12:13]
.LBB148_18:                             ;   in Loop: Header=BB148_3 Depth=1
	s_or_b32 exec_lo, exec_lo, s14
	s_mul_u64 s[26:27], s[22:23], s[2:3]
	s_and_saveexec_b32 s42, s37
	s_cbranch_execz .LBB148_26
; %bb.19:                               ;   in Loop: Header=BB148_3 Depth=1
	s_and_not1_b32 vcc_lo, exec_lo, s38
	s_cbranch_vccnz .LBB148_23
; %bb.20:                               ;   in Loop: Header=BB148_3 Depth=1
	s_mul_u64 s[28:29], s[6:7], s[2:3]
	s_mov_b32 s14, 0
	s_lshl_b64 s[28:29], s[28:29], 3
	s_mov_b32 s3, s39
	s_add_nc_u64 s[28:29], s[18:19], s[28:29]
	s_delay_alu instid0(SALU_CYCLE_1)
	v_lshl_add_u64 v[14:15], v[6:7], 3, s[28:29]
	s_mov_b32 s28, 1
.LBB148_21:                             ;   Parent Loop BB148_3 Depth=1
                                        ; =>  This Inner Loop Header: Depth=2
	s_mov_b32 s29, s15
	s_delay_alu instid0(VALU_DEP_1)
	v_lshl_add_u64 v[16:17], s[14:15], 3, v[14:15]
	v_lshl_add_u64 v[18:19], s[28:29], 3, v[14:15]
	v_lshl_add_u32 v23, s14, 7, v22
	v_lshl_add_u32 v28, s28, 7, v22
	s_add_co_i32 s3, s3, -2
	s_clause 0x1
	global_load_b64 v[20:21], v[16:17], off
	global_load_b64 v[24:25], v[18:19], off
	s_wait_xcnt 0x1
	v_mov_b64_e32 v[16:17], s[10:11]
	s_wait_xcnt 0x0
	v_mov_b64_e32 v[18:19], s[8:9]
	s_add_co_i32 s14, s14, 2
	s_add_co_i32 s28, s28, 2
	s_mov_b32 s29, s39
	s_mov_b32 s43, s40
	s_cmp_lg_u32 s3, 0
	s_wait_loadcnt 0x0
	v_dual_mov_b32 v26, v20 :: v_dual_mov_b32 v27, v24
	v_mov_b32_e32 v24, v21
	s_delay_alu instid0(VALU_DEP_1) | instskip(SKIP_1) | instid1(VALU_DEP_2)
	v_pk_mul_f32 v[20:21], v[16:17], v[24:25]
	v_pk_mul_f32 v[24:25], v[18:19], v[24:25]
	v_pk_fma_f32 v[18:19], v[18:19], v[26:27], v[20:21] neg_lo:[0,0,1] neg_hi:[0,0,1]
	s_delay_alu instid0(VALU_DEP_2)
	v_pk_fma_f32 v[16:17], v[16:17], v[26:27], v[24:25]
	ds_store_b32 v23, v18
	ds_store_b32 v28, v19
	ds_store_b32 v23, v16 offset:4
	ds_store_b32 v28, v17 offset:4
	s_cbranch_scc1 .LBB148_21
; %bb.22:                               ;   in Loop: Header=BB148_3 Depth=1
	s_and_b32 vcc_lo, exec_lo, s43
	s_cbranch_vccnz .LBB148_24
	s_branch .LBB148_26
.LBB148_23:                             ;   in Loop: Header=BB148_3 Depth=1
	s_mov_b32 s29, 0
	s_cbranch_execz .LBB148_26
.LBB148_24:                             ;   in Loop: Header=BB148_3 Depth=1
	s_lshl_b32 s14, s29, 3
	v_lshl_add_u32 v16, s29, 7, v22
	s_add_nc_u64 s[44:45], s[26:27], s[14:15]
	s_sub_co_i32 s3, s33, s29
	v_add_nc_u64_e32 v[14:15], s[44:45], v[10:11]
.LBB148_25:                             ;   Parent Loop BB148_3 Depth=1
                                        ; =>  This Inner Loop Header: Depth=2
	global_load_b64 v[18:19], v[14:15], off offset:-4
	v_mov_b64_e32 v[20:21], s[12:13]
	v_mov_b64_e32 v[24:25], s[16:17]
	s_wait_xcnt 0x0
	v_add_nc_u64_e32 v[14:15], 8, v[14:15]
	s_add_co_i32 s3, s3, -1
	s_delay_alu instid0(SALU_CYCLE_1) | instskip(SKIP_2) | instid1(VALU_DEP_1)
	s_cmp_lg_u32 s3, 0
	s_wait_loadcnt 0x0
	v_pk_mul_f32 v[20:21], v[20:21], v[18:19] op_sel:[0,1]
	v_pk_fma_f32 v[26:27], v[24:25], v[18:19], v[20:21] op_sel_hi:[1,0,1]
	v_pk_fma_f32 v[18:19], v[24:25], v[18:19], v[20:21] neg_lo:[0,0,1] neg_hi:[0,0,1]
	s_delay_alu instid0(VALU_DEP_2)
	v_mov_b32_e32 v19, v27
	ds_store_b64 v16, v[18:19]
	v_add_nc_u32_e32 v16, 0x80, v16
	s_cbranch_scc1 .LBB148_25
.LBB148_26:                             ;   in Loop: Header=BB148_3 Depth=1
	s_or_b32 exec_lo, exec_lo, s42
	s_delay_alu instid0(SALU_CYCLE_1)
	s_and_not1_b32 vcc_lo, exec_lo, s36
	s_mov_b32 s3, -1
	s_wait_dscnt 0x0
	; wave barrier
	s_cbranch_vccnz .LBB148_55
; %bb.27:                               ;   in Loop: Header=BB148_3 Depth=1
	s_mov_b32 s14, 0
	s_mov_b32 s3, 0
	s_branch .LBB148_29
.LBB148_28:                             ;   in Loop: Header=BB148_29 Depth=2
	s_cmp_lt_i32 s3, s33
	s_cselect_b32 s28, -1, 0
	s_add_co_i32 s29, s14, 1
	s_cmp_lt_u32 s14, 2
	s_wait_xcnt 0x0
	s_cselect_b32 s14, -1, 0
	s_delay_alu instid0(SALU_CYCLE_1) | instskip(NEXT) | instid1(SALU_CYCLE_1)
	s_and_b32 s14, s28, s14
	s_and_b32 vcc_lo, exec_lo, s14
	s_mov_b32 s14, s29
	s_cbranch_vccz .LBB148_54
.LBB148_29:                             ;   Parent Loop BB148_3 Depth=1
                                        ; =>  This Loop Header: Depth=2
                                        ;       Child Loop BB148_32 Depth 3
                                        ;         Child Loop BB148_33 Depth 4
                                        ;         Child Loop BB148_37 Depth 4
                                        ;           Child Loop BB148_39 Depth 5
                                        ;           Child Loop BB148_45 Depth 5
                                        ;         Child Loop BB148_48 Depth 4
                                        ;           Child Loop BB148_50 Depth 5
	s_load_b32 s28, s[24:25], s14 offset:0x0 scale_offset
	s_wait_kmcnt 0x0
	s_add_co_i32 s29, s28, -1
	s_delay_alu instid0(SALU_CYCLE_1) | instskip(NEXT) | instid1(SALU_CYCLE_1)
	s_add_co_i32 s42, s29, s3
	s_cmp_ge_i32 s42, s33
	s_cbranch_scc1 .LBB148_28
; %bb.30:                               ;   in Loop: Header=BB148_29 Depth=2
	s_max_i32 s42, s28, 1
	s_cmp_lg_u32 s14, 2
	v_lshl_add_u32 v23, s3, 7, v22
	s_cselect_b32 s43, -1, 0
	s_and_b32 s44, s42, 0x7ffffffe
	s_mul_i32 s47, s3, 0x88
	s_cmp_lg_u32 s42, s44
	s_mul_i32 s48, s28, 0x88
	s_cselect_b32 s45, -1, 0
	s_lshl_b32 s46, s28, 7
	s_branch .LBB148_32
.LBB148_31:                             ;   in Loop: Header=BB148_32 Depth=3
	s_add_co_i32 s3, s3, s28
	v_add_nc_u32_e32 v23, s46, v23
	s_add_co_i32 s49, s29, s3
	s_add_co_i32 s47, s47, s48
	s_cmp_ge_i32 s49, s33
	s_cbranch_scc1 .LBB148_28
.LBB148_32:                             ;   Parent Loop BB148_3 Depth=1
                                        ;     Parent Loop BB148_29 Depth=2
                                        ; =>    This Loop Header: Depth=3
                                        ;         Child Loop BB148_33 Depth 4
                                        ;         Child Loop BB148_37 Depth 4
                                        ;           Child Loop BB148_39 Depth 5
                                        ;           Child Loop BB148_45 Depth 5
                                        ;         Child Loop BB148_48 Depth 4
                                        ;           Child Loop BB148_50 Depth 5
	s_wait_xcnt 0x0
	v_mov_b32_e32 v14, v23
	s_mov_b32 s49, 0
	s_mov_b32 s50, s42
.LBB148_33:                             ;   Parent Loop BB148_3 Depth=1
                                        ;     Parent Loop BB148_29 Depth=2
                                        ;       Parent Loop BB148_32 Depth=3
                                        ; =>      This Inner Loop Header: Depth=4
	ds_load_b64 v[16:17], v14
	v_add_nc_u32_e32 v14, 0x80, v14
	s_add_co_i32 s50, s50, -1
	s_wait_dscnt 0x0
	scratch_store_b64 off, v[16:17], s49
	s_wait_xcnt 0x0
	s_add_co_i32 s49, s49, 8
	s_cmp_eq_u32 s50, 0
	s_cbranch_scc0 .LBB148_33
; %bb.34:                               ;   in Loop: Header=BB148_32 Depth=3
	s_cmp_lt_i32 s3, 1
	s_cbranch_scc1 .LBB148_46
; %bb.35:                               ;   in Loop: Header=BB148_32 Depth=3
	s_mov_b32 s49, s3
	s_mov_b32 s50, 0
	;; [unrolled: 1-line block ×3, first 2 shown]
	s_branch .LBB148_37
.LBB148_36:                             ;   in Loop: Header=BB148_37 Depth=4
	s_add_co_i32 s51, s51, 1
	s_add_co_i32 s50, s50, 8
	s_cmp_eq_u32 s51, s3
	s_cbranch_scc1 .LBB148_46
.LBB148_37:                             ;   Parent Loop BB148_3 Depth=1
                                        ;     Parent Loop BB148_29 Depth=2
                                        ;       Parent Loop BB148_32 Depth=3
                                        ; =>      This Loop Header: Depth=4
                                        ;           Child Loop BB148_39 Depth 5
                                        ;           Child Loop BB148_45 Depth 5
	v_lshl_add_u32 v14, s51, 7, v22
	s_and_b32 vcc_lo, exec_lo, s43
	ds_load_b64 v[14:15], v14
	s_cbranch_vccz .LBB148_41
; %bb.38:                               ;   in Loop: Header=BB148_37 Depth=4
	s_wait_dscnt 0x0
	v_dual_mov_b32 v18, v14 :: v_dual_mov_b32 v19, v14
	v_dual_mov_b32 v16, v15 :: v_dual_mov_b32 v20, v15
	v_mov_b32_e32 v21, v15
	s_lshl_b32 s52, s51, 3
	s_mov_b32 s53, 1
	s_mov_b32 s54, 0
	;; [unrolled: 1-line block ×4, first 2 shown]
.LBB148_39:                             ;   Parent Loop BB148_3 Depth=1
                                        ;     Parent Loop BB148_29 Depth=2
                                        ;       Parent Loop BB148_32 Depth=3
                                        ;         Parent Loop BB148_37 Depth=4
                                        ; =>        This Inner Loop Header: Depth=5
	scratch_load_b128 v[24:27], off, s56 offset:-8
	s_add_co_i32 s57, s53, s49
	s_add_co_i32 s58, s54, s3
	s_lshl_b32 s57, s57, 7
	s_lshl_b32 s58, s58, 7
	s_add_co_i32 s57, s52, s57
	s_add_co_i32 s58, s52, s58
	s_delay_alu instid0(SALU_CYCLE_1)
	v_dual_mov_b32 v17, s57 :: v_dual_mov_b32 v30, s58
	s_add_co_i32 s55, s55, -2
	s_add_co_i32 s54, s54, 2
	ds_load_b64 v[28:29], v17
	ds_load_b64 v[30:31], v30
	s_add_co_i32 s53, s53, 2
	s_wait_dscnt 0x0
	v_dual_mov_b32 v33, v28 :: v_dual_mov_b32 v28, v31
	v_mov_b32_e32 v32, v30
	s_delay_alu instid0(VALU_DEP_2) | instskip(SKIP_1) | instid1(VALU_DEP_2)
	v_pk_mul_f32 v[30:31], v[28:29], v[20:21]
	v_pk_mul_f32 v[28:29], v[28:29], v[18:19]
	v_pk_fma_f32 v[30:31], v[32:33], v[18:19], v[30:31] neg_lo:[0,0,1] neg_hi:[0,0,1]
	s_delay_alu instid0(VALU_DEP_2) | instskip(SKIP_3) | instid1(VALU_DEP_2)
	v_pk_fma_f32 v[28:29], v[32:33], v[20:21], v[28:29]
	s_wait_loadcnt 0x0
	v_dual_mov_b32 v32, v24 :: v_dual_mov_b32 v33, v26
	v_mov_b32_e32 v26, v25
	v_pk_add_f32 v[30:31], v[32:33], v[30:31] neg_lo:[0,1] neg_hi:[0,1]
	s_delay_alu instid0(VALU_DEP_2) | instskip(NEXT) | instid1(VALU_DEP_1)
	v_pk_add_f32 v[26:27], v[26:27], v[28:29] neg_lo:[0,1] neg_hi:[0,1]
	v_dual_mov_b32 v24, v30 :: v_dual_mov_b32 v25, v26
	s_delay_alu instid0(VALU_DEP_3)
	v_mov_b32_e32 v26, v31
	scratch_store_b128 off, v[24:27], s56 offset:-8
	s_wait_xcnt 0x0
	s_add_co_i32 s56, s56, 16
	s_cmp_lg_u32 s55, 0
	s_cbranch_scc1 .LBB148_39
; %bb.40:                               ;   in Loop: Header=BB148_37 Depth=4
	s_mov_b32 s52, s45
	s_mov_b32 s53, s44
	s_branch .LBB148_43
.LBB148_41:                             ;   in Loop: Header=BB148_37 Depth=4
	s_wait_dscnt 0x0
	v_mov_b32_e32 v16, v15
	s_mov_b32 s52, 0
	s_mov_b32 s53, s44
	s_cbranch_execz .LBB148_43
; %bb.42:                               ;   in Loop: Header=BB148_37 Depth=4
	s_mov_b32 s52, -1
	s_mov_b32 s53, 0
.LBB148_43:                             ;   in Loop: Header=BB148_37 Depth=4
	s_and_not1_b32 vcc_lo, exec_lo, s52
	s_cbranch_vccnz .LBB148_36
; %bb.44:                               ;   in Loop: Header=BB148_37 Depth=4
	s_add_co_i32 s54, s3, s53
	v_dual_mov_b32 v17, v15 :: v_dual_mov_b32 v15, v14
	s_lshl_b32 s54, s54, 7
	s_lshl_b32 s55, s53, 3
	s_sub_co_i32 s52, s42, s53
	s_add_co_i32 s53, s50, s54
	s_mov_b32 s54, s55
.LBB148_45:                             ;   Parent Loop BB148_3 Depth=1
                                        ;     Parent Loop BB148_29 Depth=2
                                        ;       Parent Loop BB148_32 Depth=3
                                        ;         Parent Loop BB148_37 Depth=4
                                        ; =>        This Inner Loop Header: Depth=5
	scratch_load_b64 v[18:19], off, s54
	v_mov_b32_e32 v20, s53
	s_add_co_i32 s52, s52, -1
	s_addk_co_i32 s53, 0x80
	ds_load_b64 v[20:21], v20
	s_wait_dscnt 0x0
	v_pk_mul_f32 v[24:25], v[20:21], v[16:17] op_sel:[1,0] op_sel_hi:[0,1]
	s_delay_alu instid0(VALU_DEP_1) | instskip(SKIP_1) | instid1(VALU_DEP_2)
	v_pk_fma_f32 v[26:27], v[20:21], v[14:15], v[24:25]
	v_pk_fma_f32 v[20:21], v[20:21], v[14:15], v[24:25] neg_lo:[0,0,1] neg_hi:[0,0,1]
	v_mov_b32_e32 v21, v27
	s_wait_loadcnt 0x0
	s_delay_alu instid0(VALU_DEP_1)
	v_pk_add_f32 v[18:19], v[18:19], v[20:21] neg_lo:[0,1] neg_hi:[0,1]
	scratch_store_b64 off, v[18:19], s54
	s_wait_xcnt 0x0
	s_add_co_i32 s54, s54, 8
	s_cmp_eq_u32 s52, 0
	s_cbranch_scc0 .LBB148_45
	s_branch .LBB148_36
.LBB148_46:                             ;   in Loop: Header=BB148_32 Depth=3
	s_lshl_b32 s49, s3, 7
	s_mov_b32 s50, 0
	s_mov_b32 s51, s47
	s_branch .LBB148_48
.LBB148_47:                             ;   in Loop: Header=BB148_48 Depth=4
	s_wait_xcnt 0x0
	s_mulk_i32 s53, 0x88
	s_addk_co_i32 s51, 0x80
	v_mov_b32_e32 v15, s53
	s_lshl_b32 s53, s50, 3
	s_add_co_i32 s50, s50, 1
	s_delay_alu instid0(SALU_CYCLE_1) | instskip(SKIP_3) | instid1(VALU_DEP_1)
	s_cmp_eq_u32 s50, s42
	ds_load_b64 v[18:19], v15
	s_wait_dscnt 0x0
	v_pk_mul_f32 v[16:17], v[18:19], v[16:17] op_sel:[1,0] op_sel_hi:[0,0]
	v_pk_fma_f32 v[20:21], v[18:19], v[14:15], v[16:17] op_sel_hi:[1,0,1]
	v_add_nc_u32_e32 v20, s52, v22
	v_pk_fma_f32 v[14:15], v[18:19], v[14:15], v[16:17] neg_lo:[0,0,1] neg_hi:[0,0,1]
	s_delay_alu instid0(VALU_DEP_3)
	v_mov_b32_e32 v15, v21
	scratch_store_b64 off, v[14:15], s53
	ds_store_b64 v20, v[14:15]
	s_cbranch_scc1 .LBB148_31
.LBB148_48:                             ;   Parent Loop BB148_3 Depth=1
                                        ;     Parent Loop BB148_29 Depth=2
                                        ;       Parent Loop BB148_32 Depth=3
                                        ; =>      This Loop Header: Depth=4
                                        ;           Child Loop BB148_50 Depth 5
	s_cmp_lg_u32 s50, 0
	s_cbranch_scc0 .LBB148_52
; %bb.49:                               ;   in Loop: Header=BB148_48 Depth=4
	s_lshl_b32 s52, s50, 3
	s_wait_xcnt 0x0
	s_mov_b32 s53, 0
	scratch_load_b64 v[14:15], off, s52
	s_mov_b32 s54, s51
	s_mov_b32 s55, s50
.LBB148_50:                             ;   Parent Loop BB148_3 Depth=1
                                        ;     Parent Loop BB148_29 Depth=2
                                        ;       Parent Loop BB148_32 Depth=3
                                        ;         Parent Loop BB148_48 Depth=4
                                        ; =>        This Inner Loop Header: Depth=5
	scratch_load_b64 v[16:17], off, s53
	v_mov_b32_e32 v18, s54
	s_add_co_i32 s55, s55, -1
	s_wait_xcnt 0x0
	s_add_co_i32 s53, s53, 8
	s_add_co_i32 s54, s54, 8
	s_cmp_eq_u32 s55, 0
	ds_load_b64 v[18:19], v18
	s_wait_loadcnt_dscnt 0x0
	v_pk_mul_f32 v[20:21], v[18:19], v[16:17] op_sel:[1,1] op_sel_hi:[0,1]
	s_delay_alu instid0(VALU_DEP_1) | instskip(SKIP_1) | instid1(VALU_DEP_2)
	v_pk_fma_f32 v[24:25], v[18:19], v[16:17], v[20:21] op_sel_hi:[1,0,1]
	v_pk_fma_f32 v[16:17], v[18:19], v[16:17], v[20:21] neg_lo:[0,0,1] neg_hi:[0,0,1]
	v_mov_b32_e32 v17, v25
	s_delay_alu instid0(VALU_DEP_1)
	v_pk_add_f32 v[14:15], v[14:15], v[16:17] neg_lo:[0,1] neg_hi:[0,1]
	scratch_store_b64 off, v[14:15], s52
	s_cbranch_scc0 .LBB148_50
; %bb.51:                               ;   in Loop: Header=BB148_48 Depth=4
	v_mov_b32_e32 v16, v15
	s_add_co_i32 s53, s50, s3
	s_wait_xcnt 0x0
	s_lshl_b32 s52, s53, 7
	s_branch .LBB148_47
.LBB148_52:                             ;   in Loop: Header=BB148_48 Depth=4
                                        ; implicit-def: $vgpr14
                                        ; implicit-def: $vgpr16
                                        ; implicit-def: $sgpr53
                                        ; implicit-def: $sgpr52
	s_cbranch_execz .LBB148_47
; %bb.53:                               ;   in Loop: Header=BB148_48 Depth=4
	scratch_load_b64 v[14:15], off, off
	s_mov_b32 s52, s49
	s_mov_b32 s53, s3
	s_wait_loadcnt 0x0
	v_mov_b32_e32 v16, v15
	s_branch .LBB148_47
.LBB148_54:                             ;   in Loop: Header=BB148_3 Depth=1
	s_mov_b32 s3, 0
.LBB148_55:                             ;   in Loop: Header=BB148_3 Depth=1
	s_delay_alu instid0(SALU_CYCLE_1)
	s_and_b32 vcc_lo, exec_lo, s3
	s_cbranch_vccz .LBB148_83
; %bb.56:                               ;   in Loop: Header=BB148_3 Depth=1
	s_mov_b32 s14, 0
	s_mov_b32 s3, s34
	s_branch .LBB148_58
.LBB148_57:                             ;   in Loop: Header=BB148_58 Depth=2
	s_cmp_gt_i32 s3, -1
	s_cselect_b32 s28, -1, 0
	s_add_co_i32 s29, s14, 1
	s_cmp_lt_u32 s14, 2
	s_wait_xcnt 0x0
	s_cselect_b32 s14, -1, 0
	s_delay_alu instid0(SALU_CYCLE_1) | instskip(NEXT) | instid1(SALU_CYCLE_1)
	s_and_b32 s14, s28, s14
	s_and_not1_b32 vcc_lo, exec_lo, s14
	s_mov_b32 s14, s29
	s_cbranch_vccnz .LBB148_83
.LBB148_58:                             ;   Parent Loop BB148_3 Depth=1
                                        ; =>  This Loop Header: Depth=2
                                        ;       Child Loop BB148_61 Depth 3
                                        ;         Child Loop BB148_62 Depth 4
                                        ;         Child Loop BB148_66 Depth 4
                                        ;           Child Loop BB148_68 Depth 5
                                        ;           Child Loop BB148_74 Depth 5
                                        ;         Child Loop BB148_77 Depth 4
                                        ;           Child Loop BB148_79 Depth 5
	s_load_b32 s28, s[24:25], s14 offset:0x0 scale_offset
	s_wait_kmcnt 0x0
	s_add_co_i32 s29, s28, -1
	s_delay_alu instid0(SALU_CYCLE_1)
	s_cmp_lt_i32 s3, s29
	s_cbranch_scc1 .LBB148_57
; %bb.59:                               ;   in Loop: Header=BB148_58 Depth=2
	s_max_i32 s42, s28, 1
	s_cmp_lg_u32 s14, 2
	v_lshl_add_u32 v23, s3, 7, v22
	s_cselect_b32 s43, -1, 0
	s_and_b32 s44, s42, 0x7ffffffe
	s_mul_i32 s49, s3, 0x88
	s_cmp_lg_u32 s42, s44
	s_mul_i32 s50, s28, 0xffffff78
	s_cselect_b32 s45, -1, 0
	s_lshl_b32 s46, s28, 7
	s_lshl_b32 s47, s3, 3
	;; [unrolled: 1-line block ×3, first 2 shown]
	s_sub_co_i32 s46, 0, s46
	s_add_co_i32 s47, s41, s47
	s_sub_co_i32 s48, 0, s48
	s_branch .LBB148_61
.LBB148_60:                             ;   in Loop: Header=BB148_61 Depth=3
	v_add_nc_u32_e32 v23, s46, v23
	s_sub_co_i32 s3, s3, s28
	s_add_co_i32 s47, s47, s48
	s_add_co_i32 s49, s49, s50
	s_cmp_lt_i32 s3, s29
	s_cbranch_scc1 .LBB148_57
.LBB148_61:                             ;   Parent Loop BB148_3 Depth=1
                                        ;     Parent Loop BB148_58 Depth=2
                                        ; =>    This Loop Header: Depth=3
                                        ;         Child Loop BB148_62 Depth 4
                                        ;         Child Loop BB148_66 Depth 4
                                        ;           Child Loop BB148_68 Depth 5
                                        ;           Child Loop BB148_74 Depth 5
                                        ;         Child Loop BB148_77 Depth 4
                                        ;           Child Loop BB148_79 Depth 5
	s_wait_xcnt 0x0
	v_mov_b32_e32 v14, v23
	s_mov_b32 s51, 0
	s_mov_b32 s52, s42
.LBB148_62:                             ;   Parent Loop BB148_3 Depth=1
                                        ;     Parent Loop BB148_58 Depth=2
                                        ;       Parent Loop BB148_61 Depth=3
                                        ; =>      This Inner Loop Header: Depth=4
	ds_load_b64 v[16:17], v14
	v_add_nc_u32_e32 v14, 0xffffff80, v14
	s_add_co_i32 s52, s52, -1
	s_wait_dscnt 0x0
	scratch_store_b64 off, v[16:17], s51
	s_wait_xcnt 0x0
	s_add_co_i32 s51, s51, 8
	s_cmp_eq_u32 s52, 0
	s_cbranch_scc0 .LBB148_62
; %bb.63:                               ;   in Loop: Header=BB148_61 Depth=3
	s_cmp_le_i32 s34, s3
	s_cbranch_scc1 .LBB148_75
; %bb.64:                               ;   in Loop: Header=BB148_61 Depth=3
	s_mov_b32 s51, s3
	s_mov_b32 s52, s47
	;; [unrolled: 1-line block ×3, first 2 shown]
	s_branch .LBB148_66
.LBB148_65:                             ;   in Loop: Header=BB148_66 Depth=4
	s_add_co_i32 s53, s53, -1
	s_addk_co_i32 s52, 0xff80
	s_cmp_le_i32 s53, s3
	s_cbranch_scc1 .LBB148_75
.LBB148_66:                             ;   Parent Loop BB148_3 Depth=1
                                        ;     Parent Loop BB148_58 Depth=2
                                        ;       Parent Loop BB148_61 Depth=3
                                        ; =>      This Loop Header: Depth=4
                                        ;           Child Loop BB148_68 Depth 5
                                        ;           Child Loop BB148_74 Depth 5
	v_lshl_add_u32 v14, s53, 7, v22
	s_and_b32 vcc_lo, exec_lo, s43
	ds_load_b64 v[14:15], v14
	s_cbranch_vccz .LBB148_70
; %bb.67:                               ;   in Loop: Header=BB148_66 Depth=4
	s_wait_dscnt 0x0
	v_dual_mov_b32 v18, v14 :: v_dual_mov_b32 v19, v14
	v_dual_mov_b32 v16, v15 :: v_dual_mov_b32 v20, v15
	v_mov_b32_e32 v21, v15
	s_lshl_b32 s54, s53, 4
	s_mov_b32 s55, 1
	s_lshl_b32 s54, s54, 3
	s_mov_b32 s56, 0
	s_mov_b32 s57, s44
	;; [unrolled: 1-line block ×3, first 2 shown]
.LBB148_68:                             ;   Parent Loop BB148_3 Depth=1
                                        ;     Parent Loop BB148_58 Depth=2
                                        ;       Parent Loop BB148_61 Depth=3
                                        ;         Parent Loop BB148_66 Depth=4
                                        ; =>        This Inner Loop Header: Depth=5
	scratch_load_b128 v[24:27], off, s58 offset:-8
	s_sub_co_i32 s59, s51, s55
	s_sub_co_i32 s60, s3, s56
	s_lshl_b32 s59, s59, 3
	s_lshl_b32 s60, s60, 3
	s_add_co_i32 s59, s54, s59
	s_add_co_i32 s60, s54, s60
	s_delay_alu instid0(SALU_CYCLE_1)
	v_dual_mov_b32 v17, s59 :: v_dual_mov_b32 v30, s60
	s_add_co_i32 s57, s57, -2
	s_add_co_i32 s56, s56, 2
	ds_load_b64 v[28:29], v17
	ds_load_b64 v[30:31], v30
	s_add_co_i32 s55, s55, 2
	s_wait_dscnt 0x0
	v_dual_mov_b32 v33, v28 :: v_dual_mov_b32 v28, v31
	v_mov_b32_e32 v32, v30
	s_delay_alu instid0(VALU_DEP_2) | instskip(SKIP_1) | instid1(VALU_DEP_2)
	v_pk_mul_f32 v[30:31], v[28:29], v[20:21]
	v_pk_mul_f32 v[28:29], v[28:29], v[18:19]
	v_pk_fma_f32 v[30:31], v[32:33], v[18:19], v[30:31] neg_lo:[0,0,1] neg_hi:[0,0,1]
	s_delay_alu instid0(VALU_DEP_2) | instskip(SKIP_3) | instid1(VALU_DEP_2)
	v_pk_fma_f32 v[28:29], v[32:33], v[20:21], v[28:29]
	s_wait_loadcnt 0x0
	v_dual_mov_b32 v32, v24 :: v_dual_mov_b32 v33, v26
	v_mov_b32_e32 v26, v25
	v_pk_add_f32 v[30:31], v[32:33], v[30:31] neg_lo:[0,1] neg_hi:[0,1]
	s_delay_alu instid0(VALU_DEP_2) | instskip(NEXT) | instid1(VALU_DEP_1)
	v_pk_add_f32 v[26:27], v[26:27], v[28:29] neg_lo:[0,1] neg_hi:[0,1]
	v_dual_mov_b32 v24, v30 :: v_dual_mov_b32 v25, v26
	s_delay_alu instid0(VALU_DEP_3)
	v_mov_b32_e32 v26, v31
	scratch_store_b128 off, v[24:27], s58 offset:-8
	s_wait_xcnt 0x0
	s_add_co_i32 s58, s58, 16
	s_cmp_lg_u32 s57, 0
	s_cbranch_scc1 .LBB148_68
; %bb.69:                               ;   in Loop: Header=BB148_66 Depth=4
	s_mov_b32 s54, s45
	s_mov_b32 s55, s44
	s_branch .LBB148_72
.LBB148_70:                             ;   in Loop: Header=BB148_66 Depth=4
	s_wait_dscnt 0x0
	v_mov_b32_e32 v16, v15
	s_mov_b32 s54, 0
	s_mov_b32 s55, s44
	s_cbranch_execz .LBB148_72
; %bb.71:                               ;   in Loop: Header=BB148_66 Depth=4
	s_mov_b32 s54, -1
	s_mov_b32 s55, 0
.LBB148_72:                             ;   in Loop: Header=BB148_66 Depth=4
	s_and_not1_b32 vcc_lo, exec_lo, s54
	s_cbranch_vccnz .LBB148_65
; %bb.73:                               ;   in Loop: Header=BB148_66 Depth=4
	v_dual_mov_b32 v17, v15 :: v_dual_mov_b32 v15, v14
	s_lshl_b32 s56, s55, 3
	s_sub_co_i32 s54, s42, s55
	s_sub_co_i32 s55, s52, s56
.LBB148_74:                             ;   Parent Loop BB148_3 Depth=1
                                        ;     Parent Loop BB148_58 Depth=2
                                        ;       Parent Loop BB148_61 Depth=3
                                        ;         Parent Loop BB148_66 Depth=4
                                        ; =>        This Inner Loop Header: Depth=5
	scratch_load_b64 v[18:19], off, s56
	v_mov_b32_e32 v20, s55
	s_add_co_i32 s54, s54, -1
	s_add_co_i32 s55, s55, -8
	ds_load_b64 v[20:21], v20
	s_wait_dscnt 0x0
	v_pk_mul_f32 v[24:25], v[20:21], v[16:17] op_sel:[1,0] op_sel_hi:[0,1]
	s_delay_alu instid0(VALU_DEP_1) | instskip(SKIP_1) | instid1(VALU_DEP_2)
	v_pk_fma_f32 v[26:27], v[20:21], v[14:15], v[24:25]
	v_pk_fma_f32 v[20:21], v[20:21], v[14:15], v[24:25] neg_lo:[0,0,1] neg_hi:[0,0,1]
	v_mov_b32_e32 v21, v27
	s_wait_loadcnt 0x0
	s_delay_alu instid0(VALU_DEP_1)
	v_pk_add_f32 v[18:19], v[18:19], v[20:21] neg_lo:[0,1] neg_hi:[0,1]
	scratch_store_b64 off, v[18:19], s56
	s_wait_xcnt 0x0
	s_add_co_i32 s56, s56, 8
	s_cmp_eq_u32 s54, 0
	s_cbranch_scc0 .LBB148_74
	s_branch .LBB148_65
.LBB148_75:                             ;   in Loop: Header=BB148_61 Depth=3
	s_mov_b32 s51, 0
	s_mov_b32 s52, s49
	s_branch .LBB148_77
.LBB148_76:                             ;   in Loop: Header=BB148_77 Depth=4
	s_mul_i32 s54, s53, 0x88
	s_add_co_i32 s52, s52, -8
	v_mov_b32_e32 v15, s54
	s_lshl_b32 s54, s51, 3
	s_add_co_i32 s51, s51, 1
	s_delay_alu instid0(SALU_CYCLE_1) | instskip(SKIP_3) | instid1(VALU_DEP_1)
	s_cmp_eq_u32 s51, s42
	ds_load_b64 v[18:19], v15
	s_wait_dscnt 0x0
	v_pk_mul_f32 v[16:17], v[18:19], v[16:17] op_sel:[1,0] op_sel_hi:[0,0]
	v_pk_fma_f32 v[20:21], v[18:19], v[14:15], v[16:17] op_sel_hi:[1,0,1]
	v_pk_fma_f32 v[14:15], v[18:19], v[14:15], v[16:17] neg_lo:[0,0,1] neg_hi:[0,0,1]
	v_lshl_add_u32 v20, s53, 7, v22
	s_delay_alu instid0(VALU_DEP_3)
	v_mov_b32_e32 v15, v21
	scratch_store_b64 off, v[14:15], s54
	ds_store_b64 v20, v[14:15]
	s_cbranch_scc1 .LBB148_60
.LBB148_77:                             ;   Parent Loop BB148_3 Depth=1
                                        ;     Parent Loop BB148_58 Depth=2
                                        ;       Parent Loop BB148_61 Depth=3
                                        ; =>      This Loop Header: Depth=4
                                        ;           Child Loop BB148_79 Depth 5
	s_cmp_lg_u32 s51, 0
	s_cbranch_scc0 .LBB148_81
; %bb.78:                               ;   in Loop: Header=BB148_77 Depth=4
	s_lshl_b32 s53, s51, 3
	s_wait_xcnt 0x0
	s_mov_b32 s54, 0
	scratch_load_b64 v[14:15], off, s53
	s_mov_b32 s55, s52
	s_mov_b32 s56, s51
.LBB148_79:                             ;   Parent Loop BB148_3 Depth=1
                                        ;     Parent Loop BB148_58 Depth=2
                                        ;       Parent Loop BB148_61 Depth=3
                                        ;         Parent Loop BB148_77 Depth=4
                                        ; =>        This Inner Loop Header: Depth=5
	scratch_load_b64 v[16:17], off, s54
	v_mov_b32_e32 v18, s55
	s_add_co_i32 s56, s56, -1
	s_addk_co_i32 s55, 0xff80
	s_wait_xcnt 0x0
	s_add_co_i32 s54, s54, 8
	s_cmp_eq_u32 s56, 0
	ds_load_b64 v[18:19], v18
	s_wait_loadcnt_dscnt 0x0
	v_pk_mul_f32 v[20:21], v[18:19], v[16:17] op_sel:[1,1] op_sel_hi:[0,1]
	s_delay_alu instid0(VALU_DEP_1) | instskip(SKIP_1) | instid1(VALU_DEP_2)
	v_pk_fma_f32 v[24:25], v[18:19], v[16:17], v[20:21] op_sel_hi:[1,0,1]
	v_pk_fma_f32 v[16:17], v[18:19], v[16:17], v[20:21] neg_lo:[0,0,1] neg_hi:[0,0,1]
	v_mov_b32_e32 v17, v25
	s_delay_alu instid0(VALU_DEP_1)
	v_pk_add_f32 v[14:15], v[14:15], v[16:17] neg_lo:[0,1] neg_hi:[0,1]
	scratch_store_b64 off, v[14:15], s53
	s_cbranch_scc0 .LBB148_79
; %bb.80:                               ;   in Loop: Header=BB148_77 Depth=4
	v_mov_b32_e32 v16, v15
	s_wait_xcnt 0x0
	s_sub_co_i32 s53, s3, s51
	s_branch .LBB148_76
.LBB148_81:                             ;   in Loop: Header=BB148_77 Depth=4
	s_wait_xcnt 0x0
                                        ; implicit-def: $vgpr14
                                        ; implicit-def: $vgpr16
                                        ; implicit-def: $sgpr53
	s_cbranch_execz .LBB148_76
; %bb.82:                               ;   in Loop: Header=BB148_77 Depth=4
	scratch_load_b64 v[14:15], off, off
	s_mov_b32 s53, s3
	s_wait_loadcnt 0x0
	v_mov_b32_e32 v16, v15
	s_branch .LBB148_76
.LBB148_83:                             ;   in Loop: Header=BB148_3 Depth=1
	; wave barrier
	s_wait_storecnt_dscnt 0x0
	s_wait_xcnt 0x0
	s_and_saveexec_b32 s3, s37
	s_cbranch_execz .LBB148_2
; %bb.84:                               ;   in Loop: Header=BB148_3 Depth=1
	v_add_nc_u64_e32 v[14:15], s[26:27], v[4:5]
	v_mov_b32_e32 v16, v22
	s_mov_b32 s14, s33
.LBB148_85:                             ;   Parent Loop BB148_3 Depth=1
                                        ; =>  This Inner Loop Header: Depth=2
	ds_load_b64 v[18:19], v16
	v_add_nc_u32_e32 v16, 0x80, v16
	s_add_co_i32 s14, s14, -1
	s_delay_alu instid0(SALU_CYCLE_1)
	s_cmp_lg_u32 s14, 0
	s_wait_dscnt 0x0
	global_store_b64 v[14:15], v[18:19], off
	s_wait_xcnt 0x0
	v_add_nc_u64_e32 v[14:15], 8, v[14:15]
	s_cbranch_scc1 .LBB148_85
	s_branch .LBB148_2
.LBB148_86:
	s_endpgm
	.section	.rodata,"a",@progbits
	.p2align	6, 0x0
	.amdhsa_kernel _ZL38rocblas_trsm_small_left_device_sharedBILi16ELi16ELb0E19rocblas_complex_numIfES1_PKS1_PS1_Ev13rocblas_fill_18rocblas_operation_17rocblas_diagonal_iiT3_T4_lilT5_lili
		.amdhsa_group_segment_fixed_size 4096
		.amdhsa_private_segment_fixed_size 144
		.amdhsa_kernarg_size 360
		.amdhsa_user_sgpr_count 2
		.amdhsa_user_sgpr_dispatch_ptr 0
		.amdhsa_user_sgpr_queue_ptr 0
		.amdhsa_user_sgpr_kernarg_segment_ptr 1
		.amdhsa_user_sgpr_dispatch_id 0
		.amdhsa_user_sgpr_kernarg_preload_length 0
		.amdhsa_user_sgpr_kernarg_preload_offset 0
		.amdhsa_user_sgpr_private_segment_size 0
		.amdhsa_wavefront_size32 1
		.amdhsa_uses_dynamic_stack 0
		.amdhsa_enable_private_segment 1
		.amdhsa_system_sgpr_workgroup_id_x 1
		.amdhsa_system_sgpr_workgroup_id_y 0
		.amdhsa_system_sgpr_workgroup_id_z 1
		.amdhsa_system_sgpr_workgroup_info 0
		.amdhsa_system_vgpr_workitem_id 0
		.amdhsa_next_free_vgpr 34
		.amdhsa_next_free_sgpr 61
		.amdhsa_named_barrier_count 0
		.amdhsa_reserve_vcc 1
		.amdhsa_float_round_mode_32 0
		.amdhsa_float_round_mode_16_64 0
		.amdhsa_float_denorm_mode_32 3
		.amdhsa_float_denorm_mode_16_64 3
		.amdhsa_fp16_overflow 0
		.amdhsa_memory_ordered 1
		.amdhsa_forward_progress 1
		.amdhsa_inst_pref_size 31
		.amdhsa_round_robin_scheduling 0
		.amdhsa_exception_fp_ieee_invalid_op 0
		.amdhsa_exception_fp_denorm_src 0
		.amdhsa_exception_fp_ieee_div_zero 0
		.amdhsa_exception_fp_ieee_overflow 0
		.amdhsa_exception_fp_ieee_underflow 0
		.amdhsa_exception_fp_ieee_inexact 0
		.amdhsa_exception_int_div_zero 0
	.end_amdhsa_kernel
	.section	.text._ZL38rocblas_trsm_small_left_device_sharedBILi16ELi16ELb0E19rocblas_complex_numIfES1_PKS1_PS1_Ev13rocblas_fill_18rocblas_operation_17rocblas_diagonal_iiT3_T4_lilT5_lili,"axG",@progbits,_ZL38rocblas_trsm_small_left_device_sharedBILi16ELi16ELb0E19rocblas_complex_numIfES1_PKS1_PS1_Ev13rocblas_fill_18rocblas_operation_17rocblas_diagonal_iiT3_T4_lilT5_lili,comdat
.Lfunc_end148:
	.size	_ZL38rocblas_trsm_small_left_device_sharedBILi16ELi16ELb0E19rocblas_complex_numIfES1_PKS1_PS1_Ev13rocblas_fill_18rocblas_operation_17rocblas_diagonal_iiT3_T4_lilT5_lili, .Lfunc_end148-_ZL38rocblas_trsm_small_left_device_sharedBILi16ELi16ELb0E19rocblas_complex_numIfES1_PKS1_PS1_Ev13rocblas_fill_18rocblas_operation_17rocblas_diagonal_iiT3_T4_lilT5_lili
                                        ; -- End function
	.set _ZL38rocblas_trsm_small_left_device_sharedBILi16ELi16ELb0E19rocblas_complex_numIfES1_PKS1_PS1_Ev13rocblas_fill_18rocblas_operation_17rocblas_diagonal_iiT3_T4_lilT5_lili.num_vgpr, 34
	.set _ZL38rocblas_trsm_small_left_device_sharedBILi16ELi16ELb0E19rocblas_complex_numIfES1_PKS1_PS1_Ev13rocblas_fill_18rocblas_operation_17rocblas_diagonal_iiT3_T4_lilT5_lili.num_agpr, 0
	.set _ZL38rocblas_trsm_small_left_device_sharedBILi16ELi16ELb0E19rocblas_complex_numIfES1_PKS1_PS1_Ev13rocblas_fill_18rocblas_operation_17rocblas_diagonal_iiT3_T4_lilT5_lili.numbered_sgpr, 61
	.set _ZL38rocblas_trsm_small_left_device_sharedBILi16ELi16ELb0E19rocblas_complex_numIfES1_PKS1_PS1_Ev13rocblas_fill_18rocblas_operation_17rocblas_diagonal_iiT3_T4_lilT5_lili.num_named_barrier, 0
	.set _ZL38rocblas_trsm_small_left_device_sharedBILi16ELi16ELb0E19rocblas_complex_numIfES1_PKS1_PS1_Ev13rocblas_fill_18rocblas_operation_17rocblas_diagonal_iiT3_T4_lilT5_lili.private_seg_size, 144
	.set _ZL38rocblas_trsm_small_left_device_sharedBILi16ELi16ELb0E19rocblas_complex_numIfES1_PKS1_PS1_Ev13rocblas_fill_18rocblas_operation_17rocblas_diagonal_iiT3_T4_lilT5_lili.uses_vcc, 1
	.set _ZL38rocblas_trsm_small_left_device_sharedBILi16ELi16ELb0E19rocblas_complex_numIfES1_PKS1_PS1_Ev13rocblas_fill_18rocblas_operation_17rocblas_diagonal_iiT3_T4_lilT5_lili.uses_flat_scratch, 0
	.set _ZL38rocblas_trsm_small_left_device_sharedBILi16ELi16ELb0E19rocblas_complex_numIfES1_PKS1_PS1_Ev13rocblas_fill_18rocblas_operation_17rocblas_diagonal_iiT3_T4_lilT5_lili.has_dyn_sized_stack, 0
	.set _ZL38rocblas_trsm_small_left_device_sharedBILi16ELi16ELb0E19rocblas_complex_numIfES1_PKS1_PS1_Ev13rocblas_fill_18rocblas_operation_17rocblas_diagonal_iiT3_T4_lilT5_lili.has_recursion, 0
	.set _ZL38rocblas_trsm_small_left_device_sharedBILi16ELi16ELb0E19rocblas_complex_numIfES1_PKS1_PS1_Ev13rocblas_fill_18rocblas_operation_17rocblas_diagonal_iiT3_T4_lilT5_lili.has_indirect_call, 0
	.section	.AMDGPU.csdata,"",@progbits
; Kernel info:
; codeLenInByte = 3952
; TotalNumSgprs: 63
; NumVgprs: 34
; ScratchSize: 144
; MemoryBound: 0
; FloatMode: 240
; IeeeMode: 1
; LDSByteSize: 4096 bytes/workgroup (compile time only)
; SGPRBlocks: 0
; VGPRBlocks: 2
; NumSGPRsForWavesPerEU: 63
; NumVGPRsForWavesPerEU: 34
; NamedBarCnt: 0
; Occupancy: 16
; WaveLimiterHint : 0
; COMPUTE_PGM_RSRC2:SCRATCH_EN: 1
; COMPUTE_PGM_RSRC2:USER_SGPR: 2
; COMPUTE_PGM_RSRC2:TRAP_HANDLER: 0
; COMPUTE_PGM_RSRC2:TGID_X_EN: 1
; COMPUTE_PGM_RSRC2:TGID_Y_EN: 0
; COMPUTE_PGM_RSRC2:TGID_Z_EN: 1
; COMPUTE_PGM_RSRC2:TIDIG_COMP_CNT: 0
	.section	.text._ZL30rocblas_trsm_small_left_deviceILi16ELi16ELb0E19rocblas_complex_numIfES1_PKS1_PS1_Ev13rocblas_fill_18rocblas_operation_17rocblas_diagonal_iiT3_T4_lilT5_lili,"axG",@progbits,_ZL30rocblas_trsm_small_left_deviceILi16ELi16ELb0E19rocblas_complex_numIfES1_PKS1_PS1_Ev13rocblas_fill_18rocblas_operation_17rocblas_diagonal_iiT3_T4_lilT5_lili,comdat
	.globl	_ZL30rocblas_trsm_small_left_deviceILi16ELi16ELb0E19rocblas_complex_numIfES1_PKS1_PS1_Ev13rocblas_fill_18rocblas_operation_17rocblas_diagonal_iiT3_T4_lilT5_lili ; -- Begin function _ZL30rocblas_trsm_small_left_deviceILi16ELi16ELb0E19rocblas_complex_numIfES1_PKS1_PS1_Ev13rocblas_fill_18rocblas_operation_17rocblas_diagonal_iiT3_T4_lilT5_lili
	.p2align	8
	.type	_ZL30rocblas_trsm_small_left_deviceILi16ELi16ELb0E19rocblas_complex_numIfES1_PKS1_PS1_Ev13rocblas_fill_18rocblas_operation_17rocblas_diagonal_iiT3_T4_lilT5_lili,@function
_ZL30rocblas_trsm_small_left_deviceILi16ELi16ELb0E19rocblas_complex_numIfES1_PKS1_PS1_Ev13rocblas_fill_18rocblas_operation_17rocblas_diagonal_iiT3_T4_lilT5_lili: ; @_ZL30rocblas_trsm_small_left_deviceILi16ELi16ELb0E19rocblas_complex_numIfES1_PKS1_PS1_Ev13rocblas_fill_18rocblas_operation_17rocblas_diagonal_iiT3_T4_lilT5_lili
; %bb.0:
	s_load_b32 s33, s[2:3], 0x60
	s_bfe_u32 s4, ttmp6, 0x40014
	s_lshr_b32 s5, ttmp7, 16
	s_add_co_i32 s4, s4, 1
	s_bfe_u32 s6, ttmp6, 0x40008
	s_mul_i32 s4, s5, s4
	s_getreg_b32 s11, hwreg(HW_REG_IB_STS2, 6, 4)
	s_add_co_i32 s6, s6, s4
	s_cmp_eq_u32 s11, 0
	s_mov_b32 s19, 0
	s_cselect_b32 s16, s5, s6
	s_wait_kmcnt 0x0
	s_cmp_ge_u32 s16, s33
	s_cbranch_scc1 .LBB149_87
; %bb.1:
	s_clause 0x1
	s_load_b32 s26, s[2:3], 0x30
	s_load_b96 s[8:10], s[2:3], 0x48
	s_load_b64 s[28:29], s[0:1], 0x4
	s_clause 0x2
	s_load_b128 s[4:7], s[2:3], 0x4
	s_load_b32 s12, s[2:3], 0x68
	s_load_b64 s[20:21], s[2:3], 0x14
	v_and_b32_e32 v8, 0x3ff, v0
	v_bfe_u32 v6, v0, 10, 10
	v_bfe_u32 v7, v0, 20, 10
	v_mov_b64_e32 v[10:11], 0x3f800000
	s_mov_b32 s40, 0
	v_dual_mov_b32 v1, 0 :: v_dual_lshlrev_b32 v12, 7, v8
	v_lshlrev_b32_e32 v0, 3, v8
	s_delay_alu instid0(VALU_DEP_1)
	v_add_nc_u32_e32 v24, v0, v12
	s_wait_kmcnt 0x0
	s_ashr_i32 s27, s26, 31
	s_ashr_i32 s1, s10, 31
	s_lshr_b32 s17, s28, 16
	s_cmp_lg_u32 s4, 0x71
	s_mul_i32 s17, s17, s29
	s_cselect_b32 s34, -1, 0
	s_bfe_u32 s0, ttmp6, 0x4000c
	s_min_i32 s35, s6, 16
	s_add_co_i32 s0, s0, 1
	s_and_b32 s6, ttmp6, 15
	s_mul_i32 s0, ttmp9, s0
	s_lshl_b64 s[30:31], s[8:9], 3
	s_add_co_i32 s18, s12, -1
	s_add_co_i32 s36, s35, -1
	s_add_co_i32 s6, s6, s0
	s_cmp_eq_u32 s11, 0
	s_mov_b32 s0, s10
	s_cselect_b32 s28, ttmp9, s6
	s_clause 0x1
	s_load_b128 s[12:15], s[2:3], 0x20
	s_load_b128 s[8:11], s[2:3], 0x38
	s_lshl_b32 s37, s28, 4
	s_wait_xcnt 0x0
	s_load_b64 s[2:3], s[2:3], 0x58
	v_or_b32_e32 v2, s37, v8
	v_mul_u32_u24_e32 v9, s17, v8
	v_mul_u32_u24_e32 v6, s29, v6
	s_mov_b32 s22, s20
	s_mov_b32 s23, s20
	v_ashrrev_i32_e32 v3, 31, v2
	s_mov_b32 s24, s21
	v_add3_u32 v9, v9, v6, v7
	s_mov_b32 s25, s21
	s_mov_b32 s6, s21
	v_mul_u64_e32 v[4:5], s[0:1], v[2:3]
	s_sub_co_i32 s0, s7, s37
	s_cmp_ge_u32 s28, s18
	v_mov_b64_e32 v[2:3], 0xbf80000000000000
	s_cselect_b32 s17, s0, 16
	s_cmp_lg_u32 s5, 0x84
	s_mov_b32 s7, s20
	s_cselect_b32 s37, -1, 0
	s_cmp_lg_u32 s4, 0x6f
	s_wait_kmcnt 0x0
	s_add_nc_u64 s[4:5], s[10:11], s[30:31]
	s_cselect_b32 s38, -1, 0
	s_lshl_b64 s[0:1], s[14:15], 3
	s_lshl_b32 s39, s35, 7
	s_add_nc_u64 s[10:11], s[12:13], s[0:1]
	v_cmp_gt_i32_e64 s0, s35, v8
	v_add_nc_u64_e32 v[6:7], s[10:11], v[0:1]
	v_lshl_add_u32 v1, v9, 7, 0x800
	v_cmp_gt_i32_e64 s1, s17, v8
	s_lshl_b64 s[12:13], s[2:3], 3
	s_addk_co_i32 s39, 0xff80
	s_get_pc_i64 s[10:11]
	s_add_nc_u64 s[10:11], s[10:11], __const._ZL30rocblas_trsm_small_left_deviceILi16ELi16ELb0E19rocblas_complex_numIfES1_PKS1_PS1_Ev13rocblas_fill_18rocblas_operation_17rocblas_diagonal_iiT3_T4_lilT5_lili.step_sizes@rel64+4
	v_add_nc_u64_e32 v[6:7], 4, v[6:7]
	v_lshl_add_u64 v[4:5], v[4:5], 3, s[4:5]
	s_lshl_b64 s[4:5], s[8:9], 3
	s_lshl_b64 s[8:9], s[26:27], 3
	s_delay_alu instid0(VALU_DEP_1)
	v_add_nc_u64_e32 v[8:9], 4, v[4:5]
	s_branch .LBB149_4
.LBB149_2:                              ;   in Loop: Header=BB149_4 Depth=1
	s_add_co_i32 s16, s16, 0x10000
	s_delay_alu instid0(SALU_CYCLE_1) | instskip(SKIP_1) | instid1(SALU_CYCLE_1)
	s_cmp_ge_u32 s16, s33
	s_cselect_b32 s14, -1, 0
	s_or_not1_b32 s14, s14, exec_lo
.LBB149_3:                              ;   in Loop: Header=BB149_4 Depth=1
	s_wait_xcnt 0x0
	s_or_b32 exec_lo, exec_lo, s41
	s_delay_alu instid0(SALU_CYCLE_1) | instskip(NEXT) | instid1(SALU_CYCLE_1)
	s_and_b32 s14, exec_lo, s14
	s_or_b32 s40, s14, s40
	s_delay_alu instid0(SALU_CYCLE_1)
	s_and_not1_b32 exec_lo, exec_lo, s40
	s_cbranch_execz .LBB149_87
.LBB149_4:                              ; =>This Loop Header: Depth=1
                                        ;     Child Loop BB149_7 Depth 2
                                        ;     Child Loop BB149_23 Depth 2
                                        ;       Child Loop BB149_26 Depth 3
                                        ;         Child Loop BB149_28 Depth 4
                                        ;         Child Loop BB149_32 Depth 4
	;; [unrolled: 1-line block ×3, first 2 shown]
                                        ;           Child Loop BB149_38 Depth 5
                                        ;           Child Loop BB149_44 Depth 5
                                        ;         Child Loop BB149_47 Depth 4
                                        ;           Child Loop BB149_49 Depth 5
                                        ;     Child Loop BB149_57 Depth 2
                                        ;       Child Loop BB149_60 Depth 3
                                        ;         Child Loop BB149_62 Depth 4
                                        ;         Child Loop BB149_66 Depth 4
	;; [unrolled: 1-line block ×3, first 2 shown]
                                        ;           Child Loop BB149_72 Depth 5
                                        ;           Child Loop BB149_78 Depth 5
                                        ;         Child Loop BB149_81 Depth 4
                                        ;           Child Loop BB149_83 Depth 5
	s_mov_b32 s17, s19
	s_and_saveexec_b32 s14, s0
	s_cbranch_execz .LBB149_19
; %bb.5:                                ;   in Loop: Header=BB149_4 Depth=1
	v_mad_nc_u64_u32 v[12:13], s4, s16, v[6:7]
	v_mov_b32_e32 v16, v0
	s_mov_b32 s15, s35
	s_delay_alu instid0(VALU_DEP_2)
	v_mad_u32 v13, s5, s16, v13
	s_branch .LBB149_7
.LBB149_6:                              ;   in Loop: Header=BB149_7 Depth=2
	global_load_b32 v14, v[12:13], off offset:-4
	s_wait_xcnt 0x0
	v_add_nc_u64_e32 v[12:13], s[8:9], v[12:13]
	s_add_co_i32 s15, s15, -1
	s_delay_alu instid0(SALU_CYCLE_1)
	s_cmp_eq_u32 s15, 0
	s_wait_loadcnt 0x0
	ds_store_b64 v16, v[14:15]
	v_add_nc_u32_e32 v16, 0x80, v16
	s_cbranch_scc1 .LBB149_11
.LBB149_7:                              ;   Parent Loop BB149_4 Depth=1
                                        ; =>  This Inner Loop Header: Depth=2
	s_and_b32 vcc_lo, exec_lo, s34
	s_mov_b32 s18, -1
                                        ; implicit-def: $vgpr15
	s_cbranch_vccz .LBB149_9
; %bb.8:                                ;   in Loop: Header=BB149_7 Depth=2
	global_load_b32 v15, v[12:13], off
	s_mov_b32 s18, 0
.LBB149_9:                              ;   in Loop: Header=BB149_7 Depth=2
	s_delay_alu instid0(SALU_CYCLE_1)
	s_and_not1_b32 vcc_lo, exec_lo, s18
	s_cbranch_vccnz .LBB149_6
; %bb.10:                               ;   in Loop: Header=BB149_7 Depth=2
	global_load_b32 v14, v[12:13], off
	s_wait_loadcnt 0x0
	v_xor_b32_e32 v15, 0x80000000, v14
	s_branch .LBB149_6
.LBB149_11:                             ;   in Loop: Header=BB149_4 Depth=1
	s_and_b32 vcc_lo, exec_lo, s37
	s_mov_b32 s15, -1
	s_cbranch_vccz .LBB149_17
; %bb.12:                               ;   in Loop: Header=BB149_4 Depth=1
	ds_load_b64 v[12:13], v24
                                        ; implicit-def: $vgpr14_vgpr15
	s_wait_dscnt 0x0
	v_cmp_ngt_f32_e64 s15, |v12|, |v13|
	s_and_saveexec_b32 s18, s15
	s_delay_alu instid0(SALU_CYCLE_1)
	s_xor_b32 s15, exec_lo, s18
	s_cbranch_execz .LBB149_14
; %bb.13:                               ;   in Loop: Header=BB149_4 Depth=1
	v_div_scale_f32 v14, null, v13, v13, v12
	v_div_scale_f32 v17, vcc_lo, v12, v13, v12
	s_delay_alu instid0(VALU_DEP_2) | instskip(SKIP_1) | instid1(TRANS32_DEP_1)
	v_rcp_f32_e32 v15, v14
	v_nop
	v_fma_f32 v16, -v14, v15, 1.0
	s_delay_alu instid0(VALU_DEP_1) | instskip(NEXT) | instid1(VALU_DEP_1)
	v_fmac_f32_e32 v15, v16, v15
	v_mul_f32_e32 v16, v17, v15
	s_delay_alu instid0(VALU_DEP_1) | instskip(NEXT) | instid1(VALU_DEP_1)
	v_fma_f32 v18, -v14, v16, v17
	v_fmac_f32_e32 v16, v18, v15
	s_delay_alu instid0(VALU_DEP_1) | instskip(NEXT) | instid1(VALU_DEP_1)
	v_fma_f32 v14, -v14, v16, v17
	v_div_fmas_f32 v14, v14, v15, v16
	s_delay_alu instid0(VALU_DEP_1) | instskip(NEXT) | instid1(VALU_DEP_1)
	v_div_fixup_f32 v14, v14, v13, v12
	v_fmac_f32_e32 v13, v12, v14
	s_delay_alu instid0(VALU_DEP_1) | instskip(SKIP_1) | instid1(VALU_DEP_2)
	v_div_scale_f32 v12, null, v13, v13, 1.0
	v_div_scale_f32 v17, vcc_lo, 1.0, v13, 1.0
	v_rcp_f32_e32 v15, v12
	v_nop
	s_delay_alu instid0(TRANS32_DEP_1) | instskip(NEXT) | instid1(VALU_DEP_1)
	v_fma_f32 v16, -v12, v15, 1.0
	v_fmac_f32_e32 v15, v16, v15
	s_delay_alu instid0(VALU_DEP_1) | instskip(NEXT) | instid1(VALU_DEP_1)
	v_mul_f32_e32 v16, v17, v15
	v_fma_f32 v18, -v12, v16, v17
	s_delay_alu instid0(VALU_DEP_1) | instskip(NEXT) | instid1(VALU_DEP_1)
	v_fmac_f32_e32 v16, v18, v15
	v_fma_f32 v12, -v12, v16, v17
	s_delay_alu instid0(VALU_DEP_1) | instskip(SKIP_1) | instid1(VALU_DEP_2)
	v_div_fmas_f32 v12, v12, v15, v16
	v_mul_f32_e32 v15, 0, v14
	v_div_fixup_f32 v12, v12, v13, 1.0
	s_delay_alu instid0(VALU_DEP_2) | instskip(NEXT) | instid1(VALU_DEP_1)
	v_pk_add_f32 v[14:15], v[14:15], v[2:3]
	v_pk_mul_f32 v[14:15], v[14:15], v[12:13] op_sel_hi:[1,0]
                                        ; implicit-def: $vgpr12_vgpr13
.LBB149_14:                             ;   in Loop: Header=BB149_4 Depth=1
	s_and_not1_saveexec_b32 s15, s15
	s_cbranch_execz .LBB149_16
; %bb.15:                               ;   in Loop: Header=BB149_4 Depth=1
	v_div_scale_f32 v14, null, v12, v12, v13
	v_div_scale_f32 v17, vcc_lo, v13, v12, v13
	s_delay_alu instid0(VALU_DEP_2) | instskip(SKIP_1) | instid1(TRANS32_DEP_1)
	v_rcp_f32_e32 v15, v14
	v_nop
	v_fma_f32 v16, -v14, v15, 1.0
	s_delay_alu instid0(VALU_DEP_1) | instskip(NEXT) | instid1(VALU_DEP_1)
	v_fmac_f32_e32 v15, v16, v15
	v_mul_f32_e32 v16, v17, v15
	s_delay_alu instid0(VALU_DEP_1) | instskip(NEXT) | instid1(VALU_DEP_1)
	v_fma_f32 v18, -v14, v16, v17
	v_fmac_f32_e32 v16, v18, v15
	s_delay_alu instid0(VALU_DEP_1) | instskip(NEXT) | instid1(VALU_DEP_1)
	v_fma_f32 v14, -v14, v16, v17
	v_div_fmas_f32 v14, v14, v15, v16
	s_delay_alu instid0(VALU_DEP_1) | instskip(NEXT) | instid1(VALU_DEP_1)
	v_div_fixup_f32 v15, v14, v12, v13
	v_fmac_f32_e32 v12, v13, v15
	s_delay_alu instid0(VALU_DEP_1) | instskip(SKIP_1) | instid1(VALU_DEP_2)
	v_div_scale_f32 v13, null, v12, v12, 1.0
	v_div_scale_f32 v17, vcc_lo, 1.0, v12, 1.0
	v_rcp_f32_e32 v14, v13
	v_nop
	s_delay_alu instid0(TRANS32_DEP_1) | instskip(NEXT) | instid1(VALU_DEP_1)
	v_fma_f32 v16, -v13, v14, 1.0
	v_fmac_f32_e32 v14, v16, v14
	s_delay_alu instid0(VALU_DEP_1) | instskip(NEXT) | instid1(VALU_DEP_1)
	v_mul_f32_e32 v16, v17, v14
	v_fma_f32 v18, -v13, v16, v17
	s_delay_alu instid0(VALU_DEP_1) | instskip(NEXT) | instid1(VALU_DEP_1)
	v_fmac_f32_e32 v16, v18, v14
	v_dual_fma_f32 v13, -v13, v16, v17 :: v_dual_mul_f32 v17, 0, v15
	v_sub_f32_e32 v15, 0, v15
	s_delay_alu instid0(VALU_DEP_2) | instskip(NEXT) | instid1(VALU_DEP_3)
	v_div_fmas_f32 v13, v13, v14, v16
	v_add_f32_e32 v14, 1.0, v17
	s_delay_alu instid0(VALU_DEP_2) | instskip(NEXT) | instid1(VALU_DEP_1)
	v_div_fixup_f32 v12, v13, v12, 1.0
	v_pk_mul_f32 v[14:15], v[14:15], v[12:13] op_sel_hi:[1,0]
.LBB149_16:                             ;   in Loop: Header=BB149_4 Depth=1
	s_or_b32 exec_lo, exec_lo, s15
	s_mov_b32 s15, 0
	ds_store_b64 v24, v[14:15]
.LBB149_17:                             ;   in Loop: Header=BB149_4 Depth=1
	s_and_b32 vcc_lo, exec_lo, s15
	s_cbranch_vccz .LBB149_19
; %bb.18:                               ;   in Loop: Header=BB149_4 Depth=1
	ds_store_b64 v24, v[10:11]
.LBB149_19:                             ;   in Loop: Header=BB149_4 Depth=1
	s_or_b32 exec_lo, exec_lo, s14
	s_mov_b32 s14, -1
	s_wait_dscnt 0x0
	; wave barrier
	s_and_saveexec_b32 s41, s1
	s_cbranch_execz .LBB149_3
; %bb.20:                               ;   in Loop: Header=BB149_4 Depth=1
	s_mul_u64 s[14:15], s[2:3], s[16:17]
	s_and_not1_b32 vcc_lo, exec_lo, s38
	v_lshl_add_u64 v[12:13], s[14:15], 3, v[4:5]
	s_mul_u64 s[14:15], s[12:13], s[16:17]
	s_mov_b32 s17, -1
	s_cbranch_vccnz .LBB149_54
; %bb.21:                               ;   in Loop: Header=BB149_4 Depth=1
	v_add_nc_u64_e32 v[14:15], s[14:15], v[8:9]
	s_mov_b32 s17, 0
	s_mov_b32 s26, 0
	s_branch .LBB149_23
.LBB149_22:                             ;   in Loop: Header=BB149_23 Depth=2
	s_cmp_lt_i32 s26, s35
	s_cselect_b32 s18, -1, 0
	s_add_co_i32 s27, s17, 1
	s_cmp_lt_u32 s17, 2
	s_wait_xcnt 0x0
	s_cselect_b32 s17, -1, 0
	s_delay_alu instid0(SALU_CYCLE_1) | instskip(NEXT) | instid1(SALU_CYCLE_1)
	s_and_b32 s17, s18, s17
	s_and_b32 vcc_lo, exec_lo, s17
	s_mov_b32 s17, s27
	s_cbranch_vccz .LBB149_53
.LBB149_23:                             ;   Parent Loop BB149_4 Depth=1
                                        ; =>  This Loop Header: Depth=2
                                        ;       Child Loop BB149_26 Depth 3
                                        ;         Child Loop BB149_28 Depth 4
                                        ;         Child Loop BB149_32 Depth 4
	;; [unrolled: 1-line block ×3, first 2 shown]
                                        ;           Child Loop BB149_38 Depth 5
                                        ;           Child Loop BB149_44 Depth 5
                                        ;         Child Loop BB149_47 Depth 4
                                        ;           Child Loop BB149_49 Depth 5
	s_load_b32 s28, s[10:11], s17 offset:0x0 scale_offset
	s_wait_kmcnt 0x0
	s_add_co_i32 s42, s28, -1
	s_delay_alu instid0(SALU_CYCLE_1) | instskip(NEXT) | instid1(SALU_CYCLE_1)
	s_add_co_i32 s18, s42, s26
	s_cmp_ge_i32 s18, s35
	s_cbranch_scc1 .LBB149_22
; %bb.24:                               ;   in Loop: Header=BB149_23 Depth=2
	s_max_i32 s43, s28, 1
	s_cmp_lg_u32 s17, 2
	s_mul_i32 s47, s26, 0x88
	s_cselect_b32 s44, -1, 0
	s_and_b32 s45, s43, 0x7ffffffe
	s_mul_i32 s48, s28, 0x88
	s_cmp_lg_u32 s43, s45
	s_cselect_b32 s46, -1, 0
	s_ashr_i32 s27, s26, 31
	s_ashr_i32 s29, s28, 31
	s_branch .LBB149_26
.LBB149_25:                             ;   in Loop: Header=BB149_26 Depth=3
	s_add_nc_u64 s[26:27], s[26:27], s[28:29]
	s_add_co_i32 s47, s47, s48
	s_add_co_i32 s18, s42, s26
	s_delay_alu instid0(SALU_CYCLE_1)
	s_cmp_ge_i32 s18, s35
	s_cbranch_scc1 .LBB149_22
.LBB149_26:                             ;   Parent Loop BB149_4 Depth=1
                                        ;     Parent Loop BB149_23 Depth=2
                                        ; =>    This Loop Header: Depth=3
                                        ;         Child Loop BB149_28 Depth 4
                                        ;         Child Loop BB149_32 Depth 4
                                        ;         Child Loop BB149_36 Depth 4
                                        ;           Child Loop BB149_38 Depth 5
                                        ;           Child Loop BB149_44 Depth 5
                                        ;         Child Loop BB149_47 Depth 4
                                        ;           Child Loop BB149_49 Depth 5
	s_and_not1_b32 vcc_lo, exec_lo, s44
	s_cbranch_vccnz .LBB149_30
; %bb.27:                               ;   in Loop: Header=BB149_26 Depth=3
	s_wait_xcnt 0x0
	v_mov_b32_e32 v16, v1
	s_mov_b32 s30, s26
	s_mov_b32 s31, s26
	;; [unrolled: 1-line block ×5, first 2 shown]
.LBB149_28:                             ;   Parent Loop BB149_4 Depth=1
                                        ;     Parent Loop BB149_23 Depth=2
                                        ;       Parent Loop BB149_26 Depth=3
                                        ; =>      This Inner Loop Header: Depth=4
	s_add_co_i32 s52, s49, s31
	s_add_co_i32 s54, s50, s30
	s_ashr_i32 s53, s52, 31
	s_ashr_i32 s55, s54, 31
	v_lshl_add_u64 v[18:19], s[52:53], 3, v[12:13]
	v_lshl_add_u64 v[20:21], s[54:55], 3, v[12:13]
	s_add_co_i32 s51, s51, -2
	s_add_co_i32 s50, s50, 2
	s_add_co_i32 s49, s49, 2
	s_clause 0x1
	global_load_b64 v[22:23], v[18:19], off
	global_load_b64 v[26:27], v[20:21], off
	s_wait_xcnt 0x1
	v_mov_b64_e32 v[18:19], s[24:25]
	s_wait_xcnt 0x0
	v_mov_b64_e32 v[20:21], s[22:23]
	s_mov_b32 s18, s45
	s_cmp_lg_u32 s51, 0
	s_mov_b32 s52, s46
	s_wait_loadcnt 0x0
	v_dual_mov_b32 v29, v22 :: v_dual_mov_b32 v22, v27
	v_mov_b32_e32 v28, v26
	s_delay_alu instid0(VALU_DEP_2) | instskip(SKIP_1) | instid1(VALU_DEP_2)
	v_pk_mul_f32 v[26:27], v[22:23], v[18:19]
	v_pk_mul_f32 v[22:23], v[22:23], v[20:21]
	v_pk_fma_f32 v[26:27], v[28:29], v[20:21], v[26:27] neg_lo:[0,0,1] neg_hi:[0,0,1]
	s_delay_alu instid0(VALU_DEP_2) | instskip(NEXT) | instid1(VALU_DEP_1)
	v_pk_fma_f32 v[20:21], v[28:29], v[18:19], v[22:23]
	v_dual_mov_b32 v18, v26 :: v_dual_mov_b32 v19, v20
	s_delay_alu instid0(VALU_DEP_3)
	v_mov_b32_e32 v20, v27
	ds_store_b128 v16, v[18:21]
	v_add_nc_u32_e32 v16, 16, v16
	s_cbranch_scc1 .LBB149_28
; %bb.29:                               ;   in Loop: Header=BB149_26 Depth=3
	s_and_b32 vcc_lo, exec_lo, s52
	s_cbranch_vccnz .LBB149_31
	s_branch .LBB149_33
.LBB149_30:                             ;   in Loop: Header=BB149_26 Depth=3
	s_mov_b32 s18, 0
	s_cbranch_execz .LBB149_33
.LBB149_31:                             ;   in Loop: Header=BB149_26 Depth=3
	s_add_nc_u64 s[30:31], s[26:27], s[18:19]
	v_lshl_add_u32 v18, s18, 3, v1
	s_wait_xcnt 0x0
	v_lshl_add_u64 v[16:17], s[30:31], 3, v[14:15]
	s_sub_co_i32 s18, s43, s18
.LBB149_32:                             ;   Parent Loop BB149_4 Depth=1
                                        ;     Parent Loop BB149_23 Depth=2
                                        ;       Parent Loop BB149_26 Depth=3
                                        ; =>      This Inner Loop Header: Depth=4
	global_load_b64 v[20:21], v[16:17], off offset:-4
	v_mov_b64_e32 v[22:23], s[6:7]
	v_mov_b64_e32 v[26:27], s[20:21]
	s_wait_xcnt 0x0
	v_add_nc_u64_e32 v[16:17], 8, v[16:17]
	s_add_co_i32 s18, s18, -1
	s_delay_alu instid0(SALU_CYCLE_1) | instskip(SKIP_2) | instid1(VALU_DEP_1)
	s_cmp_eq_u32 s18, 0
	s_wait_loadcnt 0x0
	v_pk_mul_f32 v[22:23], v[20:21], v[22:23] op_sel:[1,0]
	v_pk_fma_f32 v[28:29], v[20:21], v[26:27], v[22:23] op_sel_hi:[0,1,1]
	v_pk_fma_f32 v[20:21], v[20:21], v[26:27], v[22:23] neg_lo:[0,0,1] neg_hi:[0,0,1]
	s_delay_alu instid0(VALU_DEP_2)
	v_mov_b32_e32 v21, v29
	ds_store_b64 v18, v[20:21]
	v_add_nc_u32_e32 v18, 8, v18
	s_cbranch_scc0 .LBB149_32
.LBB149_33:                             ;   in Loop: Header=BB149_26 Depth=3
	s_cmp_lt_i32 s26, 1
	s_cbranch_scc1 .LBB149_45
; %bb.34:                               ;   in Loop: Header=BB149_26 Depth=3
	s_mov_b32 s31, 0
	s_mov_b32 s30, s26
	;; [unrolled: 1-line block ×4, first 2 shown]
	s_branch .LBB149_36
.LBB149_35:                             ;   in Loop: Header=BB149_36 Depth=4
	s_add_co_i32 s18, s18, 1
	s_add_co_i32 s31, s31, 8
	s_cmp_eq_u32 s18, s26
	s_cbranch_scc1 .LBB149_45
.LBB149_36:                             ;   Parent Loop BB149_4 Depth=1
                                        ;     Parent Loop BB149_23 Depth=2
                                        ;       Parent Loop BB149_26 Depth=3
                                        ; =>      This Loop Header: Depth=4
                                        ;           Child Loop BB149_38 Depth 5
                                        ;           Child Loop BB149_44 Depth 5
	s_wait_xcnt 0x0
	v_lshl_add_u64 v[16:17], s[18:19], 3, v[12:13]
	s_and_b32 vcc_lo, exec_lo, s44
	global_load_b64 v[16:17], v[16:17], off
	s_cbranch_vccz .LBB149_40
; %bb.37:                               ;   in Loop: Header=BB149_36 Depth=4
	s_wait_loadcnt 0x0
	v_dual_mov_b32 v20, v16 :: v_dual_mov_b32 v21, v16
	v_dual_mov_b32 v18, v17 :: v_dual_mov_b32 v22, v17
	;; [unrolled: 1-line block ×3, first 2 shown]
	s_lshl_b32 s50, s18, 3
	s_mov_b32 s51, 1
	s_mov_b32 s52, 0
	;; [unrolled: 1-line block ×3, first 2 shown]
.LBB149_38:                             ;   Parent Loop BB149_4 Depth=1
                                        ;     Parent Loop BB149_23 Depth=2
                                        ;       Parent Loop BB149_26 Depth=3
                                        ;         Parent Loop BB149_36 Depth=4
                                        ; =>        This Inner Loop Header: Depth=5
	s_add_co_i32 s54, s52, s30
	s_add_co_i32 s55, s51, s49
	s_lshl_b32 s54, s54, 7
	s_lshl_b32 s55, s55, 7
	s_add_co_i32 s54, s50, s54
	s_add_co_i32 s55, s50, s55
	s_delay_alu instid0(SALU_CYCLE_1)
	v_dual_mov_b32 v25, s54 :: v_dual_mov_b32 v26, s55
	s_add_co_i32 s53, s53, -2
	s_add_co_i32 s52, s52, 2
	s_add_co_i32 s51, s51, 2
	ds_load_b64 v[30:31], v25
	ds_load_b64 v[32:33], v26
	ds_load_b128 v[26:29], v19
	s_cmp_lg_u32 s53, 0
	s_wait_dscnt 0x1
	v_dual_mov_b32 v36, v30 :: v_dual_mov_b32 v37, v32
	s_wait_dscnt 0x0
	v_dual_mov_b32 v32, v31 :: v_dual_mov_b32 v34, v26
	v_dual_mov_b32 v35, v28 :: v_dual_mov_b32 v28, v27
	s_delay_alu instid0(VALU_DEP_2) | instskip(SKIP_1) | instid1(VALU_DEP_2)
	v_pk_mul_f32 v[30:31], v[32:33], v[22:23]
	v_pk_mul_f32 v[32:33], v[32:33], v[20:21]
	v_pk_fma_f32 v[26:27], v[36:37], v[20:21], v[30:31] neg_lo:[0,0,1] neg_hi:[0,0,1]
	s_delay_alu instid0(VALU_DEP_2) | instskip(NEXT) | instid1(VALU_DEP_2)
	v_pk_fma_f32 v[30:31], v[36:37], v[22:23], v[32:33]
	v_pk_add_f32 v[32:33], v[34:35], v[26:27] neg_lo:[0,1] neg_hi:[0,1]
	s_delay_alu instid0(VALU_DEP_2) | instskip(NEXT) | instid1(VALU_DEP_1)
	v_pk_add_f32 v[28:29], v[28:29], v[30:31] neg_lo:[0,1] neg_hi:[0,1]
	v_dual_mov_b32 v26, v32 :: v_dual_mov_b32 v27, v28
	s_delay_alu instid0(VALU_DEP_3)
	v_mov_b32_e32 v28, v33
	ds_store_b128 v19, v[26:29]
	v_add_nc_u32_e32 v19, 16, v19
	s_cbranch_scc1 .LBB149_38
; %bb.39:                               ;   in Loop: Header=BB149_36 Depth=4
	s_mov_b32 s50, s46
	s_mov_b32 s51, s45
	s_branch .LBB149_42
.LBB149_40:                             ;   in Loop: Header=BB149_36 Depth=4
	s_wait_loadcnt 0x0
	v_mov_b32_e32 v18, v17
	s_mov_b32 s50, 0
	s_mov_b32 s51, s45
	s_cbranch_execz .LBB149_42
; %bb.41:                               ;   in Loop: Header=BB149_36 Depth=4
	s_mov_b32 s50, -1
	s_mov_b32 s51, 0
.LBB149_42:                             ;   in Loop: Header=BB149_36 Depth=4
	s_and_not1_b32 vcc_lo, exec_lo, s50
	s_cbranch_vccnz .LBB149_35
; %bb.43:                               ;   in Loop: Header=BB149_36 Depth=4
	s_add_co_i32 s50, s26, s51
	s_wait_xcnt 0x0
	v_dual_mov_b32 v19, v17 :: v_dual_mov_b32 v17, v16
	v_lshl_add_u32 v20, s51, 3, v1
	s_lshl_b32 s52, s50, 7
	s_sub_co_i32 s50, s43, s51
	s_add_co_i32 s51, s31, s52
.LBB149_44:                             ;   Parent Loop BB149_4 Depth=1
                                        ;     Parent Loop BB149_23 Depth=2
                                        ;       Parent Loop BB149_26 Depth=3
                                        ;         Parent Loop BB149_36 Depth=4
                                        ; =>        This Inner Loop Header: Depth=5
	s_delay_alu instid0(SALU_CYCLE_1)
	v_mov_b32_e32 v21, s51
	s_add_co_i32 s50, s50, -1
	s_addk_co_i32 s51, 0x80
	s_cmp_eq_u32 s50, 0
	ds_load_b64 v[22:23], v21
	ds_load_b64 v[26:27], v20
	s_wait_dscnt 0x1
	v_pk_mul_f32 v[28:29], v[22:23], v[18:19] op_sel:[1,0] op_sel_hi:[0,1]
	s_delay_alu instid0(VALU_DEP_1) | instskip(SKIP_1) | instid1(VALU_DEP_2)
	v_pk_fma_f32 v[30:31], v[22:23], v[16:17], v[28:29]
	v_pk_fma_f32 v[22:23], v[22:23], v[16:17], v[28:29] neg_lo:[0,0,1] neg_hi:[0,0,1]
	v_mov_b32_e32 v23, v31
	s_wait_dscnt 0x0
	s_delay_alu instid0(VALU_DEP_1)
	v_pk_add_f32 v[22:23], v[26:27], v[22:23] neg_lo:[0,1] neg_hi:[0,1]
	ds_store_b64 v20, v[22:23]
	v_add_nc_u32_e32 v20, 8, v20
	s_cbranch_scc0 .LBB149_44
	s_branch .LBB149_35
.LBB149_45:                             ;   in Loop: Header=BB149_26 Depth=3
	s_mov_b32 s18, 0
	s_mov_b32 s49, s47
	s_branch .LBB149_47
.LBB149_46:                             ;   in Loop: Header=BB149_47 Depth=4
	s_mul_i32 s31, s30, 0x88
	s_add_co_i32 s18, s18, 1
	s_wait_xcnt 0x0
	v_mov_b32_e32 v17, s31
	s_ashr_i32 s31, s30, 31
	s_addk_co_i32 s49, 0x80
	s_cmp_eq_u32 s18, s43
	ds_load_b64 v[20:21], v17
	s_wait_dscnt 0x0
	v_pk_mul_f32 v[22:23], v[20:21], v[18:19] op_sel:[1,0] op_sel_hi:[0,0]
	s_delay_alu instid0(VALU_DEP_1) | instskip(SKIP_2) | instid1(VALU_DEP_3)
	v_pk_fma_f32 v[26:27], v[20:21], v[16:17], v[22:23] op_sel_hi:[1,0,1]
	v_pk_fma_f32 v[16:17], v[20:21], v[16:17], v[22:23] neg_lo:[0,0,1] neg_hi:[0,0,1]
	v_lshl_add_u64 v[20:21], s[30:31], 3, v[12:13]
	v_mov_b32_e32 v17, v27
	ds_store_b64 v19, v[16:17]
	global_store_b64 v[20:21], v[16:17], off
	s_cbranch_scc1 .LBB149_25
.LBB149_47:                             ;   Parent Loop BB149_4 Depth=1
                                        ;     Parent Loop BB149_23 Depth=2
                                        ;       Parent Loop BB149_26 Depth=3
                                        ; =>      This Loop Header: Depth=4
                                        ;           Child Loop BB149_49 Depth 5
	v_lshl_add_u32 v19, s18, 3, v1
	s_cmp_lg_u32 s18, 0
	s_cbranch_scc0 .LBB149_51
; %bb.48:                               ;   in Loop: Header=BB149_47 Depth=4
	s_wait_xcnt 0x0
	ds_load_b64 v[16:17], v19
	v_mov_b32_e32 v18, v1
	s_mov_b32 s30, s49
	s_mov_b32 s31, s18
.LBB149_49:                             ;   Parent Loop BB149_4 Depth=1
                                        ;     Parent Loop BB149_23 Depth=2
                                        ;       Parent Loop BB149_26 Depth=3
                                        ;         Parent Loop BB149_47 Depth=4
                                        ; =>        This Inner Loop Header: Depth=5
	v_mov_b32_e32 v22, s30
	s_add_co_i32 s31, s31, -1
	s_add_co_i32 s30, s30, 8
	s_cmp_eq_u32 s31, 0
	ds_load_b64 v[20:21], v18
	ds_load_b64 v[22:23], v22
	v_add_nc_u32_e32 v18, 8, v18
	s_wait_dscnt 0x0
	v_pk_mul_f32 v[26:27], v[22:23], v[20:21] op_sel:[1,1] op_sel_hi:[0,1]
	s_delay_alu instid0(VALU_DEP_1) | instskip(SKIP_1) | instid1(VALU_DEP_2)
	v_pk_fma_f32 v[28:29], v[22:23], v[20:21], v[26:27] op_sel_hi:[1,0,1]
	v_pk_fma_f32 v[20:21], v[22:23], v[20:21], v[26:27] neg_lo:[0,0,1] neg_hi:[0,0,1]
	v_mov_b32_e32 v21, v29
	s_delay_alu instid0(VALU_DEP_1)
	v_pk_add_f32 v[16:17], v[16:17], v[20:21] neg_lo:[0,1] neg_hi:[0,1]
	ds_store_b64 v19, v[16:17]
	s_cbranch_scc0 .LBB149_49
; %bb.50:                               ;   in Loop: Header=BB149_47 Depth=4
	v_mov_b32_e32 v18, v17
	s_add_co_i32 s30, s18, s26
	s_branch .LBB149_46
.LBB149_51:                             ;   in Loop: Header=BB149_47 Depth=4
                                        ; implicit-def: $vgpr16
                                        ; implicit-def: $vgpr18
                                        ; implicit-def: $sgpr30
	s_cbranch_execz .LBB149_46
; %bb.52:                               ;   in Loop: Header=BB149_47 Depth=4
	s_wait_xcnt 0x0
	ds_load_b64 v[16:17], v1
	s_mov_b32 s30, s26
	s_wait_dscnt 0x0
	v_mov_b32_e32 v18, v17
	s_branch .LBB149_46
.LBB149_53:                             ;   in Loop: Header=BB149_4 Depth=1
	s_mov_b32 s17, 0
.LBB149_54:                             ;   in Loop: Header=BB149_4 Depth=1
	s_delay_alu instid0(SALU_CYCLE_1)
	s_and_b32 vcc_lo, exec_lo, s17
	s_cbranch_vccz .LBB149_2
; %bb.55:                               ;   in Loop: Header=BB149_4 Depth=1
	v_add_nc_u64_e32 v[14:15], s[14:15], v[8:9]
	s_mov_b32 s17, 0
	s_mov_b32 s14, s36
	s_branch .LBB149_57
.LBB149_56:                             ;   in Loop: Header=BB149_57 Depth=2
	s_cmp_gt_i32 s14, -1
	s_cselect_b32 s15, -1, 0
	s_add_co_i32 s18, s17, 1
	s_cmp_lt_u32 s17, 2
	s_cselect_b32 s17, -1, 0
	s_delay_alu instid0(SALU_CYCLE_1)
	s_and_b32 s15, s15, s17
	s_mov_b32 s17, s18
	s_and_not1_b32 vcc_lo, exec_lo, s15
	s_cbranch_vccnz .LBB149_2
.LBB149_57:                             ;   Parent Loop BB149_4 Depth=1
                                        ; =>  This Loop Header: Depth=2
                                        ;       Child Loop BB149_60 Depth 3
                                        ;         Child Loop BB149_62 Depth 4
                                        ;         Child Loop BB149_66 Depth 4
	;; [unrolled: 1-line block ×3, first 2 shown]
                                        ;           Child Loop BB149_72 Depth 5
                                        ;           Child Loop BB149_78 Depth 5
                                        ;         Child Loop BB149_81 Depth 4
                                        ;           Child Loop BB149_83 Depth 5
	s_load_b32 s30, s[10:11], s17 offset:0x0 scale_offset
	s_wait_kmcnt 0x0
	s_add_co_i32 s31, s30, -1
	s_delay_alu instid0(SALU_CYCLE_1)
	s_cmp_lt_i32 s14, s31
	s_cbranch_scc1 .LBB149_56
; %bb.58:                               ;   in Loop: Header=BB149_57 Depth=2
	s_max_i32 s42, s30, 1
	s_cmp_lg_u32 s17, 2
	s_mul_i32 s48, s14, 0x88
	s_cselect_b32 s43, -1, 0
	s_and_b32 s44, s42, 0x7ffffffe
	s_mul_i32 s49, s30, 0xffffff78
	s_cmp_lg_u32 s42, s44
	s_cselect_b32 s45, -1, 0
	s_lshl_b32 s15, s14, 3
	s_lshl_b32 s18, s30, 3
	s_add_co_i32 s46, s39, s15
	s_sub_co_i32 s47, 0, s18
	s_branch .LBB149_60
.LBB149_59:                             ;   in Loop: Header=BB149_60 Depth=3
	s_sub_co_i32 s14, s14, s30
	s_add_co_i32 s46, s46, s47
	s_add_co_i32 s48, s48, s49
	s_cmp_lt_i32 s14, s31
	s_cbranch_scc1 .LBB149_56
.LBB149_60:                             ;   Parent Loop BB149_4 Depth=1
                                        ;     Parent Loop BB149_57 Depth=2
                                        ; =>    This Loop Header: Depth=3
                                        ;         Child Loop BB149_62 Depth 4
                                        ;         Child Loop BB149_66 Depth 4
	;; [unrolled: 1-line block ×3, first 2 shown]
                                        ;           Child Loop BB149_72 Depth 5
                                        ;           Child Loop BB149_78 Depth 5
                                        ;         Child Loop BB149_81 Depth 4
                                        ;           Child Loop BB149_83 Depth 5
	s_and_not1_b32 vcc_lo, exec_lo, s43
	s_cbranch_vccnz .LBB149_64
; %bb.61:                               ;   in Loop: Header=BB149_60 Depth=3
	s_wait_xcnt 0x0
	v_mov_b32_e32 v16, v1
	s_mov_b32 s15, s14
	s_mov_b32 s26, 1
	;; [unrolled: 1-line block ×4, first 2 shown]
.LBB149_62:                             ;   Parent Loop BB149_4 Depth=1
                                        ;     Parent Loop BB149_57 Depth=2
                                        ;       Parent Loop BB149_60 Depth=3
                                        ; =>      This Inner Loop Header: Depth=4
	s_sub_co_i32 s50, s15, s26
	s_sub_co_i32 s52, s14, s27
	s_ashr_i32 s51, s50, 31
	s_ashr_i32 s53, s52, 31
	v_lshl_add_u64 v[18:19], s[50:51], 3, v[12:13]
	v_lshl_add_u64 v[20:21], s[52:53], 3, v[12:13]
	s_add_co_i32 s28, s28, -2
	s_add_co_i32 s27, s27, 2
	s_add_co_i32 s26, s26, 2
	s_clause 0x1
	global_load_b64 v[22:23], v[18:19], off
	global_load_b64 v[26:27], v[20:21], off
	s_wait_xcnt 0x1
	v_mov_b64_e32 v[18:19], s[24:25]
	s_wait_xcnt 0x0
	v_mov_b64_e32 v[20:21], s[22:23]
	s_mov_b32 s18, s44
	s_cmp_lg_u32 s28, 0
	s_mov_b32 s29, s45
	s_wait_loadcnt 0x0
	v_dual_mov_b32 v29, v22 :: v_dual_mov_b32 v22, v27
	v_mov_b32_e32 v28, v26
	s_delay_alu instid0(VALU_DEP_2) | instskip(SKIP_1) | instid1(VALU_DEP_2)
	v_pk_mul_f32 v[26:27], v[22:23], v[18:19]
	v_pk_mul_f32 v[22:23], v[22:23], v[20:21]
	v_pk_fma_f32 v[26:27], v[28:29], v[20:21], v[26:27] neg_lo:[0,0,1] neg_hi:[0,0,1]
	s_delay_alu instid0(VALU_DEP_2) | instskip(NEXT) | instid1(VALU_DEP_1)
	v_pk_fma_f32 v[20:21], v[28:29], v[18:19], v[22:23]
	v_dual_mov_b32 v18, v26 :: v_dual_mov_b32 v19, v20
	s_delay_alu instid0(VALU_DEP_3)
	v_mov_b32_e32 v20, v27
	ds_store_b128 v16, v[18:21]
	v_add_nc_u32_e32 v16, 16, v16
	s_cbranch_scc1 .LBB149_62
; %bb.63:                               ;   in Loop: Header=BB149_60 Depth=3
	s_and_b32 vcc_lo, exec_lo, s29
	s_ashr_i32 s15, s14, 31
	s_cbranch_vccnz .LBB149_65
	s_branch .LBB149_67
.LBB149_64:                             ;   in Loop: Header=BB149_60 Depth=3
	s_mov_b32 s18, 0
	s_ashr_i32 s15, s14, 31
	s_cbranch_execz .LBB149_67
.LBB149_65:                             ;   in Loop: Header=BB149_60 Depth=3
	s_lshl_b64 s[26:27], s[14:15], 3
	s_lshl_b64 s[28:29], s[18:19], 3
	v_lshl_add_u32 v18, s18, 3, v1
	s_sub_nc_u64 s[26:27], s[26:27], s[28:29]
	s_sub_co_i32 s18, s42, s18
	s_wait_xcnt 0x0
	v_add_nc_u64_e32 v[16:17], s[26:27], v[14:15]
.LBB149_66:                             ;   Parent Loop BB149_4 Depth=1
                                        ;     Parent Loop BB149_57 Depth=2
                                        ;       Parent Loop BB149_60 Depth=3
                                        ; =>      This Inner Loop Header: Depth=4
	global_load_b64 v[20:21], v[16:17], off offset:-4
	v_mov_b64_e32 v[22:23], s[6:7]
	v_mov_b64_e32 v[26:27], s[20:21]
	s_wait_xcnt 0x0
	v_add_nc_u64_e32 v[16:17], -8, v[16:17]
	s_add_co_i32 s18, s18, -1
	s_delay_alu instid0(SALU_CYCLE_1) | instskip(SKIP_2) | instid1(VALU_DEP_1)
	s_cmp_eq_u32 s18, 0
	s_wait_loadcnt 0x0
	v_pk_mul_f32 v[22:23], v[20:21], v[22:23] op_sel:[1,0]
	v_pk_fma_f32 v[28:29], v[20:21], v[26:27], v[22:23] op_sel_hi:[0,1,1]
	v_pk_fma_f32 v[20:21], v[20:21], v[26:27], v[22:23] neg_lo:[0,0,1] neg_hi:[0,0,1]
	s_delay_alu instid0(VALU_DEP_2)
	v_mov_b32_e32 v21, v29
	ds_store_b64 v18, v[20:21]
	v_add_nc_u32_e32 v18, 8, v18
	s_cbranch_scc0 .LBB149_66
.LBB149_67:                             ;   in Loop: Header=BB149_60 Depth=3
	s_cmp_le_i32 s36, s14
	s_cbranch_scc1 .LBB149_79
; %bb.68:                               ;   in Loop: Header=BB149_60 Depth=3
	s_mov_b32 s18, s14
	s_mov_b32 s28, s14
	;; [unrolled: 1-line block ×4, first 2 shown]
	s_branch .LBB149_70
.LBB149_69:                             ;   in Loop: Header=BB149_70 Depth=4
	s_add_co_i32 s26, s26, -1
	s_addk_co_i32 s29, 0xff80
	s_cmp_le_i32 s26, s14
	s_cbranch_scc1 .LBB149_79
.LBB149_70:                             ;   Parent Loop BB149_4 Depth=1
                                        ;     Parent Loop BB149_57 Depth=2
                                        ;       Parent Loop BB149_60 Depth=3
                                        ; =>      This Loop Header: Depth=4
                                        ;           Child Loop BB149_72 Depth 5
                                        ;           Child Loop BB149_78 Depth 5
	s_ashr_i32 s27, s26, 31
	s_and_b32 vcc_lo, exec_lo, s43
	s_wait_xcnt 0x0
	v_lshl_add_u64 v[16:17], s[26:27], 3, v[12:13]
	global_load_b64 v[16:17], v[16:17], off
	s_cbranch_vccz .LBB149_74
; %bb.71:                               ;   in Loop: Header=BB149_70 Depth=4
	s_wait_loadcnt 0x0
	v_dual_mov_b32 v20, v16 :: v_dual_mov_b32 v21, v16
	v_dual_mov_b32 v18, v17 :: v_dual_mov_b32 v22, v17
	;; [unrolled: 1-line block ×3, first 2 shown]
	s_lshl_b32 s27, s26, 7
	s_mov_b32 s50, 1
	s_mov_b32 s51, 0
	;; [unrolled: 1-line block ×3, first 2 shown]
.LBB149_72:                             ;   Parent Loop BB149_4 Depth=1
                                        ;     Parent Loop BB149_57 Depth=2
                                        ;       Parent Loop BB149_60 Depth=3
                                        ;         Parent Loop BB149_70 Depth=4
                                        ; =>        This Inner Loop Header: Depth=5
	s_sub_co_i32 s53, s18, s51
	s_sub_co_i32 s54, s28, s50
	s_lshl_b32 s53, s53, 3
	s_lshl_b32 s54, s54, 3
	s_add_co_i32 s53, s27, s53
	s_add_co_i32 s54, s27, s54
	s_delay_alu instid0(SALU_CYCLE_1)
	v_dual_mov_b32 v25, s53 :: v_dual_mov_b32 v26, s54
	s_add_co_i32 s52, s52, -2
	s_add_co_i32 s51, s51, 2
	s_add_co_i32 s50, s50, 2
	ds_load_b64 v[30:31], v25
	ds_load_b64 v[32:33], v26
	ds_load_b128 v[26:29], v19
	s_cmp_lg_u32 s52, 0
	s_wait_dscnt 0x1
	v_dual_mov_b32 v36, v30 :: v_dual_mov_b32 v37, v32
	s_wait_dscnt 0x0
	v_dual_mov_b32 v32, v31 :: v_dual_mov_b32 v34, v26
	v_dual_mov_b32 v35, v28 :: v_dual_mov_b32 v28, v27
	s_delay_alu instid0(VALU_DEP_2) | instskip(SKIP_1) | instid1(VALU_DEP_2)
	v_pk_mul_f32 v[30:31], v[32:33], v[22:23]
	v_pk_mul_f32 v[32:33], v[32:33], v[20:21]
	v_pk_fma_f32 v[26:27], v[36:37], v[20:21], v[30:31] neg_lo:[0,0,1] neg_hi:[0,0,1]
	s_delay_alu instid0(VALU_DEP_2) | instskip(NEXT) | instid1(VALU_DEP_2)
	v_pk_fma_f32 v[30:31], v[36:37], v[22:23], v[32:33]
	v_pk_add_f32 v[32:33], v[34:35], v[26:27] neg_lo:[0,1] neg_hi:[0,1]
	s_delay_alu instid0(VALU_DEP_2) | instskip(NEXT) | instid1(VALU_DEP_1)
	v_pk_add_f32 v[28:29], v[28:29], v[30:31] neg_lo:[0,1] neg_hi:[0,1]
	v_dual_mov_b32 v26, v32 :: v_dual_mov_b32 v27, v28
	s_delay_alu instid0(VALU_DEP_3)
	v_mov_b32_e32 v28, v33
	ds_store_b128 v19, v[26:29]
	v_add_nc_u32_e32 v19, 16, v19
	s_cbranch_scc1 .LBB149_72
; %bb.73:                               ;   in Loop: Header=BB149_70 Depth=4
	s_mov_b32 s27, s45
	s_mov_b32 s50, s44
	s_branch .LBB149_76
.LBB149_74:                             ;   in Loop: Header=BB149_70 Depth=4
	s_wait_loadcnt 0x0
	v_mov_b32_e32 v18, v17
	s_mov_b32 s27, 0
	s_mov_b32 s50, s44
	s_cbranch_execz .LBB149_76
; %bb.75:                               ;   in Loop: Header=BB149_70 Depth=4
	s_mov_b32 s27, -1
	s_mov_b32 s50, 0
.LBB149_76:                             ;   in Loop: Header=BB149_70 Depth=4
	s_and_not1_b32 vcc_lo, exec_lo, s27
	s_cbranch_vccnz .LBB149_69
; %bb.77:                               ;   in Loop: Header=BB149_70 Depth=4
	s_lshl_b32 s51, s50, 3
	s_wait_xcnt 0x0
	v_dual_mov_b32 v19, v17 :: v_dual_mov_b32 v17, v16
	v_add_nc_u32_e32 v20, s51, v1
	s_sub_co_i32 s27, s42, s50
	s_sub_co_i32 s50, s29, s51
.LBB149_78:                             ;   Parent Loop BB149_4 Depth=1
                                        ;     Parent Loop BB149_57 Depth=2
                                        ;       Parent Loop BB149_60 Depth=3
                                        ;         Parent Loop BB149_70 Depth=4
                                        ; =>        This Inner Loop Header: Depth=5
	s_delay_alu instid0(SALU_CYCLE_1)
	v_mov_b32_e32 v21, s50
	s_add_co_i32 s27, s27, -1
	s_add_co_i32 s50, s50, -8
	s_cmp_eq_u32 s27, 0
	ds_load_b64 v[22:23], v21
	ds_load_b64 v[26:27], v20
	s_wait_dscnt 0x1
	v_pk_mul_f32 v[28:29], v[22:23], v[18:19] op_sel:[1,0] op_sel_hi:[0,1]
	s_delay_alu instid0(VALU_DEP_1) | instskip(SKIP_1) | instid1(VALU_DEP_2)
	v_pk_fma_f32 v[30:31], v[22:23], v[16:17], v[28:29]
	v_pk_fma_f32 v[22:23], v[22:23], v[16:17], v[28:29] neg_lo:[0,0,1] neg_hi:[0,0,1]
	v_mov_b32_e32 v23, v31
	s_wait_dscnt 0x0
	s_delay_alu instid0(VALU_DEP_1)
	v_pk_add_f32 v[22:23], v[26:27], v[22:23] neg_lo:[0,1] neg_hi:[0,1]
	ds_store_b64 v20, v[22:23]
	v_add_nc_u32_e32 v20, 8, v20
	s_cbranch_scc0 .LBB149_78
	s_branch .LBB149_69
.LBB149_79:                             ;   in Loop: Header=BB149_60 Depth=3
	s_mov_b32 s18, 0
	s_mov_b32 s50, s48
	s_branch .LBB149_81
.LBB149_80:                             ;   in Loop: Header=BB149_81 Depth=4
	s_mulk_i32 s28, 0x88
	s_add_co_i32 s18, s18, 1
	s_wait_xcnt 0x0
	v_mov_b32_e32 v17, s28
	s_add_co_i32 s50, s50, -8
	s_cmp_eq_u32 s18, s42
	ds_load_b64 v[20:21], v17
	s_wait_dscnt 0x0
	v_pk_mul_f32 v[22:23], v[20:21], v[18:19] op_sel:[1,0] op_sel_hi:[0,0]
	s_delay_alu instid0(VALU_DEP_1) | instskip(SKIP_2) | instid1(VALU_DEP_3)
	v_pk_fma_f32 v[26:27], v[20:21], v[16:17], v[22:23] op_sel_hi:[1,0,1]
	v_pk_fma_f32 v[16:17], v[20:21], v[16:17], v[22:23] neg_lo:[0,0,1] neg_hi:[0,0,1]
	v_lshl_add_u64 v[20:21], s[26:27], 3, v[12:13]
	v_mov_b32_e32 v17, v27
	ds_store_b64 v19, v[16:17]
	global_store_b64 v[20:21], v[16:17], off
	s_cbranch_scc1 .LBB149_59
.LBB149_81:                             ;   Parent Loop BB149_4 Depth=1
                                        ;     Parent Loop BB149_57 Depth=2
                                        ;       Parent Loop BB149_60 Depth=3
                                        ; =>      This Loop Header: Depth=4
                                        ;           Child Loop BB149_83 Depth 5
	v_lshl_add_u32 v19, s18, 3, v1
	s_cmp_lg_u32 s18, 0
	s_cbranch_scc0 .LBB149_85
; %bb.82:                               ;   in Loop: Header=BB149_81 Depth=4
	s_wait_xcnt 0x0
	ds_load_b64 v[16:17], v19
	v_mov_b32_e32 v18, v1
	s_mov_b32 s26, s50
	s_mov_b32 s27, s18
.LBB149_83:                             ;   Parent Loop BB149_4 Depth=1
                                        ;     Parent Loop BB149_57 Depth=2
                                        ;       Parent Loop BB149_60 Depth=3
                                        ;         Parent Loop BB149_81 Depth=4
                                        ; =>        This Inner Loop Header: Depth=5
	v_mov_b32_e32 v22, s26
	s_add_co_i32 s27, s27, -1
	s_addk_co_i32 s26, 0xff80
	s_cmp_eq_u32 s27, 0
	ds_load_b64 v[20:21], v18
	ds_load_b64 v[22:23], v22
	v_add_nc_u32_e32 v18, 8, v18
	s_wait_dscnt 0x0
	v_pk_mul_f32 v[26:27], v[22:23], v[20:21] op_sel:[1,1] op_sel_hi:[0,1]
	s_delay_alu instid0(VALU_DEP_1) | instskip(SKIP_1) | instid1(VALU_DEP_2)
	v_pk_fma_f32 v[28:29], v[22:23], v[20:21], v[26:27] op_sel_hi:[1,0,1]
	v_pk_fma_f32 v[20:21], v[22:23], v[20:21], v[26:27] neg_lo:[0,0,1] neg_hi:[0,0,1]
	v_mov_b32_e32 v21, v29
	s_delay_alu instid0(VALU_DEP_1)
	v_pk_add_f32 v[16:17], v[16:17], v[20:21] neg_lo:[0,1] neg_hi:[0,1]
	ds_store_b64 v19, v[16:17]
	s_cbranch_scc0 .LBB149_83
; %bb.84:                               ;   in Loop: Header=BB149_81 Depth=4
	s_sub_co_i32 s28, s14, s18
	v_mov_b32_e32 v18, v17
	s_ashr_i32 s29, s28, 31
	s_delay_alu instid0(SALU_CYCLE_1)
	s_mov_b64 s[26:27], s[28:29]
	s_branch .LBB149_80
.LBB149_85:                             ;   in Loop: Header=BB149_81 Depth=4
                                        ; implicit-def: $vgpr16
                                        ; implicit-def: $vgpr18
                                        ; implicit-def: $sgpr28
                                        ; implicit-def: $sgpr26_sgpr27
	s_cbranch_execz .LBB149_80
; %bb.86:                               ;   in Loop: Header=BB149_81 Depth=4
	s_wait_xcnt 0x0
	ds_load_b64 v[16:17], v1
	s_mov_b64 s[26:27], s[14:15]
	s_mov_b32 s28, s14
	s_wait_dscnt 0x0
	v_mov_b32_e32 v18, v17
	s_branch .LBB149_80
.LBB149_87:
	s_endpgm
	.section	.rodata,"a",@progbits
	.p2align	6, 0x0
	.amdhsa_kernel _ZL30rocblas_trsm_small_left_deviceILi16ELi16ELb0E19rocblas_complex_numIfES1_PKS1_PS1_Ev13rocblas_fill_18rocblas_operation_17rocblas_diagonal_iiT3_T4_lilT5_lili
		.amdhsa_group_segment_fixed_size 4096
		.amdhsa_private_segment_fixed_size 0
		.amdhsa_kernarg_size 360
		.amdhsa_user_sgpr_count 4
		.amdhsa_user_sgpr_dispatch_ptr 1
		.amdhsa_user_sgpr_queue_ptr 0
		.amdhsa_user_sgpr_kernarg_segment_ptr 1
		.amdhsa_user_sgpr_dispatch_id 0
		.amdhsa_user_sgpr_kernarg_preload_length 0
		.amdhsa_user_sgpr_kernarg_preload_offset 0
		.amdhsa_user_sgpr_private_segment_size 0
		.amdhsa_wavefront_size32 1
		.amdhsa_uses_dynamic_stack 0
		.amdhsa_enable_private_segment 0
		.amdhsa_system_sgpr_workgroup_id_x 1
		.amdhsa_system_sgpr_workgroup_id_y 0
		.amdhsa_system_sgpr_workgroup_id_z 1
		.amdhsa_system_sgpr_workgroup_info 0
		.amdhsa_system_vgpr_workitem_id 2
		.amdhsa_next_free_vgpr 38
		.amdhsa_next_free_sgpr 56
		.amdhsa_named_barrier_count 0
		.amdhsa_reserve_vcc 1
		.amdhsa_float_round_mode_32 0
		.amdhsa_float_round_mode_16_64 0
		.amdhsa_float_denorm_mode_32 3
		.amdhsa_float_denorm_mode_16_64 3
		.amdhsa_fp16_overflow 0
		.amdhsa_memory_ordered 1
		.amdhsa_forward_progress 1
		.amdhsa_inst_pref_size 32
		.amdhsa_round_robin_scheduling 0
		.amdhsa_exception_fp_ieee_invalid_op 0
		.amdhsa_exception_fp_denorm_src 0
		.amdhsa_exception_fp_ieee_div_zero 0
		.amdhsa_exception_fp_ieee_overflow 0
		.amdhsa_exception_fp_ieee_underflow 0
		.amdhsa_exception_fp_ieee_inexact 0
		.amdhsa_exception_int_div_zero 0
	.end_amdhsa_kernel
	.section	.text._ZL30rocblas_trsm_small_left_deviceILi16ELi16ELb0E19rocblas_complex_numIfES1_PKS1_PS1_Ev13rocblas_fill_18rocblas_operation_17rocblas_diagonal_iiT3_T4_lilT5_lili,"axG",@progbits,_ZL30rocblas_trsm_small_left_deviceILi16ELi16ELb0E19rocblas_complex_numIfES1_PKS1_PS1_Ev13rocblas_fill_18rocblas_operation_17rocblas_diagonal_iiT3_T4_lilT5_lili,comdat
.Lfunc_end149:
	.size	_ZL30rocblas_trsm_small_left_deviceILi16ELi16ELb0E19rocblas_complex_numIfES1_PKS1_PS1_Ev13rocblas_fill_18rocblas_operation_17rocblas_diagonal_iiT3_T4_lilT5_lili, .Lfunc_end149-_ZL30rocblas_trsm_small_left_deviceILi16ELi16ELb0E19rocblas_complex_numIfES1_PKS1_PS1_Ev13rocblas_fill_18rocblas_operation_17rocblas_diagonal_iiT3_T4_lilT5_lili
                                        ; -- End function
	.set _ZL30rocblas_trsm_small_left_deviceILi16ELi16ELb0E19rocblas_complex_numIfES1_PKS1_PS1_Ev13rocblas_fill_18rocblas_operation_17rocblas_diagonal_iiT3_T4_lilT5_lili.num_vgpr, 38
	.set _ZL30rocblas_trsm_small_left_deviceILi16ELi16ELb0E19rocblas_complex_numIfES1_PKS1_PS1_Ev13rocblas_fill_18rocblas_operation_17rocblas_diagonal_iiT3_T4_lilT5_lili.num_agpr, 0
	.set _ZL30rocblas_trsm_small_left_deviceILi16ELi16ELb0E19rocblas_complex_numIfES1_PKS1_PS1_Ev13rocblas_fill_18rocblas_operation_17rocblas_diagonal_iiT3_T4_lilT5_lili.numbered_sgpr, 56
	.set _ZL30rocblas_trsm_small_left_deviceILi16ELi16ELb0E19rocblas_complex_numIfES1_PKS1_PS1_Ev13rocblas_fill_18rocblas_operation_17rocblas_diagonal_iiT3_T4_lilT5_lili.num_named_barrier, 0
	.set _ZL30rocblas_trsm_small_left_deviceILi16ELi16ELb0E19rocblas_complex_numIfES1_PKS1_PS1_Ev13rocblas_fill_18rocblas_operation_17rocblas_diagonal_iiT3_T4_lilT5_lili.private_seg_size, 0
	.set _ZL30rocblas_trsm_small_left_deviceILi16ELi16ELb0E19rocblas_complex_numIfES1_PKS1_PS1_Ev13rocblas_fill_18rocblas_operation_17rocblas_diagonal_iiT3_T4_lilT5_lili.uses_vcc, 1
	.set _ZL30rocblas_trsm_small_left_deviceILi16ELi16ELb0E19rocblas_complex_numIfES1_PKS1_PS1_Ev13rocblas_fill_18rocblas_operation_17rocblas_diagonal_iiT3_T4_lilT5_lili.uses_flat_scratch, 0
	.set _ZL30rocblas_trsm_small_left_deviceILi16ELi16ELb0E19rocblas_complex_numIfES1_PKS1_PS1_Ev13rocblas_fill_18rocblas_operation_17rocblas_diagonal_iiT3_T4_lilT5_lili.has_dyn_sized_stack, 0
	.set _ZL30rocblas_trsm_small_left_deviceILi16ELi16ELb0E19rocblas_complex_numIfES1_PKS1_PS1_Ev13rocblas_fill_18rocblas_operation_17rocblas_diagonal_iiT3_T4_lilT5_lili.has_recursion, 0
	.set _ZL30rocblas_trsm_small_left_deviceILi16ELi16ELb0E19rocblas_complex_numIfES1_PKS1_PS1_Ev13rocblas_fill_18rocblas_operation_17rocblas_diagonal_iiT3_T4_lilT5_lili.has_indirect_call, 0
	.section	.AMDGPU.csdata,"",@progbits
; Kernel info:
; codeLenInByte = 4064
; TotalNumSgprs: 58
; NumVgprs: 38
; ScratchSize: 0
; MemoryBound: 0
; FloatMode: 240
; IeeeMode: 1
; LDSByteSize: 4096 bytes/workgroup (compile time only)
; SGPRBlocks: 0
; VGPRBlocks: 2
; NumSGPRsForWavesPerEU: 58
; NumVGPRsForWavesPerEU: 38
; NamedBarCnt: 0
; Occupancy: 16
; WaveLimiterHint : 0
; COMPUTE_PGM_RSRC2:SCRATCH_EN: 0
; COMPUTE_PGM_RSRC2:USER_SGPR: 4
; COMPUTE_PGM_RSRC2:TRAP_HANDLER: 0
; COMPUTE_PGM_RSRC2:TGID_X_EN: 1
; COMPUTE_PGM_RSRC2:TGID_Y_EN: 0
; COMPUTE_PGM_RSRC2:TGID_Z_EN: 1
; COMPUTE_PGM_RSRC2:TIDIG_COMP_CNT: 2
	.section	.text._ZL38rocblas_trsm_small_left_device_sharedBILi16ELi16ELb1E19rocblas_complex_numIfES1_PKS1_PS1_Ev13rocblas_fill_18rocblas_operation_17rocblas_diagonal_iiT3_T4_lilT5_lili,"axG",@progbits,_ZL38rocblas_trsm_small_left_device_sharedBILi16ELi16ELb1E19rocblas_complex_numIfES1_PKS1_PS1_Ev13rocblas_fill_18rocblas_operation_17rocblas_diagonal_iiT3_T4_lilT5_lili,comdat
	.globl	_ZL38rocblas_trsm_small_left_device_sharedBILi16ELi16ELb1E19rocblas_complex_numIfES1_PKS1_PS1_Ev13rocblas_fill_18rocblas_operation_17rocblas_diagonal_iiT3_T4_lilT5_lili ; -- Begin function _ZL38rocblas_trsm_small_left_device_sharedBILi16ELi16ELb1E19rocblas_complex_numIfES1_PKS1_PS1_Ev13rocblas_fill_18rocblas_operation_17rocblas_diagonal_iiT3_T4_lilT5_lili
	.p2align	8
	.type	_ZL38rocblas_trsm_small_left_device_sharedBILi16ELi16ELb1E19rocblas_complex_numIfES1_PKS1_PS1_Ev13rocblas_fill_18rocblas_operation_17rocblas_diagonal_iiT3_T4_lilT5_lili,@function
_ZL38rocblas_trsm_small_left_device_sharedBILi16ELi16ELb1E19rocblas_complex_numIfES1_PKS1_PS1_Ev13rocblas_fill_18rocblas_operation_17rocblas_diagonal_iiT3_T4_lilT5_lili: ; @_ZL38rocblas_trsm_small_left_device_sharedBILi16ELi16ELb1E19rocblas_complex_numIfES1_PKS1_PS1_Ev13rocblas_fill_18rocblas_operation_17rocblas_diagonal_iiT3_T4_lilT5_lili
; %bb.0:
	s_load_b32 s30, s[0:1], 0x60
	s_bfe_u32 s2, ttmp6, 0x40014
	s_lshr_b32 s4, ttmp7, 16
	s_add_co_i32 s2, s2, 1
	s_bfe_u32 s5, ttmp6, 0x40008
	s_mul_i32 s2, s4, s2
	s_getreg_b32 s3, hwreg(HW_REG_IB_STS2, 6, 4)
	s_add_co_i32 s5, s5, s2
	s_cmp_eq_u32 s3, 0
	s_mov_b32 s15, 0
	s_cselect_b32 s2, s4, s5
	s_wait_kmcnt 0x0
	s_cmp_ge_u32 s2, s30
	s_cbranch_scc1 .LBB150_86
; %bb.1:
	s_clause 0x4
	s_load_b32 s20, s[0:1], 0x30
	s_load_b96 s[12:14], s[0:1], 0x48
	s_load_b128 s[8:11], s[0:1], 0x4
	s_load_b32 s4, s[0:1], 0x68
	s_load_b64 s[16:17], s[0:1], 0x14
	v_dual_mov_b32 v1, 0 :: v_dual_lshlrev_b32 v2, 3, v0
	v_mov_b64_e32 v[8:9], 0xbf80000000000000
	v_mov_b64_e32 v[12:13], 0x3f800000
	s_load_b128 s[24:27], s[0:1], 0x20
	s_delay_alu instid0(VALU_DEP_3)
	v_or_b32_e32 v22, 0x800, v2
	v_dual_mov_b32 v3, v1 :: v_dual_lshlrev_b32 v14, 7, v0
	s_wait_kmcnt 0x0
	s_ashr_i32 s21, s20, 31
	s_ashr_i32 s19, s14, 31
	s_cmp_lg_u32 s8, 0x71
	s_mov_b32 s18, s14
	s_cselect_b32 s31, -1, 0
	s_bfe_u32 s5, ttmp6, 0x4000c
	s_min_i32 s33, s10, 16
	s_add_co_i32 s5, s5, 1
	s_and_b32 s6, ttmp6, 15
	s_mul_i32 s5, ttmp9, s5
	s_lshl_b64 s[12:13], s[12:13], 3
	s_add_co_i32 s4, s4, -1
	s_add_co_i32 s34, s33, -1
	s_add_co_i32 s6, s6, s5
	s_cmp_eq_u32 s3, 0
	v_mul_u64_e32 v[6:7], s[18:19], v[0:1]
	s_cselect_b32 s3, ttmp9, s6
	s_delay_alu instid0(SALU_CYCLE_1) | instskip(NEXT) | instid1(SALU_CYCLE_1)
	s_lshl_b32 s22, s3, 4
	s_sub_co_i32 s5, s11, s22
	s_cmp_ge_u32 s3, s4
	s_mov_b32 s11, s17
	s_cselect_b32 s3, s5, 16
	s_ashr_i32 s23, s22, 31
	v_cmp_gt_i32_e32 vcc_lo, s3, v0
	s_mul_u64 s[4:5], s[18:19], s[22:23]
	s_delay_alu instid0(SALU_CYCLE_1)
	s_lshl_b64 s[28:29], s[4:5], 3
	s_load_b128 s[4:7], s[0:1], 0x38
	s_cmp_lg_u32 s9, 0x84
	s_cselect_b32 s35, -1, 0
	s_cmp_gt_i32 s10, 0
	s_cselect_b32 s3, -1, 0
	s_cmp_lg_u32 s8, 0x6f
	s_cselect_b32 s36, -1, 0
	s_and_b32 s37, vcc_lo, s3
	s_cmp_gt_i32 s10, 1
	s_mov_b32 s10, s17
	s_cselect_b32 s38, -1, 0
	s_and_b32 s39, s33, 30
	s_delay_alu instid0(SALU_CYCLE_1)
	s_cmp_lg_u32 s33, s39
	s_cselect_b32 s40, -1, 0
	s_lshl_b64 s[8:9], s[22:23], 3
	s_wait_kmcnt 0x0
	s_add_nc_u64 s[22:23], s[6:7], s[12:13]
	v_or_b32_e32 v10, s8, v2
	s_load_b64 s[6:7], s[0:1], 0x58
	s_wait_xcnt 0x0
	s_lshl_b64 s[0:1], s[26:27], 3
	s_lshl_b32 s41, s33, 3
	s_add_nc_u64 s[0:1], s[24:25], s[0:1]
	v_mad_nc_u64_u32 v[4:5], v10, s14, s[22:23]
	s_mov_b32 s8, s16
	s_mov_b32 s12, s17
	;; [unrolled: 1-line block ×3, first 2 shown]
	s_lshl_b64 s[4:5], s[4:5], 3
	s_lshl_b64 s[20:21], s[20:21], 3
	s_add_co_i32 s41, s41, -8
	s_get_pc_i64 s[24:25]
	s_add_nc_u64 s[24:25], s[24:25], __const._ZL38rocblas_trsm_small_left_device_sharedBILi16ELi16ELb1E19rocblas_complex_numIfES1_PKS1_PS1_Ev13rocblas_fill_18rocblas_operation_17rocblas_diagonal_iiT3_T4_lilT5_lili.step_sizes@rel64+4
	s_delay_alu instid0(VALU_DEP_1) | instskip(SKIP_1) | instid1(VALU_DEP_1)
	v_mad_u32 v5, s9, s14, v5
	s_mov_b32 s9, s16
	v_mad_u32 v5, v10, s19, v5
	v_add_nc_u64_e32 v[10:11], s[0:1], v[2:3]
	v_cmp_gt_i32_e64 s0, s33, v0
	v_add_nc_u32_e32 v3, v2, v14
	s_add_nc_u64 s[18:19], s[22:23], s[28:29]
	s_wait_kmcnt 0x0
	s_lshl_b64 s[22:23], s[6:7], 3
	s_or_b32 s1, 0, 8
	v_add_nc_u64_e32 v[0:1], 4, v[10:11]
	v_add_nc_u64_e32 v[10:11], 4, v[4:5]
	s_branch .LBB150_3
.LBB150_2:                              ;   in Loop: Header=BB150_3 Depth=1
	s_or_b32 exec_lo, exec_lo, s3
	s_add_co_i32 s2, s2, 0x10000
	s_delay_alu instid0(SALU_CYCLE_1)
	s_cmp_lt_u32 s2, s30
	s_cbranch_scc0 .LBB150_86
.LBB150_3:                              ; =>This Loop Header: Depth=1
                                        ;     Child Loop BB150_6 Depth 2
                                        ;     Child Loop BB150_21 Depth 2
                                        ;     Child Loop BB150_25 Depth 2
                                        ;     Child Loop BB150_29 Depth 2
                                        ;       Child Loop BB150_32 Depth 3
                                        ;         Child Loop BB150_33 Depth 4
                                        ;         Child Loop BB150_37 Depth 4
                                        ;           Child Loop BB150_39 Depth 5
                                        ;           Child Loop BB150_45 Depth 5
                                        ;         Child Loop BB150_48 Depth 4
                                        ;           Child Loop BB150_50 Depth 5
                                        ;     Child Loop BB150_58 Depth 2
                                        ;       Child Loop BB150_61 Depth 3
                                        ;         Child Loop BB150_62 Depth 4
                                        ;         Child Loop BB150_66 Depth 4
                                        ;           Child Loop BB150_68 Depth 5
                                        ;           Child Loop BB150_74 Depth 5
                                        ;         Child Loop BB150_77 Depth 4
                                        ;           Child Loop BB150_79 Depth 5
                                        ;     Child Loop BB150_85 Depth 2
	s_mov_b32 s3, s15
	s_and_saveexec_b32 s14, s0
	s_cbranch_execz .LBB150_18
; %bb.4:                                ;   in Loop: Header=BB150_3 Depth=1
	s_delay_alu instid0(VALU_DEP_2) | instskip(SKIP_2) | instid1(VALU_DEP_2)
	v_mad_nc_u64_u32 v[14:15], s4, s2, v[0:1]
	v_mov_b32_e32 v18, v2
	s_mov_b32 s26, s33
	v_mad_u32 v15, s5, s2, v15
	s_branch .LBB150_6
.LBB150_5:                              ;   in Loop: Header=BB150_6 Depth=2
	global_load_b32 v16, v[14:15], off offset:-4
	s_wait_xcnt 0x0
	v_add_nc_u64_e32 v[14:15], s[20:21], v[14:15]
	s_add_co_i32 s26, s26, -1
	s_delay_alu instid0(SALU_CYCLE_1)
	s_cmp_eq_u32 s26, 0
	s_wait_loadcnt 0x0
	ds_store_b64 v18, v[16:17]
	v_add_nc_u32_e32 v18, 0x80, v18
	s_cbranch_scc1 .LBB150_10
.LBB150_6:                              ;   Parent Loop BB150_3 Depth=1
                                        ; =>  This Inner Loop Header: Depth=2
	s_and_b32 vcc_lo, exec_lo, s31
	s_mov_b32 s27, -1
                                        ; implicit-def: $vgpr17
	s_cbranch_vccz .LBB150_8
; %bb.7:                                ;   in Loop: Header=BB150_6 Depth=2
	global_load_b32 v17, v[14:15], off
	s_mov_b32 s27, 0
.LBB150_8:                              ;   in Loop: Header=BB150_6 Depth=2
	s_delay_alu instid0(SALU_CYCLE_1)
	s_and_not1_b32 vcc_lo, exec_lo, s27
	s_cbranch_vccnz .LBB150_5
; %bb.9:                                ;   in Loop: Header=BB150_6 Depth=2
	global_load_b32 v16, v[14:15], off
	s_wait_loadcnt 0x0
	v_xor_b32_e32 v17, 0x80000000, v16
	s_branch .LBB150_5
.LBB150_10:                             ;   in Loop: Header=BB150_3 Depth=1
	s_and_b32 vcc_lo, exec_lo, s35
	s_mov_b32 s26, -1
	s_cbranch_vccz .LBB150_16
; %bb.11:                               ;   in Loop: Header=BB150_3 Depth=1
	ds_load_b64 v[14:15], v3
                                        ; implicit-def: $vgpr16_vgpr17
	s_wait_dscnt 0x0
	v_cmp_ngt_f32_e64 s26, |v14|, |v15|
	s_and_saveexec_b32 s27, s26
	s_delay_alu instid0(SALU_CYCLE_1)
	s_xor_b32 s26, exec_lo, s27
	s_cbranch_execz .LBB150_13
; %bb.12:                               ;   in Loop: Header=BB150_3 Depth=1
	v_div_scale_f32 v16, null, v15, v15, v14
	v_div_scale_f32 v19, vcc_lo, v14, v15, v14
	s_delay_alu instid0(VALU_DEP_2) | instskip(SKIP_1) | instid1(TRANS32_DEP_1)
	v_rcp_f32_e32 v17, v16
	v_nop
	v_fma_f32 v18, -v16, v17, 1.0
	s_delay_alu instid0(VALU_DEP_1) | instskip(NEXT) | instid1(VALU_DEP_1)
	v_fmac_f32_e32 v17, v18, v17
	v_mul_f32_e32 v18, v19, v17
	s_delay_alu instid0(VALU_DEP_1) | instskip(NEXT) | instid1(VALU_DEP_1)
	v_fma_f32 v20, -v16, v18, v19
	v_fmac_f32_e32 v18, v20, v17
	s_delay_alu instid0(VALU_DEP_1) | instskip(NEXT) | instid1(VALU_DEP_1)
	v_fma_f32 v16, -v16, v18, v19
	v_div_fmas_f32 v16, v16, v17, v18
	s_delay_alu instid0(VALU_DEP_1) | instskip(NEXT) | instid1(VALU_DEP_1)
	v_div_fixup_f32 v16, v16, v15, v14
	v_fmac_f32_e32 v15, v14, v16
	s_delay_alu instid0(VALU_DEP_1) | instskip(SKIP_1) | instid1(VALU_DEP_2)
	v_div_scale_f32 v14, null, v15, v15, 1.0
	v_div_scale_f32 v19, vcc_lo, 1.0, v15, 1.0
	v_rcp_f32_e32 v17, v14
	v_nop
	s_delay_alu instid0(TRANS32_DEP_1) | instskip(NEXT) | instid1(VALU_DEP_1)
	v_fma_f32 v18, -v14, v17, 1.0
	v_fmac_f32_e32 v17, v18, v17
	s_delay_alu instid0(VALU_DEP_1) | instskip(NEXT) | instid1(VALU_DEP_1)
	v_mul_f32_e32 v18, v19, v17
	v_fma_f32 v20, -v14, v18, v19
	s_delay_alu instid0(VALU_DEP_1) | instskip(NEXT) | instid1(VALU_DEP_1)
	v_fmac_f32_e32 v18, v20, v17
	v_fma_f32 v14, -v14, v18, v19
	s_delay_alu instid0(VALU_DEP_1) | instskip(SKIP_1) | instid1(VALU_DEP_2)
	v_div_fmas_f32 v14, v14, v17, v18
	v_mul_f32_e32 v17, 0, v16
	v_div_fixup_f32 v14, v14, v15, 1.0
	s_delay_alu instid0(VALU_DEP_2) | instskip(NEXT) | instid1(VALU_DEP_1)
	v_pk_add_f32 v[16:17], v[16:17], v[8:9]
	v_pk_mul_f32 v[16:17], v[16:17], v[14:15] op_sel_hi:[1,0]
                                        ; implicit-def: $vgpr14_vgpr15
.LBB150_13:                             ;   in Loop: Header=BB150_3 Depth=1
	s_and_not1_saveexec_b32 s26, s26
	s_cbranch_execz .LBB150_15
; %bb.14:                               ;   in Loop: Header=BB150_3 Depth=1
	v_div_scale_f32 v16, null, v14, v14, v15
	v_div_scale_f32 v19, vcc_lo, v15, v14, v15
	s_delay_alu instid0(VALU_DEP_2) | instskip(SKIP_1) | instid1(TRANS32_DEP_1)
	v_rcp_f32_e32 v17, v16
	v_nop
	v_fma_f32 v18, -v16, v17, 1.0
	s_delay_alu instid0(VALU_DEP_1) | instskip(NEXT) | instid1(VALU_DEP_1)
	v_fmac_f32_e32 v17, v18, v17
	v_mul_f32_e32 v18, v19, v17
	s_delay_alu instid0(VALU_DEP_1) | instskip(NEXT) | instid1(VALU_DEP_1)
	v_fma_f32 v20, -v16, v18, v19
	v_fmac_f32_e32 v18, v20, v17
	s_delay_alu instid0(VALU_DEP_1) | instskip(NEXT) | instid1(VALU_DEP_1)
	v_fma_f32 v16, -v16, v18, v19
	v_div_fmas_f32 v16, v16, v17, v18
	s_delay_alu instid0(VALU_DEP_1) | instskip(NEXT) | instid1(VALU_DEP_1)
	v_div_fixup_f32 v17, v16, v14, v15
	v_fmac_f32_e32 v14, v15, v17
	s_delay_alu instid0(VALU_DEP_1) | instskip(SKIP_1) | instid1(VALU_DEP_2)
	v_div_scale_f32 v15, null, v14, v14, 1.0
	v_div_scale_f32 v19, vcc_lo, 1.0, v14, 1.0
	v_rcp_f32_e32 v16, v15
	v_nop
	s_delay_alu instid0(TRANS32_DEP_1) | instskip(NEXT) | instid1(VALU_DEP_1)
	v_fma_f32 v18, -v15, v16, 1.0
	v_fmac_f32_e32 v16, v18, v16
	s_delay_alu instid0(VALU_DEP_1) | instskip(NEXT) | instid1(VALU_DEP_1)
	v_mul_f32_e32 v18, v19, v16
	v_fma_f32 v20, -v15, v18, v19
	s_delay_alu instid0(VALU_DEP_1) | instskip(NEXT) | instid1(VALU_DEP_1)
	v_fmac_f32_e32 v18, v20, v16
	v_dual_fma_f32 v15, -v15, v18, v19 :: v_dual_mul_f32 v19, 0, v17
	v_sub_f32_e32 v17, 0, v17
	s_delay_alu instid0(VALU_DEP_2) | instskip(NEXT) | instid1(VALU_DEP_3)
	v_div_fmas_f32 v15, v15, v16, v18
	v_add_f32_e32 v16, 1.0, v19
	s_delay_alu instid0(VALU_DEP_2) | instskip(NEXT) | instid1(VALU_DEP_1)
	v_div_fixup_f32 v14, v15, v14, 1.0
	v_pk_mul_f32 v[16:17], v[16:17], v[14:15] op_sel_hi:[1,0]
.LBB150_15:                             ;   in Loop: Header=BB150_3 Depth=1
	s_or_b32 exec_lo, exec_lo, s26
	s_mov_b32 s26, 0
	ds_store_b64 v3, v[16:17]
.LBB150_16:                             ;   in Loop: Header=BB150_3 Depth=1
	s_and_b32 vcc_lo, exec_lo, s26
	s_cbranch_vccz .LBB150_18
; %bb.17:                               ;   in Loop: Header=BB150_3 Depth=1
	ds_store_b64 v3, v[12:13]
.LBB150_18:                             ;   in Loop: Header=BB150_3 Depth=1
	s_or_b32 exec_lo, exec_lo, s14
	s_mul_u64 s[26:27], s[22:23], s[2:3]
	s_and_saveexec_b32 s42, s37
	s_cbranch_execz .LBB150_26
; %bb.19:                               ;   in Loop: Header=BB150_3 Depth=1
	s_and_not1_b32 vcc_lo, exec_lo, s38
	s_cbranch_vccnz .LBB150_23
; %bb.20:                               ;   in Loop: Header=BB150_3 Depth=1
	s_mul_u64 s[28:29], s[6:7], s[2:3]
	s_mov_b32 s14, 0
	s_lshl_b64 s[28:29], s[28:29], 3
	s_mov_b32 s3, s39
	s_add_nc_u64 s[28:29], s[18:19], s[28:29]
	s_delay_alu instid0(SALU_CYCLE_1)
	v_lshl_add_u64 v[14:15], v[6:7], 3, s[28:29]
	s_mov_b32 s28, 1
.LBB150_21:                             ;   Parent Loop BB150_3 Depth=1
                                        ; =>  This Inner Loop Header: Depth=2
	s_mov_b32 s29, s15
	s_delay_alu instid0(VALU_DEP_1)
	v_lshl_add_u64 v[16:17], s[14:15], 3, v[14:15]
	v_lshl_add_u64 v[18:19], s[28:29], 3, v[14:15]
	v_lshl_add_u32 v23, s14, 7, v22
	v_lshl_add_u32 v28, s28, 7, v22
	s_add_co_i32 s3, s3, -2
	s_clause 0x1
	global_load_b64 v[20:21], v[16:17], off
	global_load_b64 v[24:25], v[18:19], off
	s_wait_xcnt 0x1
	v_mov_b64_e32 v[16:17], s[10:11]
	s_wait_xcnt 0x0
	v_mov_b64_e32 v[18:19], s[8:9]
	s_add_co_i32 s14, s14, 2
	s_add_co_i32 s28, s28, 2
	s_mov_b32 s29, s39
	s_mov_b32 s43, s40
	s_cmp_lg_u32 s3, 0
	s_wait_loadcnt 0x0
	v_dual_mov_b32 v26, v20 :: v_dual_mov_b32 v27, v24
	v_mov_b32_e32 v24, v21
	s_delay_alu instid0(VALU_DEP_1) | instskip(SKIP_1) | instid1(VALU_DEP_2)
	v_pk_mul_f32 v[20:21], v[16:17], v[24:25]
	v_pk_mul_f32 v[24:25], v[18:19], v[24:25]
	v_pk_fma_f32 v[18:19], v[18:19], v[26:27], v[20:21] neg_lo:[0,0,1] neg_hi:[0,0,1]
	s_delay_alu instid0(VALU_DEP_2)
	v_pk_fma_f32 v[16:17], v[16:17], v[26:27], v[24:25]
	ds_store_b32 v23, v18
	ds_store_b32 v28, v19
	ds_store_b32 v23, v16 offset:4
	ds_store_b32 v28, v17 offset:4
	s_cbranch_scc1 .LBB150_21
; %bb.22:                               ;   in Loop: Header=BB150_3 Depth=1
	s_and_b32 vcc_lo, exec_lo, s43
	s_cbranch_vccnz .LBB150_24
	s_branch .LBB150_26
.LBB150_23:                             ;   in Loop: Header=BB150_3 Depth=1
	s_mov_b32 s29, 0
	s_cbranch_execz .LBB150_26
.LBB150_24:                             ;   in Loop: Header=BB150_3 Depth=1
	s_lshl_b32 s14, s29, 3
	v_lshl_add_u32 v16, s29, 7, v22
	s_add_nc_u64 s[44:45], s[26:27], s[14:15]
	s_sub_co_i32 s3, s33, s29
	v_add_nc_u64_e32 v[14:15], s[44:45], v[10:11]
.LBB150_25:                             ;   Parent Loop BB150_3 Depth=1
                                        ; =>  This Inner Loop Header: Depth=2
	global_load_b64 v[18:19], v[14:15], off offset:-4
	v_mov_b64_e32 v[20:21], s[12:13]
	v_mov_b64_e32 v[24:25], s[16:17]
	s_wait_xcnt 0x0
	v_add_nc_u64_e32 v[14:15], 8, v[14:15]
	s_add_co_i32 s3, s3, -1
	s_delay_alu instid0(SALU_CYCLE_1) | instskip(SKIP_2) | instid1(VALU_DEP_1)
	s_cmp_lg_u32 s3, 0
	s_wait_loadcnt 0x0
	v_pk_mul_f32 v[20:21], v[20:21], v[18:19] op_sel:[0,1]
	v_pk_fma_f32 v[26:27], v[24:25], v[18:19], v[20:21] op_sel_hi:[1,0,1]
	v_pk_fma_f32 v[18:19], v[24:25], v[18:19], v[20:21] neg_lo:[0,0,1] neg_hi:[0,0,1]
	s_delay_alu instid0(VALU_DEP_2)
	v_mov_b32_e32 v19, v27
	ds_store_b64 v16, v[18:19]
	v_add_nc_u32_e32 v16, 0x80, v16
	s_cbranch_scc1 .LBB150_25
.LBB150_26:                             ;   in Loop: Header=BB150_3 Depth=1
	s_or_b32 exec_lo, exec_lo, s42
	s_delay_alu instid0(SALU_CYCLE_1)
	s_and_not1_b32 vcc_lo, exec_lo, s36
	s_mov_b32 s3, -1
	s_wait_dscnt 0x0
	; wave barrier
	s_cbranch_vccnz .LBB150_55
; %bb.27:                               ;   in Loop: Header=BB150_3 Depth=1
	s_mov_b32 s14, 0
	s_mov_b32 s3, s34
	s_branch .LBB150_29
.LBB150_28:                             ;   in Loop: Header=BB150_29 Depth=2
	s_cmp_gt_i32 s3, -1
	s_cselect_b32 s28, -1, 0
	s_add_co_i32 s29, s14, 1
	s_cmp_lt_u32 s14, 2
	s_wait_xcnt 0x0
	s_cselect_b32 s14, -1, 0
	s_delay_alu instid0(SALU_CYCLE_1) | instskip(NEXT) | instid1(SALU_CYCLE_1)
	s_and_b32 s14, s28, s14
	s_and_b32 vcc_lo, exec_lo, s14
	s_mov_b32 s14, s29
	s_cbranch_vccz .LBB150_54
.LBB150_29:                             ;   Parent Loop BB150_3 Depth=1
                                        ; =>  This Loop Header: Depth=2
                                        ;       Child Loop BB150_32 Depth 3
                                        ;         Child Loop BB150_33 Depth 4
                                        ;         Child Loop BB150_37 Depth 4
                                        ;           Child Loop BB150_39 Depth 5
                                        ;           Child Loop BB150_45 Depth 5
                                        ;         Child Loop BB150_48 Depth 4
                                        ;           Child Loop BB150_50 Depth 5
	s_load_b32 s28, s[24:25], s14 offset:0x0 scale_offset
	s_wait_kmcnt 0x0
	s_add_co_i32 s29, s28, -1
	s_delay_alu instid0(SALU_CYCLE_1)
	s_cmp_lt_i32 s3, s29
	s_cbranch_scc1 .LBB150_28
; %bb.30:                               ;   in Loop: Header=BB150_29 Depth=2
	s_max_i32 s42, s28, 1
	s_cmp_lg_u32 s14, 2
	s_mul_i32 s48, s3, 0x88
	s_cselect_b32 s43, -1, 0
	s_and_b32 s44, s42, 0x7ffffffe
	s_mul_i32 s49, s28, 0xffffff78
	s_cmp_lg_u32 s42, s44
	s_cselect_b32 s45, -1, 0
	s_lshl_b32 s47, s3, 7
	s_lshl_b32 s46, s28, 7
	v_add_nc_u32_e32 v23, s47, v22
	s_sub_co_i32 s46, 0, s46
	s_add_co_i32 s47, s41, s47
	s_branch .LBB150_32
.LBB150_31:                             ;   in Loop: Header=BB150_32 Depth=3
	v_add_nc_u32_e32 v23, s46, v23
	s_sub_co_i32 s3, s3, s28
	s_add_co_i32 s47, s47, s46
	s_add_co_i32 s48, s48, s49
	s_cmp_lt_i32 s3, s29
	s_cbranch_scc1 .LBB150_28
.LBB150_32:                             ;   Parent Loop BB150_3 Depth=1
                                        ;     Parent Loop BB150_29 Depth=2
                                        ; =>    This Loop Header: Depth=3
                                        ;         Child Loop BB150_33 Depth 4
                                        ;         Child Loop BB150_37 Depth 4
                                        ;           Child Loop BB150_39 Depth 5
                                        ;           Child Loop BB150_45 Depth 5
                                        ;         Child Loop BB150_48 Depth 4
                                        ;           Child Loop BB150_50 Depth 5
	s_wait_xcnt 0x0
	v_mov_b32_e32 v14, v23
	s_mov_b32 s50, 0
	s_mov_b32 s51, s42
.LBB150_33:                             ;   Parent Loop BB150_3 Depth=1
                                        ;     Parent Loop BB150_29 Depth=2
                                        ;       Parent Loop BB150_32 Depth=3
                                        ; =>      This Inner Loop Header: Depth=4
	ds_load_b64 v[16:17], v14
	v_add_nc_u32_e32 v14, 0xffffff80, v14
	s_add_co_i32 s51, s51, -1
	s_wait_dscnt 0x0
	scratch_store_b64 off, v[16:17], s50
	s_wait_xcnt 0x0
	s_add_co_i32 s50, s50, 8
	s_cmp_eq_u32 s51, 0
	s_cbranch_scc0 .LBB150_33
; %bb.34:                               ;   in Loop: Header=BB150_32 Depth=3
	s_cmp_le_i32 s34, s3
	s_cbranch_scc1 .LBB150_46
; %bb.35:                               ;   in Loop: Header=BB150_32 Depth=3
	s_mov_b32 s50, s3
	s_mov_b32 s51, s47
	;; [unrolled: 1-line block ×3, first 2 shown]
	s_branch .LBB150_37
.LBB150_36:                             ;   in Loop: Header=BB150_37 Depth=4
	s_add_co_i32 s52, s52, -1
	s_add_co_i32 s51, s51, -8
	s_cmp_le_i32 s52, s3
	s_cbranch_scc1 .LBB150_46
.LBB150_37:                             ;   Parent Loop BB150_3 Depth=1
                                        ;     Parent Loop BB150_29 Depth=2
                                        ;       Parent Loop BB150_32 Depth=3
                                        ; =>      This Loop Header: Depth=4
                                        ;           Child Loop BB150_39 Depth 5
                                        ;           Child Loop BB150_45 Depth 5
	v_lshl_add_u32 v14, s52, 7, v22
	s_and_b32 vcc_lo, exec_lo, s43
	ds_load_b64 v[14:15], v14
	s_cbranch_vccz .LBB150_41
; %bb.38:                               ;   in Loop: Header=BB150_37 Depth=4
	s_wait_dscnt 0x0
	v_dual_mov_b32 v18, v14 :: v_dual_mov_b32 v19, v14
	v_dual_mov_b32 v16, v15 :: v_dual_mov_b32 v20, v15
	v_mov_b32_e32 v21, v15
	s_lshl_b32 s53, s52, 3
	s_mov_b32 s54, 1
	s_mov_b32 s55, 0
	;; [unrolled: 1-line block ×4, first 2 shown]
.LBB150_39:                             ;   Parent Loop BB150_3 Depth=1
                                        ;     Parent Loop BB150_29 Depth=2
                                        ;       Parent Loop BB150_32 Depth=3
                                        ;         Parent Loop BB150_37 Depth=4
                                        ; =>        This Inner Loop Header: Depth=5
	scratch_load_b128 v[24:27], off, s57 offset:-8
	s_sub_co_i32 s58, s50, s54
	s_sub_co_i32 s59, s3, s55
	s_lshl_b32 s58, s58, 7
	s_lshl_b32 s59, s59, 7
	s_add_co_i32 s58, s53, s58
	s_add_co_i32 s59, s53, s59
	s_delay_alu instid0(SALU_CYCLE_1)
	v_dual_mov_b32 v17, s58 :: v_dual_mov_b32 v30, s59
	s_add_co_i32 s56, s56, -2
	s_add_co_i32 s55, s55, 2
	ds_load_b64 v[28:29], v17
	ds_load_b64 v[30:31], v30
	s_add_co_i32 s54, s54, 2
	s_wait_dscnt 0x0
	v_dual_mov_b32 v33, v28 :: v_dual_mov_b32 v28, v31
	v_mov_b32_e32 v32, v30
	s_delay_alu instid0(VALU_DEP_2) | instskip(SKIP_1) | instid1(VALU_DEP_2)
	v_pk_mul_f32 v[30:31], v[28:29], v[20:21]
	v_pk_mul_f32 v[28:29], v[28:29], v[18:19]
	v_pk_fma_f32 v[30:31], v[32:33], v[18:19], v[30:31] neg_lo:[0,0,1] neg_hi:[0,0,1]
	s_delay_alu instid0(VALU_DEP_2) | instskip(SKIP_3) | instid1(VALU_DEP_2)
	v_pk_fma_f32 v[28:29], v[32:33], v[20:21], v[28:29]
	s_wait_loadcnt 0x0
	v_dual_mov_b32 v32, v24 :: v_dual_mov_b32 v33, v26
	v_mov_b32_e32 v26, v25
	v_pk_add_f32 v[30:31], v[32:33], v[30:31] neg_lo:[0,1] neg_hi:[0,1]
	s_delay_alu instid0(VALU_DEP_2) | instskip(NEXT) | instid1(VALU_DEP_1)
	v_pk_add_f32 v[26:27], v[26:27], v[28:29] neg_lo:[0,1] neg_hi:[0,1]
	v_dual_mov_b32 v24, v30 :: v_dual_mov_b32 v25, v26
	s_delay_alu instid0(VALU_DEP_3)
	v_mov_b32_e32 v26, v31
	scratch_store_b128 off, v[24:27], s57 offset:-8
	s_wait_xcnt 0x0
	s_add_co_i32 s57, s57, 16
	s_cmp_lg_u32 s56, 0
	s_cbranch_scc1 .LBB150_39
; %bb.40:                               ;   in Loop: Header=BB150_37 Depth=4
	s_mov_b32 s53, s45
	s_mov_b32 s54, s44
	s_branch .LBB150_43
.LBB150_41:                             ;   in Loop: Header=BB150_37 Depth=4
	s_wait_dscnt 0x0
	v_mov_b32_e32 v16, v15
	s_mov_b32 s53, 0
	s_mov_b32 s54, s44
	s_cbranch_execz .LBB150_43
; %bb.42:                               ;   in Loop: Header=BB150_37 Depth=4
	s_mov_b32 s53, -1
	s_mov_b32 s54, 0
.LBB150_43:                             ;   in Loop: Header=BB150_37 Depth=4
	s_and_not1_b32 vcc_lo, exec_lo, s53
	s_cbranch_vccnz .LBB150_36
; %bb.44:                               ;   in Loop: Header=BB150_37 Depth=4
	v_dual_mov_b32 v17, v15 :: v_dual_mov_b32 v15, v14
	s_lshl_b32 s55, s54, 7
	s_lshl_b32 s56, s54, 3
	s_sub_co_i32 s53, s42, s54
	s_sub_co_i32 s54, s51, s55
	s_mov_b32 s55, s56
.LBB150_45:                             ;   Parent Loop BB150_3 Depth=1
                                        ;     Parent Loop BB150_29 Depth=2
                                        ;       Parent Loop BB150_32 Depth=3
                                        ;         Parent Loop BB150_37 Depth=4
                                        ; =>        This Inner Loop Header: Depth=5
	scratch_load_b64 v[18:19], off, s55
	v_mov_b32_e32 v20, s54
	s_add_co_i32 s53, s53, -1
	s_addk_co_i32 s54, 0xff80
	ds_load_b64 v[20:21], v20
	s_wait_dscnt 0x0
	v_pk_mul_f32 v[24:25], v[20:21], v[16:17] op_sel:[1,0] op_sel_hi:[0,1]
	s_delay_alu instid0(VALU_DEP_1) | instskip(SKIP_1) | instid1(VALU_DEP_2)
	v_pk_fma_f32 v[26:27], v[20:21], v[14:15], v[24:25]
	v_pk_fma_f32 v[20:21], v[20:21], v[14:15], v[24:25] neg_lo:[0,0,1] neg_hi:[0,0,1]
	v_mov_b32_e32 v21, v27
	s_wait_loadcnt 0x0
	s_delay_alu instid0(VALU_DEP_1)
	v_pk_add_f32 v[18:19], v[18:19], v[20:21] neg_lo:[0,1] neg_hi:[0,1]
	scratch_store_b64 off, v[18:19], s55
	s_wait_xcnt 0x0
	s_add_co_i32 s55, s55, 8
	s_cmp_eq_u32 s53, 0
	s_cbranch_scc0 .LBB150_45
	s_branch .LBB150_36
.LBB150_46:                             ;   in Loop: Header=BB150_32 Depth=3
	s_lshl_b32 s50, s3, 7
	s_mov_b32 s51, 0
	s_mov_b32 s52, s48
	s_branch .LBB150_48
.LBB150_47:                             ;   in Loop: Header=BB150_48 Depth=4
	s_wait_xcnt 0x0
	s_mulk_i32 s54, 0x88
	s_addk_co_i32 s52, 0xff80
	v_mov_b32_e32 v15, s54
	s_lshl_b32 s54, s51, 3
	s_add_co_i32 s51, s51, 1
	s_delay_alu instid0(SALU_CYCLE_1) | instskip(SKIP_3) | instid1(VALU_DEP_1)
	s_cmp_eq_u32 s51, s42
	ds_load_b64 v[18:19], v15
	s_wait_dscnt 0x0
	v_pk_mul_f32 v[16:17], v[18:19], v[16:17] op_sel:[1,0] op_sel_hi:[0,0]
	v_pk_fma_f32 v[20:21], v[18:19], v[14:15], v[16:17] op_sel_hi:[1,0,1]
	v_add_nc_u32_e32 v20, s53, v22
	v_pk_fma_f32 v[14:15], v[18:19], v[14:15], v[16:17] neg_lo:[0,0,1] neg_hi:[0,0,1]
	s_delay_alu instid0(VALU_DEP_3)
	v_mov_b32_e32 v15, v21
	scratch_store_b64 off, v[14:15], s54
	ds_store_b64 v20, v[14:15]
	s_cbranch_scc1 .LBB150_31
.LBB150_48:                             ;   Parent Loop BB150_3 Depth=1
                                        ;     Parent Loop BB150_29 Depth=2
                                        ;       Parent Loop BB150_32 Depth=3
                                        ; =>      This Loop Header: Depth=4
                                        ;           Child Loop BB150_50 Depth 5
	s_cmp_lg_u32 s51, 0
	s_cbranch_scc0 .LBB150_52
; %bb.49:                               ;   in Loop: Header=BB150_48 Depth=4
	s_lshl_b32 s53, s51, 3
	s_wait_xcnt 0x0
	s_mov_b32 s54, 0
	scratch_load_b64 v[14:15], off, s53
	s_mov_b32 s55, s52
	s_mov_b32 s56, s51
.LBB150_50:                             ;   Parent Loop BB150_3 Depth=1
                                        ;     Parent Loop BB150_29 Depth=2
                                        ;       Parent Loop BB150_32 Depth=3
                                        ;         Parent Loop BB150_48 Depth=4
                                        ; =>        This Inner Loop Header: Depth=5
	scratch_load_b64 v[16:17], off, s54
	v_mov_b32_e32 v18, s55
	s_add_co_i32 s56, s56, -1
	s_add_co_i32 s55, s55, -8
	s_wait_xcnt 0x0
	s_add_co_i32 s54, s54, 8
	s_cmp_eq_u32 s56, 0
	ds_load_b64 v[18:19], v18
	s_wait_loadcnt_dscnt 0x0
	v_pk_mul_f32 v[20:21], v[18:19], v[16:17] op_sel:[1,1] op_sel_hi:[0,1]
	s_delay_alu instid0(VALU_DEP_1) | instskip(SKIP_1) | instid1(VALU_DEP_2)
	v_pk_fma_f32 v[24:25], v[18:19], v[16:17], v[20:21] op_sel_hi:[1,0,1]
	v_pk_fma_f32 v[16:17], v[18:19], v[16:17], v[20:21] neg_lo:[0,0,1] neg_hi:[0,0,1]
	v_mov_b32_e32 v17, v25
	s_delay_alu instid0(VALU_DEP_1)
	v_pk_add_f32 v[14:15], v[14:15], v[16:17] neg_lo:[0,1] neg_hi:[0,1]
	scratch_store_b64 off, v[14:15], s53
	s_cbranch_scc0 .LBB150_50
; %bb.51:                               ;   in Loop: Header=BB150_48 Depth=4
	v_mov_b32_e32 v16, v15
	s_sub_co_i32 s54, s3, s51
	s_wait_xcnt 0x0
	s_lshl_b32 s53, s54, 7
	s_branch .LBB150_47
.LBB150_52:                             ;   in Loop: Header=BB150_48 Depth=4
                                        ; implicit-def: $vgpr14
                                        ; implicit-def: $vgpr16
                                        ; implicit-def: $sgpr54
                                        ; implicit-def: $sgpr53
	s_cbranch_execz .LBB150_47
; %bb.53:                               ;   in Loop: Header=BB150_48 Depth=4
	scratch_load_b64 v[14:15], off, off
	s_mov_b32 s53, s50
	s_mov_b32 s54, s3
	s_wait_loadcnt 0x0
	v_mov_b32_e32 v16, v15
	s_branch .LBB150_47
.LBB150_54:                             ;   in Loop: Header=BB150_3 Depth=1
	s_mov_b32 s3, 0
.LBB150_55:                             ;   in Loop: Header=BB150_3 Depth=1
	s_delay_alu instid0(SALU_CYCLE_1)
	s_and_b32 vcc_lo, exec_lo, s3
	s_cbranch_vccz .LBB150_83
; %bb.56:                               ;   in Loop: Header=BB150_3 Depth=1
	s_mov_b32 s14, 0
	s_mov_b32 s3, 0
	s_branch .LBB150_58
.LBB150_57:                             ;   in Loop: Header=BB150_58 Depth=2
	s_cmp_lt_i32 s3, s33
	s_cselect_b32 s28, -1, 0
	s_add_co_i32 s29, s14, 1
	s_cmp_lt_u32 s14, 2
	s_cselect_b32 s14, -1, 0
	s_delay_alu instid0(SALU_CYCLE_1) | instskip(NEXT) | instid1(SALU_CYCLE_1)
	s_and_b32 s14, s28, s14
	s_and_not1_b32 vcc_lo, exec_lo, s14
	s_mov_b32 s14, s29
	s_cbranch_vccnz .LBB150_83
.LBB150_58:                             ;   Parent Loop BB150_3 Depth=1
                                        ; =>  This Loop Header: Depth=2
                                        ;       Child Loop BB150_61 Depth 3
                                        ;         Child Loop BB150_62 Depth 4
                                        ;         Child Loop BB150_66 Depth 4
                                        ;           Child Loop BB150_68 Depth 5
                                        ;           Child Loop BB150_74 Depth 5
                                        ;         Child Loop BB150_77 Depth 4
                                        ;           Child Loop BB150_79 Depth 5
	s_load_b32 s28, s[24:25], s14 offset:0x0 scale_offset
	s_wait_kmcnt 0x0
	s_add_co_i32 s29, s28, -1
	s_delay_alu instid0(SALU_CYCLE_1) | instskip(NEXT) | instid1(SALU_CYCLE_1)
	s_add_co_i32 s42, s29, s3
	s_cmp_ge_i32 s42, s33
	s_cbranch_scc1 .LBB150_57
; %bb.59:                               ;   in Loop: Header=BB150_58 Depth=2
	s_max_i32 s42, s28, 1
	s_cmp_lg_u32 s14, 2
	v_lshl_add_u32 v23, s3, 7, v22
	s_cselect_b32 s43, -1, 0
	s_and_b32 s44, s42, 0x7ffffffe
	s_mul_i32 s49, s3, 0x88
	s_cmp_lg_u32 s42, s44
	s_mul_i32 s50, s28, 0x88
	s_cselect_b32 s45, -1, 0
	s_lshl_b32 s46, s28, 7
	s_lshl_b32 s47, s3, 3
	;; [unrolled: 1-line block ×3, first 2 shown]
	s_branch .LBB150_61
.LBB150_60:                             ;   in Loop: Header=BB150_61 Depth=3
	s_add_co_i32 s3, s3, s28
	v_add_nc_u32_e32 v23, s46, v23
	s_add_co_i32 s51, s29, s3
	s_add_co_i32 s47, s47, s48
	;; [unrolled: 1-line block ×3, first 2 shown]
	s_cmp_ge_i32 s51, s33
	s_cbranch_scc1 .LBB150_57
.LBB150_61:                             ;   Parent Loop BB150_3 Depth=1
                                        ;     Parent Loop BB150_58 Depth=2
                                        ; =>    This Loop Header: Depth=3
                                        ;         Child Loop BB150_62 Depth 4
                                        ;         Child Loop BB150_66 Depth 4
                                        ;           Child Loop BB150_68 Depth 5
                                        ;           Child Loop BB150_74 Depth 5
                                        ;         Child Loop BB150_77 Depth 4
                                        ;           Child Loop BB150_79 Depth 5
	s_wait_xcnt 0x0
	v_mov_b32_e32 v14, v23
	s_mov_b32 s51, 0
	s_mov_b32 s52, s42
.LBB150_62:                             ;   Parent Loop BB150_3 Depth=1
                                        ;     Parent Loop BB150_58 Depth=2
                                        ;       Parent Loop BB150_61 Depth=3
                                        ; =>      This Inner Loop Header: Depth=4
	ds_load_b64 v[16:17], v14
	v_add_nc_u32_e32 v14, 0x80, v14
	s_add_co_i32 s52, s52, -1
	s_wait_dscnt 0x0
	scratch_store_b64 off, v[16:17], s51
	s_wait_xcnt 0x0
	s_add_co_i32 s51, s51, 8
	s_cmp_eq_u32 s52, 0
	s_cbranch_scc0 .LBB150_62
; %bb.63:                               ;   in Loop: Header=BB150_61 Depth=3
	s_cmp_lt_i32 s3, 1
	s_cbranch_scc1 .LBB150_75
; %bb.64:                               ;   in Loop: Header=BB150_61 Depth=3
	s_mov_b32 s51, 0
	s_mov_b32 s52, s47
	s_branch .LBB150_66
.LBB150_65:                             ;   in Loop: Header=BB150_66 Depth=4
	s_add_co_i32 s51, s51, 1
	s_addk_co_i32 s52, 0x80
	s_cmp_eq_u32 s51, s3
	s_cbranch_scc1 .LBB150_75
.LBB150_66:                             ;   Parent Loop BB150_3 Depth=1
                                        ;     Parent Loop BB150_58 Depth=2
                                        ;       Parent Loop BB150_61 Depth=3
                                        ; =>      This Loop Header: Depth=4
                                        ;           Child Loop BB150_68 Depth 5
                                        ;           Child Loop BB150_74 Depth 5
	v_lshl_add_u32 v14, s51, 7, v22
	s_and_b32 vcc_lo, exec_lo, s43
	ds_load_b64 v[14:15], v14
	s_cbranch_vccz .LBB150_70
; %bb.67:                               ;   in Loop: Header=BB150_66 Depth=4
	s_wait_dscnt 0x0
	s_wait_xcnt 0x0
	v_dual_mov_b32 v18, v14 :: v_dual_mov_b32 v19, v14
	v_dual_mov_b32 v16, v15 :: v_dual_mov_b32 v20, v15
	v_mov_b32_e32 v21, v15
	s_mov_b32 s53, s44
	s_mov_b32 s54, s1
	;; [unrolled: 1-line block ×3, first 2 shown]
.LBB150_68:                             ;   Parent Loop BB150_3 Depth=1
                                        ;     Parent Loop BB150_58 Depth=2
                                        ;       Parent Loop BB150_61 Depth=3
                                        ;         Parent Loop BB150_66 Depth=4
                                        ; =>        This Inner Loop Header: Depth=5
	scratch_load_b128 v[24:27], off, s54 offset:-8
	v_mov_b32_e32 v17, s55
	s_add_co_i32 s53, s53, -2
	s_add_co_i32 s55, s55, 16
	ds_load_2addr_b64 v[28:31], v17 offset1:1
	s_wait_dscnt 0x0
	v_dual_mov_b32 v33, v30 :: v_dual_mov_b32 v30, v29
	v_mov_b32_e32 v32, v28
	s_delay_alu instid0(VALU_DEP_2) | instskip(SKIP_1) | instid1(VALU_DEP_2)
	v_pk_mul_f32 v[28:29], v[30:31], v[20:21]
	v_pk_mul_f32 v[30:31], v[30:31], v[18:19]
	v_pk_fma_f32 v[28:29], v[32:33], v[18:19], v[28:29] neg_lo:[0,0,1] neg_hi:[0,0,1]
	s_delay_alu instid0(VALU_DEP_2) | instskip(SKIP_2) | instid1(VALU_DEP_1)
	v_pk_fma_f32 v[30:31], v[32:33], v[20:21], v[30:31]
	s_wait_loadcnt 0x0
	v_dual_mov_b32 v32, v24 :: v_dual_mov_b32 v33, v26
	v_pk_add_f32 v[28:29], v[32:33], v[28:29] neg_lo:[0,1] neg_hi:[0,1]
	s_delay_alu instid0(VALU_DEP_1) | instskip(NEXT) | instid1(VALU_DEP_1)
	v_dual_mov_b32 v26, v25 :: v_dual_mov_b32 v24, v28
	v_pk_add_f32 v[26:27], v[26:27], v[30:31] neg_lo:[0,1] neg_hi:[0,1]
	s_delay_alu instid0(VALU_DEP_1)
	v_dual_mov_b32 v25, v26 :: v_dual_mov_b32 v26, v29
	scratch_store_b128 off, v[24:27], s54 offset:-8
	s_wait_xcnt 0x0
	s_add_co_i32 s54, s54, 16
	s_cmp_lg_u32 s53, 0
	s_cbranch_scc1 .LBB150_68
; %bb.69:                               ;   in Loop: Header=BB150_66 Depth=4
	s_mov_b32 s53, s45
	s_mov_b32 s54, s44
	s_branch .LBB150_72
.LBB150_70:                             ;   in Loop: Header=BB150_66 Depth=4
	s_wait_dscnt 0x0
	v_mov_b32_e32 v16, v15
	s_mov_b32 s53, 0
	s_mov_b32 s54, s44
	s_cbranch_execz .LBB150_72
; %bb.71:                               ;   in Loop: Header=BB150_66 Depth=4
	s_mov_b32 s53, -1
	s_mov_b32 s54, 0
.LBB150_72:                             ;   in Loop: Header=BB150_66 Depth=4
	s_and_not1_b32 vcc_lo, exec_lo, s53
	s_cbranch_vccnz .LBB150_65
; %bb.73:                               ;   in Loop: Header=BB150_66 Depth=4
	v_dual_mov_b32 v17, v15 :: v_dual_mov_b32 v15, v14
	s_sub_co_i32 s53, s42, s54
	s_lshl_b32 s54, s54, 3
.LBB150_74:                             ;   Parent Loop BB150_3 Depth=1
                                        ;     Parent Loop BB150_58 Depth=2
                                        ;       Parent Loop BB150_61 Depth=3
                                        ;         Parent Loop BB150_66 Depth=4
                                        ; =>        This Inner Loop Header: Depth=5
	scratch_load_b64 v[18:19], off, s54
	s_add_co_i32 s56, s52, s54
	s_add_co_i32 s53, s53, -1
	v_mov_b32_e32 v20, s56
	s_mov_b32 s55, s54
	s_wait_xcnt 0x0
	s_add_co_i32 s54, s54, 8
	s_cmp_eq_u32 s53, 0
	ds_load_b64 v[20:21], v20
	s_wait_dscnt 0x0
	v_pk_mul_f32 v[24:25], v[20:21], v[16:17] op_sel:[1,0] op_sel_hi:[0,1]
	s_delay_alu instid0(VALU_DEP_1) | instskip(SKIP_1) | instid1(VALU_DEP_2)
	v_pk_fma_f32 v[26:27], v[20:21], v[14:15], v[24:25]
	v_pk_fma_f32 v[20:21], v[20:21], v[14:15], v[24:25] neg_lo:[0,0,1] neg_hi:[0,0,1]
	v_mov_b32_e32 v21, v27
	s_wait_loadcnt 0x0
	s_delay_alu instid0(VALU_DEP_1)
	v_pk_add_f32 v[18:19], v[18:19], v[20:21] neg_lo:[0,1] neg_hi:[0,1]
	scratch_store_b64 off, v[18:19], s55
	s_cbranch_scc0 .LBB150_74
	s_branch .LBB150_65
.LBB150_75:                             ;   in Loop: Header=BB150_61 Depth=3
	s_mov_b32 s51, 0
	s_mov_b32 s52, s49
	s_branch .LBB150_77
.LBB150_76:                             ;   in Loop: Header=BB150_77 Depth=4
	s_add_co_i32 s53, s51, s3
	s_add_co_i32 s52, s52, 8
	s_wait_xcnt 0x0
	s_mul_i32 s54, s53, 0x88
	s_delay_alu instid0(SALU_CYCLE_1) | instskip(SKIP_2) | instid1(SALU_CYCLE_1)
	v_mov_b32_e32 v15, s54
	s_lshl_b32 s54, s51, 3
	s_add_co_i32 s51, s51, 1
	s_cmp_eq_u32 s51, s42
	s_wait_xcnt 0x0
	ds_load_b64 v[18:19], v15
	s_wait_dscnt 0x0
	v_pk_mul_f32 v[16:17], v[18:19], v[16:17] op_sel:[1,0] op_sel_hi:[0,0]
	s_delay_alu instid0(VALU_DEP_1) | instskip(SKIP_2) | instid1(VALU_DEP_3)
	v_pk_fma_f32 v[20:21], v[18:19], v[14:15], v[16:17] op_sel_hi:[1,0,1]
	v_pk_fma_f32 v[14:15], v[18:19], v[14:15], v[16:17] neg_lo:[0,0,1] neg_hi:[0,0,1]
	v_lshl_add_u32 v16, s53, 7, v22
	v_mov_b32_e32 v15, v21
	scratch_store_b64 off, v[14:15], s54
	ds_store_b64 v16, v[14:15]
	s_cbranch_scc1 .LBB150_60
.LBB150_77:                             ;   Parent Loop BB150_3 Depth=1
                                        ;     Parent Loop BB150_58 Depth=2
                                        ;       Parent Loop BB150_61 Depth=3
                                        ; =>      This Loop Header: Depth=4
                                        ;           Child Loop BB150_79 Depth 5
	s_cmp_lg_u32 s51, 0
	s_cbranch_scc0 .LBB150_81
; %bb.78:                               ;   in Loop: Header=BB150_77 Depth=4
	s_lshl_b32 s53, s51, 3
	s_wait_xcnt 0x0
	s_mov_b32 s54, 0
	scratch_load_b64 v[14:15], off, s53
	s_wait_xcnt 0x1
	s_mov_b32 s55, s52
	s_mov_b32 s56, s51
.LBB150_79:                             ;   Parent Loop BB150_3 Depth=1
                                        ;     Parent Loop BB150_58 Depth=2
                                        ;       Parent Loop BB150_61 Depth=3
                                        ;         Parent Loop BB150_77 Depth=4
                                        ; =>        This Inner Loop Header: Depth=5
	scratch_load_b64 v[16:17], off, s54
	v_mov_b32_e32 v18, s55
	s_add_co_i32 s56, s56, -1
	s_addk_co_i32 s55, 0x80
	s_wait_xcnt 0x0
	s_add_co_i32 s54, s54, 8
	s_cmp_eq_u32 s56, 0
	ds_load_b64 v[18:19], v18
	s_wait_loadcnt_dscnt 0x0
	v_pk_mul_f32 v[20:21], v[18:19], v[16:17] op_sel:[1,1] op_sel_hi:[0,1]
	s_delay_alu instid0(VALU_DEP_1) | instskip(SKIP_1) | instid1(VALU_DEP_2)
	v_pk_fma_f32 v[24:25], v[18:19], v[16:17], v[20:21] op_sel_hi:[1,0,1]
	v_pk_fma_f32 v[16:17], v[18:19], v[16:17], v[20:21] neg_lo:[0,0,1] neg_hi:[0,0,1]
	v_mov_b32_e32 v17, v25
	s_delay_alu instid0(VALU_DEP_1)
	v_pk_add_f32 v[14:15], v[14:15], v[16:17] neg_lo:[0,1] neg_hi:[0,1]
	scratch_store_b64 off, v[14:15], s53
	s_cbranch_scc0 .LBB150_79
; %bb.80:                               ;   in Loop: Header=BB150_77 Depth=4
	v_mov_b32_e32 v16, v15
	s_wait_xcnt 0x0
	s_branch .LBB150_76
.LBB150_81:                             ;   in Loop: Header=BB150_77 Depth=4
                                        ; implicit-def: $vgpr14
                                        ; implicit-def: $vgpr16
	s_cbranch_execz .LBB150_76
; %bb.82:                               ;   in Loop: Header=BB150_77 Depth=4
	scratch_load_b64 v[14:15], off, off
	s_wait_loadcnt 0x0
	v_mov_b32_e32 v16, v15
	s_branch .LBB150_76
.LBB150_83:                             ;   in Loop: Header=BB150_3 Depth=1
	; wave barrier
	s_wait_storecnt_dscnt 0x0
	s_wait_xcnt 0x0
	s_and_saveexec_b32 s3, s37
	s_cbranch_execz .LBB150_2
; %bb.84:                               ;   in Loop: Header=BB150_3 Depth=1
	v_add_nc_u64_e32 v[14:15], s[26:27], v[4:5]
	v_mov_b32_e32 v16, v22
	s_mov_b32 s14, s33
.LBB150_85:                             ;   Parent Loop BB150_3 Depth=1
                                        ; =>  This Inner Loop Header: Depth=2
	ds_load_b64 v[18:19], v16
	v_add_nc_u32_e32 v16, 0x80, v16
	s_add_co_i32 s14, s14, -1
	s_delay_alu instid0(SALU_CYCLE_1)
	s_cmp_lg_u32 s14, 0
	s_wait_dscnt 0x0
	global_store_b64 v[14:15], v[18:19], off
	s_wait_xcnt 0x0
	v_add_nc_u64_e32 v[14:15], 8, v[14:15]
	s_cbranch_scc1 .LBB150_85
	s_branch .LBB150_2
.LBB150_86:
	s_endpgm
	.section	.rodata,"a",@progbits
	.p2align	6, 0x0
	.amdhsa_kernel _ZL38rocblas_trsm_small_left_device_sharedBILi16ELi16ELb1E19rocblas_complex_numIfES1_PKS1_PS1_Ev13rocblas_fill_18rocblas_operation_17rocblas_diagonal_iiT3_T4_lilT5_lili
		.amdhsa_group_segment_fixed_size 4096
		.amdhsa_private_segment_fixed_size 144
		.amdhsa_kernarg_size 360
		.amdhsa_user_sgpr_count 2
		.amdhsa_user_sgpr_dispatch_ptr 0
		.amdhsa_user_sgpr_queue_ptr 0
		.amdhsa_user_sgpr_kernarg_segment_ptr 1
		.amdhsa_user_sgpr_dispatch_id 0
		.amdhsa_user_sgpr_kernarg_preload_length 0
		.amdhsa_user_sgpr_kernarg_preload_offset 0
		.amdhsa_user_sgpr_private_segment_size 0
		.amdhsa_wavefront_size32 1
		.amdhsa_uses_dynamic_stack 0
		.amdhsa_enable_private_segment 1
		.amdhsa_system_sgpr_workgroup_id_x 1
		.amdhsa_system_sgpr_workgroup_id_y 0
		.amdhsa_system_sgpr_workgroup_id_z 1
		.amdhsa_system_sgpr_workgroup_info 0
		.amdhsa_system_vgpr_workitem_id 0
		.amdhsa_next_free_vgpr 34
		.amdhsa_next_free_sgpr 60
		.amdhsa_named_barrier_count 0
		.amdhsa_reserve_vcc 1
		.amdhsa_float_round_mode_32 0
		.amdhsa_float_round_mode_16_64 0
		.amdhsa_float_denorm_mode_32 3
		.amdhsa_float_denorm_mode_16_64 3
		.amdhsa_fp16_overflow 0
		.amdhsa_memory_ordered 1
		.amdhsa_forward_progress 1
		.amdhsa_inst_pref_size 31
		.amdhsa_round_robin_scheduling 0
		.amdhsa_exception_fp_ieee_invalid_op 0
		.amdhsa_exception_fp_denorm_src 0
		.amdhsa_exception_fp_ieee_div_zero 0
		.amdhsa_exception_fp_ieee_overflow 0
		.amdhsa_exception_fp_ieee_underflow 0
		.amdhsa_exception_fp_ieee_inexact 0
		.amdhsa_exception_int_div_zero 0
	.end_amdhsa_kernel
	.section	.text._ZL38rocblas_trsm_small_left_device_sharedBILi16ELi16ELb1E19rocblas_complex_numIfES1_PKS1_PS1_Ev13rocblas_fill_18rocblas_operation_17rocblas_diagonal_iiT3_T4_lilT5_lili,"axG",@progbits,_ZL38rocblas_trsm_small_left_device_sharedBILi16ELi16ELb1E19rocblas_complex_numIfES1_PKS1_PS1_Ev13rocblas_fill_18rocblas_operation_17rocblas_diagonal_iiT3_T4_lilT5_lili,comdat
.Lfunc_end150:
	.size	_ZL38rocblas_trsm_small_left_device_sharedBILi16ELi16ELb1E19rocblas_complex_numIfES1_PKS1_PS1_Ev13rocblas_fill_18rocblas_operation_17rocblas_diagonal_iiT3_T4_lilT5_lili, .Lfunc_end150-_ZL38rocblas_trsm_small_left_device_sharedBILi16ELi16ELb1E19rocblas_complex_numIfES1_PKS1_PS1_Ev13rocblas_fill_18rocblas_operation_17rocblas_diagonal_iiT3_T4_lilT5_lili
                                        ; -- End function
	.set _ZL38rocblas_trsm_small_left_device_sharedBILi16ELi16ELb1E19rocblas_complex_numIfES1_PKS1_PS1_Ev13rocblas_fill_18rocblas_operation_17rocblas_diagonal_iiT3_T4_lilT5_lili.num_vgpr, 34
	.set _ZL38rocblas_trsm_small_left_device_sharedBILi16ELi16ELb1E19rocblas_complex_numIfES1_PKS1_PS1_Ev13rocblas_fill_18rocblas_operation_17rocblas_diagonal_iiT3_T4_lilT5_lili.num_agpr, 0
	.set _ZL38rocblas_trsm_small_left_device_sharedBILi16ELi16ELb1E19rocblas_complex_numIfES1_PKS1_PS1_Ev13rocblas_fill_18rocblas_operation_17rocblas_diagonal_iiT3_T4_lilT5_lili.numbered_sgpr, 60
	.set _ZL38rocblas_trsm_small_left_device_sharedBILi16ELi16ELb1E19rocblas_complex_numIfES1_PKS1_PS1_Ev13rocblas_fill_18rocblas_operation_17rocblas_diagonal_iiT3_T4_lilT5_lili.num_named_barrier, 0
	.set _ZL38rocblas_trsm_small_left_device_sharedBILi16ELi16ELb1E19rocblas_complex_numIfES1_PKS1_PS1_Ev13rocblas_fill_18rocblas_operation_17rocblas_diagonal_iiT3_T4_lilT5_lili.private_seg_size, 144
	.set _ZL38rocblas_trsm_small_left_device_sharedBILi16ELi16ELb1E19rocblas_complex_numIfES1_PKS1_PS1_Ev13rocblas_fill_18rocblas_operation_17rocblas_diagonal_iiT3_T4_lilT5_lili.uses_vcc, 1
	.set _ZL38rocblas_trsm_small_left_device_sharedBILi16ELi16ELb1E19rocblas_complex_numIfES1_PKS1_PS1_Ev13rocblas_fill_18rocblas_operation_17rocblas_diagonal_iiT3_T4_lilT5_lili.uses_flat_scratch, 0
	.set _ZL38rocblas_trsm_small_left_device_sharedBILi16ELi16ELb1E19rocblas_complex_numIfES1_PKS1_PS1_Ev13rocblas_fill_18rocblas_operation_17rocblas_diagonal_iiT3_T4_lilT5_lili.has_dyn_sized_stack, 0
	.set _ZL38rocblas_trsm_small_left_device_sharedBILi16ELi16ELb1E19rocblas_complex_numIfES1_PKS1_PS1_Ev13rocblas_fill_18rocblas_operation_17rocblas_diagonal_iiT3_T4_lilT5_lili.has_recursion, 0
	.set _ZL38rocblas_trsm_small_left_device_sharedBILi16ELi16ELb1E19rocblas_complex_numIfES1_PKS1_PS1_Ev13rocblas_fill_18rocblas_operation_17rocblas_diagonal_iiT3_T4_lilT5_lili.has_indirect_call, 0
	.section	.AMDGPU.csdata,"",@progbits
; Kernel info:
; codeLenInByte = 3896
; TotalNumSgprs: 62
; NumVgprs: 34
; ScratchSize: 144
; MemoryBound: 0
; FloatMode: 240
; IeeeMode: 1
; LDSByteSize: 4096 bytes/workgroup (compile time only)
; SGPRBlocks: 0
; VGPRBlocks: 2
; NumSGPRsForWavesPerEU: 62
; NumVGPRsForWavesPerEU: 34
; NamedBarCnt: 0
; Occupancy: 16
; WaveLimiterHint : 0
; COMPUTE_PGM_RSRC2:SCRATCH_EN: 1
; COMPUTE_PGM_RSRC2:USER_SGPR: 2
; COMPUTE_PGM_RSRC2:TRAP_HANDLER: 0
; COMPUTE_PGM_RSRC2:TGID_X_EN: 1
; COMPUTE_PGM_RSRC2:TGID_Y_EN: 0
; COMPUTE_PGM_RSRC2:TGID_Z_EN: 1
; COMPUTE_PGM_RSRC2:TIDIG_COMP_CNT: 0
	.section	.text._ZL30rocblas_trsm_small_left_deviceILi16ELi16ELb1E19rocblas_complex_numIfES1_PKS1_PS1_Ev13rocblas_fill_18rocblas_operation_17rocblas_diagonal_iiT3_T4_lilT5_lili,"axG",@progbits,_ZL30rocblas_trsm_small_left_deviceILi16ELi16ELb1E19rocblas_complex_numIfES1_PKS1_PS1_Ev13rocblas_fill_18rocblas_operation_17rocblas_diagonal_iiT3_T4_lilT5_lili,comdat
	.globl	_ZL30rocblas_trsm_small_left_deviceILi16ELi16ELb1E19rocblas_complex_numIfES1_PKS1_PS1_Ev13rocblas_fill_18rocblas_operation_17rocblas_diagonal_iiT3_T4_lilT5_lili ; -- Begin function _ZL30rocblas_trsm_small_left_deviceILi16ELi16ELb1E19rocblas_complex_numIfES1_PKS1_PS1_Ev13rocblas_fill_18rocblas_operation_17rocblas_diagonal_iiT3_T4_lilT5_lili
	.p2align	8
	.type	_ZL30rocblas_trsm_small_left_deviceILi16ELi16ELb1E19rocblas_complex_numIfES1_PKS1_PS1_Ev13rocblas_fill_18rocblas_operation_17rocblas_diagonal_iiT3_T4_lilT5_lili,@function
_ZL30rocblas_trsm_small_left_deviceILi16ELi16ELb1E19rocblas_complex_numIfES1_PKS1_PS1_Ev13rocblas_fill_18rocblas_operation_17rocblas_diagonal_iiT3_T4_lilT5_lili: ; @_ZL30rocblas_trsm_small_left_deviceILi16ELi16ELb1E19rocblas_complex_numIfES1_PKS1_PS1_Ev13rocblas_fill_18rocblas_operation_17rocblas_diagonal_iiT3_T4_lilT5_lili
; %bb.0:
	s_load_b32 s33, s[2:3], 0x60
	s_bfe_u32 s4, ttmp6, 0x40014
	s_lshr_b32 s5, ttmp7, 16
	s_add_co_i32 s4, s4, 1
	s_bfe_u32 s6, ttmp6, 0x40008
	s_mul_i32 s4, s5, s4
	s_getreg_b32 s11, hwreg(HW_REG_IB_STS2, 6, 4)
	s_add_co_i32 s6, s6, s4
	s_cmp_eq_u32 s11, 0
	s_mov_b32 s19, 0
	s_cselect_b32 s16, s5, s6
	s_wait_kmcnt 0x0
	s_cmp_ge_u32 s16, s33
	s_cbranch_scc1 .LBB151_87
; %bb.1:
	s_clause 0x1
	s_load_b32 s26, s[2:3], 0x30
	s_load_b96 s[8:10], s[2:3], 0x48
	s_load_b64 s[28:29], s[0:1], 0x4
	s_clause 0x2
	s_load_b128 s[4:7], s[2:3], 0x4
	s_load_b32 s12, s[2:3], 0x68
	s_load_b64 s[20:21], s[2:3], 0x14
	v_and_b32_e32 v8, 0x3ff, v0
	v_bfe_u32 v6, v0, 10, 10
	v_bfe_u32 v7, v0, 20, 10
	v_mov_b64_e32 v[10:11], 0x3f800000
	s_mov_b32 s40, 0
	v_dual_mov_b32 v1, 0 :: v_dual_lshlrev_b32 v12, 7, v8
	v_lshlrev_b32_e32 v0, 3, v8
	s_delay_alu instid0(VALU_DEP_1)
	v_add_nc_u32_e32 v24, v0, v12
	s_wait_kmcnt 0x0
	s_ashr_i32 s27, s26, 31
	s_ashr_i32 s1, s10, 31
	s_lshr_b32 s17, s28, 16
	s_cmp_lg_u32 s4, 0x71
	s_mul_i32 s17, s17, s29
	s_cselect_b32 s34, -1, 0
	s_bfe_u32 s0, ttmp6, 0x4000c
	s_min_i32 s35, s6, 16
	s_add_co_i32 s0, s0, 1
	s_and_b32 s6, ttmp6, 15
	s_mul_i32 s0, ttmp9, s0
	s_lshl_b64 s[30:31], s[8:9], 3
	s_add_co_i32 s18, s12, -1
	s_add_co_i32 s36, s35, -1
	s_add_co_i32 s6, s6, s0
	s_cmp_eq_u32 s11, 0
	s_mov_b32 s0, s10
	s_cselect_b32 s28, ttmp9, s6
	s_clause 0x1
	s_load_b128 s[12:15], s[2:3], 0x20
	s_load_b128 s[8:11], s[2:3], 0x38
	s_lshl_b32 s37, s28, 4
	s_wait_xcnt 0x0
	s_load_b64 s[2:3], s[2:3], 0x58
	v_or_b32_e32 v2, s37, v8
	v_mul_u32_u24_e32 v9, s17, v8
	v_mul_u32_u24_e32 v6, s29, v6
	s_mov_b32 s22, s20
	s_mov_b32 s23, s20
	v_ashrrev_i32_e32 v3, 31, v2
	s_mov_b32 s24, s21
	v_add3_u32 v9, v9, v6, v7
	s_mov_b32 s25, s21
	s_mov_b32 s6, s21
	v_mul_u64_e32 v[4:5], s[0:1], v[2:3]
	s_sub_co_i32 s0, s7, s37
	s_cmp_ge_u32 s28, s18
	v_mov_b64_e32 v[2:3], 0xbf80000000000000
	s_cselect_b32 s17, s0, 16
	s_cmp_lg_u32 s5, 0x84
	s_mov_b32 s7, s20
	s_cselect_b32 s37, -1, 0
	s_cmp_lg_u32 s4, 0x6f
	s_wait_kmcnt 0x0
	s_add_nc_u64 s[4:5], s[10:11], s[30:31]
	s_cselect_b32 s38, -1, 0
	s_lshl_b64 s[0:1], s[14:15], 3
	s_lshl_b32 s39, s35, 3
	s_add_nc_u64 s[10:11], s[12:13], s[0:1]
	v_cmp_gt_i32_e64 s0, s35, v8
	v_add_nc_u64_e32 v[6:7], s[10:11], v[0:1]
	v_lshl_add_u32 v1, v9, 7, 0x800
	v_cmp_gt_i32_e64 s1, s17, v8
	s_lshl_b64 s[12:13], s[2:3], 3
	s_add_co_i32 s39, s39, -8
	s_get_pc_i64 s[10:11]
	s_add_nc_u64 s[10:11], s[10:11], __const._ZL30rocblas_trsm_small_left_deviceILi16ELi16ELb1E19rocblas_complex_numIfES1_PKS1_PS1_Ev13rocblas_fill_18rocblas_operation_17rocblas_diagonal_iiT3_T4_lilT5_lili.step_sizes@rel64+4
	v_add_nc_u64_e32 v[6:7], 4, v[6:7]
	v_lshl_add_u64 v[4:5], v[4:5], 3, s[4:5]
	s_lshl_b64 s[4:5], s[8:9], 3
	s_lshl_b64 s[8:9], s[26:27], 3
	s_delay_alu instid0(VALU_DEP_1)
	v_add_nc_u64_e32 v[8:9], 4, v[4:5]
	s_branch .LBB151_4
.LBB151_2:                              ;   in Loop: Header=BB151_4 Depth=1
	s_add_co_i32 s16, s16, 0x10000
	s_delay_alu instid0(SALU_CYCLE_1) | instskip(SKIP_1) | instid1(SALU_CYCLE_1)
	s_cmp_ge_u32 s16, s33
	s_cselect_b32 s14, -1, 0
	s_or_not1_b32 s14, s14, exec_lo
.LBB151_3:                              ;   in Loop: Header=BB151_4 Depth=1
	s_wait_xcnt 0x0
	s_or_b32 exec_lo, exec_lo, s41
	s_delay_alu instid0(SALU_CYCLE_1) | instskip(NEXT) | instid1(SALU_CYCLE_1)
	s_and_b32 s14, exec_lo, s14
	s_or_b32 s40, s14, s40
	s_delay_alu instid0(SALU_CYCLE_1)
	s_and_not1_b32 exec_lo, exec_lo, s40
	s_cbranch_execz .LBB151_87
.LBB151_4:                              ; =>This Loop Header: Depth=1
                                        ;     Child Loop BB151_7 Depth 2
                                        ;     Child Loop BB151_23 Depth 2
                                        ;       Child Loop BB151_26 Depth 3
                                        ;         Child Loop BB151_28 Depth 4
                                        ;         Child Loop BB151_32 Depth 4
	;; [unrolled: 1-line block ×3, first 2 shown]
                                        ;           Child Loop BB151_38 Depth 5
                                        ;           Child Loop BB151_44 Depth 5
                                        ;         Child Loop BB151_47 Depth 4
                                        ;           Child Loop BB151_49 Depth 5
                                        ;     Child Loop BB151_57 Depth 2
                                        ;       Child Loop BB151_60 Depth 3
                                        ;         Child Loop BB151_62 Depth 4
                                        ;         Child Loop BB151_66 Depth 4
	;; [unrolled: 1-line block ×3, first 2 shown]
                                        ;           Child Loop BB151_72 Depth 5
                                        ;           Child Loop BB151_78 Depth 5
                                        ;         Child Loop BB151_81 Depth 4
                                        ;           Child Loop BB151_83 Depth 5
	s_mov_b32 s17, s19
	s_and_saveexec_b32 s14, s0
	s_cbranch_execz .LBB151_19
; %bb.5:                                ;   in Loop: Header=BB151_4 Depth=1
	v_mad_nc_u64_u32 v[12:13], s4, s16, v[6:7]
	v_mov_b32_e32 v16, v0
	s_mov_b32 s15, s35
	s_delay_alu instid0(VALU_DEP_2)
	v_mad_u32 v13, s5, s16, v13
	s_branch .LBB151_7
.LBB151_6:                              ;   in Loop: Header=BB151_7 Depth=2
	global_load_b32 v14, v[12:13], off offset:-4
	s_wait_xcnt 0x0
	v_add_nc_u64_e32 v[12:13], s[8:9], v[12:13]
	s_add_co_i32 s15, s15, -1
	s_delay_alu instid0(SALU_CYCLE_1)
	s_cmp_eq_u32 s15, 0
	s_wait_loadcnt 0x0
	ds_store_b64 v16, v[14:15]
	v_add_nc_u32_e32 v16, 0x80, v16
	s_cbranch_scc1 .LBB151_11
.LBB151_7:                              ;   Parent Loop BB151_4 Depth=1
                                        ; =>  This Inner Loop Header: Depth=2
	s_and_b32 vcc_lo, exec_lo, s34
	s_mov_b32 s18, -1
                                        ; implicit-def: $vgpr15
	s_cbranch_vccz .LBB151_9
; %bb.8:                                ;   in Loop: Header=BB151_7 Depth=2
	global_load_b32 v15, v[12:13], off
	s_mov_b32 s18, 0
.LBB151_9:                              ;   in Loop: Header=BB151_7 Depth=2
	s_delay_alu instid0(SALU_CYCLE_1)
	s_and_not1_b32 vcc_lo, exec_lo, s18
	s_cbranch_vccnz .LBB151_6
; %bb.10:                               ;   in Loop: Header=BB151_7 Depth=2
	global_load_b32 v14, v[12:13], off
	s_wait_loadcnt 0x0
	v_xor_b32_e32 v15, 0x80000000, v14
	s_branch .LBB151_6
.LBB151_11:                             ;   in Loop: Header=BB151_4 Depth=1
	s_and_b32 vcc_lo, exec_lo, s37
	s_mov_b32 s15, -1
	s_cbranch_vccz .LBB151_17
; %bb.12:                               ;   in Loop: Header=BB151_4 Depth=1
	ds_load_b64 v[12:13], v24
                                        ; implicit-def: $vgpr14_vgpr15
	s_wait_dscnt 0x0
	v_cmp_ngt_f32_e64 s15, |v12|, |v13|
	s_and_saveexec_b32 s18, s15
	s_delay_alu instid0(SALU_CYCLE_1)
	s_xor_b32 s15, exec_lo, s18
	s_cbranch_execz .LBB151_14
; %bb.13:                               ;   in Loop: Header=BB151_4 Depth=1
	v_div_scale_f32 v14, null, v13, v13, v12
	v_div_scale_f32 v17, vcc_lo, v12, v13, v12
	s_delay_alu instid0(VALU_DEP_2) | instskip(SKIP_1) | instid1(TRANS32_DEP_1)
	v_rcp_f32_e32 v15, v14
	v_nop
	v_fma_f32 v16, -v14, v15, 1.0
	s_delay_alu instid0(VALU_DEP_1) | instskip(NEXT) | instid1(VALU_DEP_1)
	v_fmac_f32_e32 v15, v16, v15
	v_mul_f32_e32 v16, v17, v15
	s_delay_alu instid0(VALU_DEP_1) | instskip(NEXT) | instid1(VALU_DEP_1)
	v_fma_f32 v18, -v14, v16, v17
	v_fmac_f32_e32 v16, v18, v15
	s_delay_alu instid0(VALU_DEP_1) | instskip(NEXT) | instid1(VALU_DEP_1)
	v_fma_f32 v14, -v14, v16, v17
	v_div_fmas_f32 v14, v14, v15, v16
	s_delay_alu instid0(VALU_DEP_1) | instskip(NEXT) | instid1(VALU_DEP_1)
	v_div_fixup_f32 v14, v14, v13, v12
	v_fmac_f32_e32 v13, v12, v14
	s_delay_alu instid0(VALU_DEP_1) | instskip(SKIP_1) | instid1(VALU_DEP_2)
	v_div_scale_f32 v12, null, v13, v13, 1.0
	v_div_scale_f32 v17, vcc_lo, 1.0, v13, 1.0
	v_rcp_f32_e32 v15, v12
	v_nop
	s_delay_alu instid0(TRANS32_DEP_1) | instskip(NEXT) | instid1(VALU_DEP_1)
	v_fma_f32 v16, -v12, v15, 1.0
	v_fmac_f32_e32 v15, v16, v15
	s_delay_alu instid0(VALU_DEP_1) | instskip(NEXT) | instid1(VALU_DEP_1)
	v_mul_f32_e32 v16, v17, v15
	v_fma_f32 v18, -v12, v16, v17
	s_delay_alu instid0(VALU_DEP_1) | instskip(NEXT) | instid1(VALU_DEP_1)
	v_fmac_f32_e32 v16, v18, v15
	v_fma_f32 v12, -v12, v16, v17
	s_delay_alu instid0(VALU_DEP_1) | instskip(SKIP_1) | instid1(VALU_DEP_2)
	v_div_fmas_f32 v12, v12, v15, v16
	v_mul_f32_e32 v15, 0, v14
	v_div_fixup_f32 v12, v12, v13, 1.0
	s_delay_alu instid0(VALU_DEP_2) | instskip(NEXT) | instid1(VALU_DEP_1)
	v_pk_add_f32 v[14:15], v[14:15], v[2:3]
	v_pk_mul_f32 v[14:15], v[14:15], v[12:13] op_sel_hi:[1,0]
                                        ; implicit-def: $vgpr12_vgpr13
.LBB151_14:                             ;   in Loop: Header=BB151_4 Depth=1
	s_and_not1_saveexec_b32 s15, s15
	s_cbranch_execz .LBB151_16
; %bb.15:                               ;   in Loop: Header=BB151_4 Depth=1
	v_div_scale_f32 v14, null, v12, v12, v13
	v_div_scale_f32 v17, vcc_lo, v13, v12, v13
	s_delay_alu instid0(VALU_DEP_2) | instskip(SKIP_1) | instid1(TRANS32_DEP_1)
	v_rcp_f32_e32 v15, v14
	v_nop
	v_fma_f32 v16, -v14, v15, 1.0
	s_delay_alu instid0(VALU_DEP_1) | instskip(NEXT) | instid1(VALU_DEP_1)
	v_fmac_f32_e32 v15, v16, v15
	v_mul_f32_e32 v16, v17, v15
	s_delay_alu instid0(VALU_DEP_1) | instskip(NEXT) | instid1(VALU_DEP_1)
	v_fma_f32 v18, -v14, v16, v17
	v_fmac_f32_e32 v16, v18, v15
	s_delay_alu instid0(VALU_DEP_1) | instskip(NEXT) | instid1(VALU_DEP_1)
	v_fma_f32 v14, -v14, v16, v17
	v_div_fmas_f32 v14, v14, v15, v16
	s_delay_alu instid0(VALU_DEP_1) | instskip(NEXT) | instid1(VALU_DEP_1)
	v_div_fixup_f32 v15, v14, v12, v13
	v_fmac_f32_e32 v12, v13, v15
	s_delay_alu instid0(VALU_DEP_1) | instskip(SKIP_1) | instid1(VALU_DEP_2)
	v_div_scale_f32 v13, null, v12, v12, 1.0
	v_div_scale_f32 v17, vcc_lo, 1.0, v12, 1.0
	v_rcp_f32_e32 v14, v13
	v_nop
	s_delay_alu instid0(TRANS32_DEP_1) | instskip(NEXT) | instid1(VALU_DEP_1)
	v_fma_f32 v16, -v13, v14, 1.0
	v_fmac_f32_e32 v14, v16, v14
	s_delay_alu instid0(VALU_DEP_1) | instskip(NEXT) | instid1(VALU_DEP_1)
	v_mul_f32_e32 v16, v17, v14
	v_fma_f32 v18, -v13, v16, v17
	s_delay_alu instid0(VALU_DEP_1) | instskip(NEXT) | instid1(VALU_DEP_1)
	v_fmac_f32_e32 v16, v18, v14
	v_dual_fma_f32 v13, -v13, v16, v17 :: v_dual_mul_f32 v17, 0, v15
	v_sub_f32_e32 v15, 0, v15
	s_delay_alu instid0(VALU_DEP_2) | instskip(NEXT) | instid1(VALU_DEP_3)
	v_div_fmas_f32 v13, v13, v14, v16
	v_add_f32_e32 v14, 1.0, v17
	s_delay_alu instid0(VALU_DEP_2) | instskip(NEXT) | instid1(VALU_DEP_1)
	v_div_fixup_f32 v12, v13, v12, 1.0
	v_pk_mul_f32 v[14:15], v[14:15], v[12:13] op_sel_hi:[1,0]
.LBB151_16:                             ;   in Loop: Header=BB151_4 Depth=1
	s_or_b32 exec_lo, exec_lo, s15
	s_mov_b32 s15, 0
	ds_store_b64 v24, v[14:15]
.LBB151_17:                             ;   in Loop: Header=BB151_4 Depth=1
	s_and_b32 vcc_lo, exec_lo, s15
	s_cbranch_vccz .LBB151_19
; %bb.18:                               ;   in Loop: Header=BB151_4 Depth=1
	ds_store_b64 v24, v[10:11]
.LBB151_19:                             ;   in Loop: Header=BB151_4 Depth=1
	s_or_b32 exec_lo, exec_lo, s14
	s_mov_b32 s14, -1
	s_wait_dscnt 0x0
	; wave barrier
	s_and_saveexec_b32 s41, s1
	s_cbranch_execz .LBB151_3
; %bb.20:                               ;   in Loop: Header=BB151_4 Depth=1
	s_mul_u64 s[14:15], s[2:3], s[16:17]
	s_and_not1_b32 vcc_lo, exec_lo, s38
	v_lshl_add_u64 v[12:13], s[14:15], 3, v[4:5]
	s_mul_u64 s[14:15], s[12:13], s[16:17]
	s_mov_b32 s17, -1
	s_cbranch_vccnz .LBB151_54
; %bb.21:                               ;   in Loop: Header=BB151_4 Depth=1
	v_add_nc_u64_e32 v[14:15], s[14:15], v[8:9]
	s_mov_b32 s17, 0
	s_mov_b32 s26, s36
	s_branch .LBB151_23
.LBB151_22:                             ;   in Loop: Header=BB151_23 Depth=2
	s_cmp_gt_i32 s26, -1
	s_cselect_b32 s18, -1, 0
	s_add_co_i32 s27, s17, 1
	s_cmp_lt_u32 s17, 2
	s_wait_xcnt 0x0
	s_cselect_b32 s17, -1, 0
	s_delay_alu instid0(SALU_CYCLE_1) | instskip(NEXT) | instid1(SALU_CYCLE_1)
	s_and_b32 s17, s18, s17
	s_and_b32 vcc_lo, exec_lo, s17
	s_mov_b32 s17, s27
	s_cbranch_vccz .LBB151_53
.LBB151_23:                             ;   Parent Loop BB151_4 Depth=1
                                        ; =>  This Loop Header: Depth=2
                                        ;       Child Loop BB151_26 Depth 3
                                        ;         Child Loop BB151_28 Depth 4
                                        ;         Child Loop BB151_32 Depth 4
	;; [unrolled: 1-line block ×3, first 2 shown]
                                        ;           Child Loop BB151_38 Depth 5
                                        ;           Child Loop BB151_44 Depth 5
                                        ;         Child Loop BB151_47 Depth 4
                                        ;           Child Loop BB151_49 Depth 5
	s_load_b32 s42, s[10:11], s17 offset:0x0 scale_offset
	s_wait_kmcnt 0x0
	s_add_co_i32 s43, s42, -1
	s_delay_alu instid0(SALU_CYCLE_1)
	s_cmp_lt_i32 s26, s43
	s_cbranch_scc1 .LBB151_22
; %bb.24:                               ;   in Loop: Header=BB151_23 Depth=2
	s_max_i32 s44, s42, 1
	s_cmp_lg_u32 s17, 2
	s_mul_i32 s50, s26, 0x88
	s_cselect_b32 s45, -1, 0
	s_and_b32 s46, s44, 0x7ffffffe
	s_mul_i32 s51, s42, 0xffffff78
	s_cmp_lg_u32 s44, s46
	s_cselect_b32 s47, -1, 0
	s_lshl_b32 s18, s26, 7
	s_lshl_b32 s27, s42, 7
	s_add_co_i32 s48, s39, s18
	s_sub_co_i32 s49, 0, s27
	s_branch .LBB151_26
.LBB151_25:                             ;   in Loop: Header=BB151_26 Depth=3
	s_sub_co_i32 s26, s26, s42
	s_add_co_i32 s48, s48, s49
	s_add_co_i32 s50, s50, s51
	s_cmp_lt_i32 s26, s43
	s_cbranch_scc1 .LBB151_22
.LBB151_26:                             ;   Parent Loop BB151_4 Depth=1
                                        ;     Parent Loop BB151_23 Depth=2
                                        ; =>    This Loop Header: Depth=3
                                        ;         Child Loop BB151_28 Depth 4
                                        ;         Child Loop BB151_32 Depth 4
	;; [unrolled: 1-line block ×3, first 2 shown]
                                        ;           Child Loop BB151_38 Depth 5
                                        ;           Child Loop BB151_44 Depth 5
                                        ;         Child Loop BB151_47 Depth 4
                                        ;           Child Loop BB151_49 Depth 5
	s_and_not1_b32 vcc_lo, exec_lo, s45
	s_cbranch_vccnz .LBB151_30
; %bb.27:                               ;   in Loop: Header=BB151_26 Depth=3
	s_wait_xcnt 0x0
	v_mov_b32_e32 v16, v1
	s_mov_b32 s27, s26
	s_mov_b32 s28, 1
	s_mov_b32 s29, 0
	s_mov_b32 s30, s46
.LBB151_28:                             ;   Parent Loop BB151_4 Depth=1
                                        ;     Parent Loop BB151_23 Depth=2
                                        ;       Parent Loop BB151_26 Depth=3
                                        ; =>      This Inner Loop Header: Depth=4
	s_sub_co_i32 s52, s27, s28
	s_sub_co_i32 s54, s26, s29
	s_ashr_i32 s53, s52, 31
	s_ashr_i32 s55, s54, 31
	v_lshl_add_u64 v[18:19], s[52:53], 3, v[12:13]
	v_lshl_add_u64 v[20:21], s[54:55], 3, v[12:13]
	s_add_co_i32 s30, s30, -2
	s_add_co_i32 s29, s29, 2
	s_add_co_i32 s28, s28, 2
	s_clause 0x1
	global_load_b64 v[22:23], v[18:19], off
	global_load_b64 v[26:27], v[20:21], off
	s_wait_xcnt 0x1
	v_mov_b64_e32 v[18:19], s[24:25]
	s_wait_xcnt 0x0
	v_mov_b64_e32 v[20:21], s[22:23]
	s_mov_b32 s18, s46
	s_cmp_lg_u32 s30, 0
	s_mov_b32 s31, s47
	s_wait_loadcnt 0x0
	v_dual_mov_b32 v29, v22 :: v_dual_mov_b32 v22, v27
	v_mov_b32_e32 v28, v26
	s_delay_alu instid0(VALU_DEP_2) | instskip(SKIP_1) | instid1(VALU_DEP_2)
	v_pk_mul_f32 v[26:27], v[22:23], v[18:19]
	v_pk_mul_f32 v[22:23], v[22:23], v[20:21]
	v_pk_fma_f32 v[26:27], v[28:29], v[20:21], v[26:27] neg_lo:[0,0,1] neg_hi:[0,0,1]
	s_delay_alu instid0(VALU_DEP_2) | instskip(NEXT) | instid1(VALU_DEP_1)
	v_pk_fma_f32 v[20:21], v[28:29], v[18:19], v[22:23]
	v_dual_mov_b32 v18, v26 :: v_dual_mov_b32 v19, v20
	s_delay_alu instid0(VALU_DEP_3)
	v_mov_b32_e32 v20, v27
	ds_store_b128 v16, v[18:21]
	v_add_nc_u32_e32 v16, 16, v16
	s_cbranch_scc1 .LBB151_28
; %bb.29:                               ;   in Loop: Header=BB151_26 Depth=3
	s_and_b32 vcc_lo, exec_lo, s31
	s_ashr_i32 s27, s26, 31
	s_cbranch_vccnz .LBB151_31
	s_branch .LBB151_33
.LBB151_30:                             ;   in Loop: Header=BB151_26 Depth=3
	s_mov_b32 s18, 0
	s_ashr_i32 s27, s26, 31
	s_cbranch_execz .LBB151_33
.LBB151_31:                             ;   in Loop: Header=BB151_26 Depth=3
	s_lshl_b64 s[28:29], s[26:27], 3
	s_lshl_b64 s[30:31], s[18:19], 3
	v_lshl_add_u32 v18, s18, 3, v1
	s_sub_nc_u64 s[28:29], s[28:29], s[30:31]
	s_sub_co_i32 s18, s44, s18
	s_wait_xcnt 0x0
	v_add_nc_u64_e32 v[16:17], s[28:29], v[14:15]
.LBB151_32:                             ;   Parent Loop BB151_4 Depth=1
                                        ;     Parent Loop BB151_23 Depth=2
                                        ;       Parent Loop BB151_26 Depth=3
                                        ; =>      This Inner Loop Header: Depth=4
	global_load_b64 v[20:21], v[16:17], off offset:-4
	v_mov_b64_e32 v[22:23], s[6:7]
	v_mov_b64_e32 v[26:27], s[20:21]
	s_wait_xcnt 0x0
	v_add_nc_u64_e32 v[16:17], -8, v[16:17]
	s_add_co_i32 s18, s18, -1
	s_delay_alu instid0(SALU_CYCLE_1) | instskip(SKIP_2) | instid1(VALU_DEP_1)
	s_cmp_eq_u32 s18, 0
	s_wait_loadcnt 0x0
	v_pk_mul_f32 v[22:23], v[20:21], v[22:23] op_sel:[1,0]
	v_pk_fma_f32 v[28:29], v[20:21], v[26:27], v[22:23] op_sel_hi:[0,1,1]
	v_pk_fma_f32 v[20:21], v[20:21], v[26:27], v[22:23] neg_lo:[0,0,1] neg_hi:[0,0,1]
	s_delay_alu instid0(VALU_DEP_2)
	v_mov_b32_e32 v21, v29
	ds_store_b64 v18, v[20:21]
	v_add_nc_u32_e32 v18, 8, v18
	s_cbranch_scc0 .LBB151_32
.LBB151_33:                             ;   in Loop: Header=BB151_26 Depth=3
	s_cmp_le_i32 s36, s26
	s_cbranch_scc1 .LBB151_45
; %bb.34:                               ;   in Loop: Header=BB151_26 Depth=3
	s_mov_b32 s18, s26
	s_mov_b32 s30, s26
	;; [unrolled: 1-line block ×4, first 2 shown]
	s_branch .LBB151_36
.LBB151_35:                             ;   in Loop: Header=BB151_36 Depth=4
	s_add_co_i32 s28, s28, -1
	s_add_co_i32 s31, s31, -8
	s_cmp_le_i32 s28, s26
	s_cbranch_scc1 .LBB151_45
.LBB151_36:                             ;   Parent Loop BB151_4 Depth=1
                                        ;     Parent Loop BB151_23 Depth=2
                                        ;       Parent Loop BB151_26 Depth=3
                                        ; =>      This Loop Header: Depth=4
                                        ;           Child Loop BB151_38 Depth 5
                                        ;           Child Loop BB151_44 Depth 5
	s_ashr_i32 s29, s28, 31
	s_and_b32 vcc_lo, exec_lo, s45
	s_wait_xcnt 0x0
	v_lshl_add_u64 v[16:17], s[28:29], 3, v[12:13]
	global_load_b64 v[16:17], v[16:17], off
	s_cbranch_vccz .LBB151_40
; %bb.37:                               ;   in Loop: Header=BB151_36 Depth=4
	s_wait_loadcnt 0x0
	v_dual_mov_b32 v20, v16 :: v_dual_mov_b32 v21, v16
	v_dual_mov_b32 v18, v17 :: v_dual_mov_b32 v22, v17
	;; [unrolled: 1-line block ×3, first 2 shown]
	s_lshl_b32 s29, s28, 3
	s_mov_b32 s52, 1
	s_mov_b32 s53, 0
	;; [unrolled: 1-line block ×3, first 2 shown]
.LBB151_38:                             ;   Parent Loop BB151_4 Depth=1
                                        ;     Parent Loop BB151_23 Depth=2
                                        ;       Parent Loop BB151_26 Depth=3
                                        ;         Parent Loop BB151_36 Depth=4
                                        ; =>        This Inner Loop Header: Depth=5
	s_sub_co_i32 s55, s18, s53
	s_sub_co_i32 s56, s30, s52
	s_lshl_b32 s55, s55, 7
	s_lshl_b32 s56, s56, 7
	s_add_co_i32 s55, s29, s55
	s_add_co_i32 s56, s29, s56
	s_delay_alu instid0(SALU_CYCLE_1)
	v_dual_mov_b32 v25, s55 :: v_dual_mov_b32 v26, s56
	s_add_co_i32 s54, s54, -2
	s_add_co_i32 s53, s53, 2
	s_add_co_i32 s52, s52, 2
	ds_load_b64 v[30:31], v25
	ds_load_b64 v[32:33], v26
	ds_load_b128 v[26:29], v19
	s_cmp_lg_u32 s54, 0
	s_wait_dscnt 0x1
	v_dual_mov_b32 v36, v30 :: v_dual_mov_b32 v37, v32
	s_wait_dscnt 0x0
	v_dual_mov_b32 v32, v31 :: v_dual_mov_b32 v34, v26
	v_dual_mov_b32 v35, v28 :: v_dual_mov_b32 v28, v27
	s_delay_alu instid0(VALU_DEP_2) | instskip(SKIP_1) | instid1(VALU_DEP_2)
	v_pk_mul_f32 v[30:31], v[32:33], v[22:23]
	v_pk_mul_f32 v[32:33], v[32:33], v[20:21]
	v_pk_fma_f32 v[26:27], v[36:37], v[20:21], v[30:31] neg_lo:[0,0,1] neg_hi:[0,0,1]
	s_delay_alu instid0(VALU_DEP_2) | instskip(NEXT) | instid1(VALU_DEP_2)
	v_pk_fma_f32 v[30:31], v[36:37], v[22:23], v[32:33]
	v_pk_add_f32 v[32:33], v[34:35], v[26:27] neg_lo:[0,1] neg_hi:[0,1]
	s_delay_alu instid0(VALU_DEP_2) | instskip(NEXT) | instid1(VALU_DEP_1)
	v_pk_add_f32 v[28:29], v[28:29], v[30:31] neg_lo:[0,1] neg_hi:[0,1]
	v_dual_mov_b32 v26, v32 :: v_dual_mov_b32 v27, v28
	s_delay_alu instid0(VALU_DEP_3)
	v_mov_b32_e32 v28, v33
	ds_store_b128 v19, v[26:29]
	v_add_nc_u32_e32 v19, 16, v19
	s_cbranch_scc1 .LBB151_38
; %bb.39:                               ;   in Loop: Header=BB151_36 Depth=4
	s_mov_b32 s29, s47
	s_mov_b32 s52, s46
	s_branch .LBB151_42
.LBB151_40:                             ;   in Loop: Header=BB151_36 Depth=4
	s_wait_loadcnt 0x0
	v_mov_b32_e32 v18, v17
	s_mov_b32 s29, 0
	s_mov_b32 s52, s46
	s_cbranch_execz .LBB151_42
; %bb.41:                               ;   in Loop: Header=BB151_36 Depth=4
	s_mov_b32 s29, -1
	s_mov_b32 s52, 0
.LBB151_42:                             ;   in Loop: Header=BB151_36 Depth=4
	s_and_not1_b32 vcc_lo, exec_lo, s29
	s_cbranch_vccnz .LBB151_35
; %bb.43:                               ;   in Loop: Header=BB151_36 Depth=4
	s_wait_xcnt 0x0
	v_dual_mov_b32 v19, v17 :: v_dual_mov_b32 v17, v16
	v_lshl_add_u32 v20, s52, 3, v1
	s_lshl_b32 s53, s52, 7
	s_sub_co_i32 s29, s44, s52
	s_sub_co_i32 s52, s31, s53
.LBB151_44:                             ;   Parent Loop BB151_4 Depth=1
                                        ;     Parent Loop BB151_23 Depth=2
                                        ;       Parent Loop BB151_26 Depth=3
                                        ;         Parent Loop BB151_36 Depth=4
                                        ; =>        This Inner Loop Header: Depth=5
	s_delay_alu instid0(SALU_CYCLE_1)
	v_mov_b32_e32 v21, s52
	s_add_co_i32 s29, s29, -1
	s_addk_co_i32 s52, 0xff80
	s_cmp_eq_u32 s29, 0
	ds_load_b64 v[22:23], v21
	ds_load_b64 v[26:27], v20
	s_wait_dscnt 0x1
	v_pk_mul_f32 v[28:29], v[22:23], v[18:19] op_sel:[1,0] op_sel_hi:[0,1]
	s_delay_alu instid0(VALU_DEP_1) | instskip(SKIP_1) | instid1(VALU_DEP_2)
	v_pk_fma_f32 v[30:31], v[22:23], v[16:17], v[28:29]
	v_pk_fma_f32 v[22:23], v[22:23], v[16:17], v[28:29] neg_lo:[0,0,1] neg_hi:[0,0,1]
	v_mov_b32_e32 v23, v31
	s_wait_dscnt 0x0
	s_delay_alu instid0(VALU_DEP_1)
	v_pk_add_f32 v[22:23], v[26:27], v[22:23] neg_lo:[0,1] neg_hi:[0,1]
	ds_store_b64 v20, v[22:23]
	v_add_nc_u32_e32 v20, 8, v20
	s_cbranch_scc0 .LBB151_44
	s_branch .LBB151_35
.LBB151_45:                             ;   in Loop: Header=BB151_26 Depth=3
	s_mov_b32 s18, 0
	s_mov_b32 s52, s50
	s_branch .LBB151_47
.LBB151_46:                             ;   in Loop: Header=BB151_47 Depth=4
	s_mulk_i32 s30, 0x88
	s_add_co_i32 s18, s18, 1
	s_wait_xcnt 0x0
	v_mov_b32_e32 v17, s30
	s_addk_co_i32 s52, 0xff80
	s_cmp_eq_u32 s18, s44
	ds_load_b64 v[20:21], v17
	s_wait_dscnt 0x0
	v_pk_mul_f32 v[22:23], v[20:21], v[18:19] op_sel:[1,0] op_sel_hi:[0,0]
	s_delay_alu instid0(VALU_DEP_1) | instskip(SKIP_2) | instid1(VALU_DEP_3)
	v_pk_fma_f32 v[26:27], v[20:21], v[16:17], v[22:23] op_sel_hi:[1,0,1]
	v_pk_fma_f32 v[16:17], v[20:21], v[16:17], v[22:23] neg_lo:[0,0,1] neg_hi:[0,0,1]
	v_lshl_add_u64 v[20:21], s[28:29], 3, v[12:13]
	v_mov_b32_e32 v17, v27
	ds_store_b64 v19, v[16:17]
	global_store_b64 v[20:21], v[16:17], off
	s_cbranch_scc1 .LBB151_25
.LBB151_47:                             ;   Parent Loop BB151_4 Depth=1
                                        ;     Parent Loop BB151_23 Depth=2
                                        ;       Parent Loop BB151_26 Depth=3
                                        ; =>      This Loop Header: Depth=4
                                        ;           Child Loop BB151_49 Depth 5
	v_lshl_add_u32 v19, s18, 3, v1
	s_cmp_lg_u32 s18, 0
	s_cbranch_scc0 .LBB151_51
; %bb.48:                               ;   in Loop: Header=BB151_47 Depth=4
	s_wait_xcnt 0x0
	ds_load_b64 v[16:17], v19
	v_mov_b32_e32 v18, v1
	s_mov_b32 s28, s52
	s_mov_b32 s29, s18
.LBB151_49:                             ;   Parent Loop BB151_4 Depth=1
                                        ;     Parent Loop BB151_23 Depth=2
                                        ;       Parent Loop BB151_26 Depth=3
                                        ;         Parent Loop BB151_47 Depth=4
                                        ; =>        This Inner Loop Header: Depth=5
	v_mov_b32_e32 v22, s28
	s_add_co_i32 s29, s29, -1
	s_add_co_i32 s28, s28, -8
	s_cmp_eq_u32 s29, 0
	ds_load_b64 v[20:21], v18
	ds_load_b64 v[22:23], v22
	v_add_nc_u32_e32 v18, 8, v18
	s_wait_dscnt 0x0
	v_pk_mul_f32 v[26:27], v[22:23], v[20:21] op_sel:[1,1] op_sel_hi:[0,1]
	s_delay_alu instid0(VALU_DEP_1) | instskip(SKIP_1) | instid1(VALU_DEP_2)
	v_pk_fma_f32 v[28:29], v[22:23], v[20:21], v[26:27] op_sel_hi:[1,0,1]
	v_pk_fma_f32 v[20:21], v[22:23], v[20:21], v[26:27] neg_lo:[0,0,1] neg_hi:[0,0,1]
	v_mov_b32_e32 v21, v29
	s_delay_alu instid0(VALU_DEP_1)
	v_pk_add_f32 v[16:17], v[16:17], v[20:21] neg_lo:[0,1] neg_hi:[0,1]
	ds_store_b64 v19, v[16:17]
	s_cbranch_scc0 .LBB151_49
; %bb.50:                               ;   in Loop: Header=BB151_47 Depth=4
	s_sub_co_i32 s30, s26, s18
	v_mov_b32_e32 v18, v17
	s_ashr_i32 s31, s30, 31
	s_delay_alu instid0(SALU_CYCLE_1)
	s_mov_b64 s[28:29], s[30:31]
	s_branch .LBB151_46
.LBB151_51:                             ;   in Loop: Header=BB151_47 Depth=4
                                        ; implicit-def: $vgpr16
                                        ; implicit-def: $vgpr18
                                        ; implicit-def: $sgpr30
                                        ; implicit-def: $sgpr28_sgpr29
	s_cbranch_execz .LBB151_46
; %bb.52:                               ;   in Loop: Header=BB151_47 Depth=4
	s_wait_xcnt 0x0
	ds_load_b64 v[16:17], v1
	s_mov_b64 s[28:29], s[26:27]
	s_mov_b32 s30, s26
	s_wait_dscnt 0x0
	v_mov_b32_e32 v18, v17
	s_branch .LBB151_46
.LBB151_53:                             ;   in Loop: Header=BB151_4 Depth=1
	s_mov_b32 s17, 0
.LBB151_54:                             ;   in Loop: Header=BB151_4 Depth=1
	s_delay_alu instid0(SALU_CYCLE_1)
	s_and_b32 vcc_lo, exec_lo, s17
	s_cbranch_vccz .LBB151_2
; %bb.55:                               ;   in Loop: Header=BB151_4 Depth=1
	v_add_nc_u64_e32 v[14:15], s[14:15], v[8:9]
	s_mov_b32 s14, 0
	s_mov_b32 s17, 0
	s_branch .LBB151_57
.LBB151_56:                             ;   in Loop: Header=BB151_57 Depth=2
	s_cmp_lt_i32 s14, s35
	s_cselect_b32 s15, -1, 0
	s_add_co_i32 s18, s17, 1
	s_cmp_lt_u32 s17, 2
	s_cselect_b32 s17, -1, 0
	s_delay_alu instid0(SALU_CYCLE_1)
	s_and_b32 s15, s15, s17
	s_mov_b32 s17, s18
	s_and_not1_b32 vcc_lo, exec_lo, s15
	s_cbranch_vccnz .LBB151_2
.LBB151_57:                             ;   Parent Loop BB151_4 Depth=1
                                        ; =>  This Loop Header: Depth=2
                                        ;       Child Loop BB151_60 Depth 3
                                        ;         Child Loop BB151_62 Depth 4
                                        ;         Child Loop BB151_66 Depth 4
	;; [unrolled: 1-line block ×3, first 2 shown]
                                        ;           Child Loop BB151_72 Depth 5
                                        ;           Child Loop BB151_78 Depth 5
                                        ;         Child Loop BB151_81 Depth 4
                                        ;           Child Loop BB151_83 Depth 5
	s_load_b32 s26, s[10:11], s17 offset:0x0 scale_offset
	s_wait_kmcnt 0x0
	s_add_co_i32 s28, s26, -1
	s_delay_alu instid0(SALU_CYCLE_1) | instskip(NEXT) | instid1(SALU_CYCLE_1)
	s_add_co_i32 s15, s28, s14
	s_cmp_ge_i32 s15, s35
	s_cbranch_scc1 .LBB151_56
; %bb.58:                               ;   in Loop: Header=BB151_57 Depth=2
	s_max_i32 s29, s26, 1
	s_cmp_lg_u32 s17, 2
	s_mul_i32 s45, s14, 0x88
	s_cselect_b32 s30, -1, 0
	s_and_b32 s31, s29, 0x7ffffffe
	s_mul_i32 s46, s26, 0x88
	s_cmp_lg_u32 s29, s31
	s_cselect_b32 s42, -1, 0
	s_ashr_i32 s15, s14, 31
	s_ashr_i32 s27, s26, 31
	s_lshl_b32 s43, s14, 3
	s_lshl_b32 s44, s26, 3
	s_branch .LBB151_60
.LBB151_59:                             ;   in Loop: Header=BB151_60 Depth=3
	s_add_nc_u64 s[14:15], s[14:15], s[26:27]
	s_add_co_i32 s43, s43, s44
	s_add_co_i32 s18, s28, s14
	s_add_co_i32 s45, s45, s46
	s_cmp_ge_i32 s18, s35
	s_cbranch_scc1 .LBB151_56
.LBB151_60:                             ;   Parent Loop BB151_4 Depth=1
                                        ;     Parent Loop BB151_57 Depth=2
                                        ; =>    This Loop Header: Depth=3
                                        ;         Child Loop BB151_62 Depth 4
                                        ;         Child Loop BB151_66 Depth 4
	;; [unrolled: 1-line block ×3, first 2 shown]
                                        ;           Child Loop BB151_72 Depth 5
                                        ;           Child Loop BB151_78 Depth 5
                                        ;         Child Loop BB151_81 Depth 4
                                        ;           Child Loop BB151_83 Depth 5
	s_and_not1_b32 vcc_lo, exec_lo, s30
	s_cbranch_vccnz .LBB151_64
; %bb.61:                               ;   in Loop: Header=BB151_60 Depth=3
	s_wait_xcnt 0x0
	v_mov_b32_e32 v16, v1
	s_mov_b32 s47, s14
	s_mov_b32 s48, s14
	;; [unrolled: 1-line block ×5, first 2 shown]
.LBB151_62:                             ;   Parent Loop BB151_4 Depth=1
                                        ;     Parent Loop BB151_57 Depth=2
                                        ;       Parent Loop BB151_60 Depth=3
                                        ; =>      This Inner Loop Header: Depth=4
	s_add_co_i32 s52, s49, s48
	s_add_co_i32 s54, s50, s47
	s_ashr_i32 s53, s52, 31
	s_ashr_i32 s55, s54, 31
	v_lshl_add_u64 v[18:19], s[52:53], 3, v[12:13]
	v_lshl_add_u64 v[20:21], s[54:55], 3, v[12:13]
	s_add_co_i32 s51, s51, -2
	s_add_co_i32 s50, s50, 2
	s_add_co_i32 s49, s49, 2
	s_clause 0x1
	global_load_b64 v[22:23], v[18:19], off
	global_load_b64 v[26:27], v[20:21], off
	s_wait_xcnt 0x1
	v_mov_b64_e32 v[18:19], s[24:25]
	s_wait_xcnt 0x0
	v_mov_b64_e32 v[20:21], s[22:23]
	s_mov_b32 s18, s31
	s_cmp_lg_u32 s51, 0
	s_mov_b32 s52, s42
	s_wait_loadcnt 0x0
	v_dual_mov_b32 v29, v22 :: v_dual_mov_b32 v22, v27
	v_mov_b32_e32 v28, v26
	s_delay_alu instid0(VALU_DEP_2) | instskip(SKIP_1) | instid1(VALU_DEP_2)
	v_pk_mul_f32 v[26:27], v[22:23], v[18:19]
	v_pk_mul_f32 v[22:23], v[22:23], v[20:21]
	v_pk_fma_f32 v[26:27], v[28:29], v[20:21], v[26:27] neg_lo:[0,0,1] neg_hi:[0,0,1]
	s_delay_alu instid0(VALU_DEP_2) | instskip(NEXT) | instid1(VALU_DEP_1)
	v_pk_fma_f32 v[20:21], v[28:29], v[18:19], v[22:23]
	v_dual_mov_b32 v18, v26 :: v_dual_mov_b32 v19, v20
	s_delay_alu instid0(VALU_DEP_3)
	v_mov_b32_e32 v20, v27
	ds_store_b128 v16, v[18:21]
	v_add_nc_u32_e32 v16, 16, v16
	s_cbranch_scc1 .LBB151_62
; %bb.63:                               ;   in Loop: Header=BB151_60 Depth=3
	s_and_b32 vcc_lo, exec_lo, s52
	s_cbranch_vccnz .LBB151_65
	s_branch .LBB151_67
.LBB151_64:                             ;   in Loop: Header=BB151_60 Depth=3
	s_mov_b32 s18, 0
	s_cbranch_execz .LBB151_67
.LBB151_65:                             ;   in Loop: Header=BB151_60 Depth=3
	s_add_nc_u64 s[48:49], s[14:15], s[18:19]
	v_lshl_add_u32 v18, s18, 3, v1
	s_wait_xcnt 0x0
	v_lshl_add_u64 v[16:17], s[48:49], 3, v[14:15]
	s_sub_co_i32 s18, s29, s18
.LBB151_66:                             ;   Parent Loop BB151_4 Depth=1
                                        ;     Parent Loop BB151_57 Depth=2
                                        ;       Parent Loop BB151_60 Depth=3
                                        ; =>      This Inner Loop Header: Depth=4
	global_load_b64 v[20:21], v[16:17], off offset:-4
	v_mov_b64_e32 v[22:23], s[6:7]
	v_mov_b64_e32 v[26:27], s[20:21]
	s_wait_xcnt 0x0
	v_add_nc_u64_e32 v[16:17], 8, v[16:17]
	s_add_co_i32 s18, s18, -1
	s_delay_alu instid0(SALU_CYCLE_1) | instskip(SKIP_2) | instid1(VALU_DEP_1)
	s_cmp_eq_u32 s18, 0
	s_wait_loadcnt 0x0
	v_pk_mul_f32 v[22:23], v[20:21], v[22:23] op_sel:[1,0]
	v_pk_fma_f32 v[28:29], v[20:21], v[26:27], v[22:23] op_sel_hi:[0,1,1]
	v_pk_fma_f32 v[20:21], v[20:21], v[26:27], v[22:23] neg_lo:[0,0,1] neg_hi:[0,0,1]
	s_delay_alu instid0(VALU_DEP_2)
	v_mov_b32_e32 v21, v29
	ds_store_b64 v18, v[20:21]
	v_add_nc_u32_e32 v18, 8, v18
	s_cbranch_scc0 .LBB151_66
.LBB151_67:                             ;   in Loop: Header=BB151_60 Depth=3
	s_cmp_lt_i32 s14, 1
	s_cbranch_scc1 .LBB151_79
; %bb.68:                               ;   in Loop: Header=BB151_60 Depth=3
	s_mov_b32 s18, 0
	s_mov_b32 s47, s43
	s_branch .LBB151_70
.LBB151_69:                             ;   in Loop: Header=BB151_70 Depth=4
	s_add_co_i32 s18, s18, 1
	s_addk_co_i32 s47, 0x80
	s_cmp_eq_u32 s18, s14
	s_cbranch_scc1 .LBB151_79
.LBB151_70:                             ;   Parent Loop BB151_4 Depth=1
                                        ;     Parent Loop BB151_57 Depth=2
                                        ;       Parent Loop BB151_60 Depth=3
                                        ; =>      This Loop Header: Depth=4
                                        ;           Child Loop BB151_72 Depth 5
                                        ;           Child Loop BB151_78 Depth 5
	s_wait_xcnt 0x0
	v_lshl_add_u64 v[16:17], s[18:19], 3, v[12:13]
	s_and_b32 vcc_lo, exec_lo, s30
	global_load_b64 v[16:17], v[16:17], off
	s_cbranch_vccz .LBB151_74
; %bb.71:                               ;   in Loop: Header=BB151_70 Depth=4
	s_wait_loadcnt 0x0
	v_dual_mov_b32 v20, v16 :: v_dual_mov_b32 v21, v16
	v_dual_mov_b32 v18, v17 :: v_dual_mov_b32 v22, v17
	;; [unrolled: 1-line block ×3, first 2 shown]
	s_mov_b32 s48, s31
	s_mov_b32 s49, s47
.LBB151_72:                             ;   Parent Loop BB151_4 Depth=1
                                        ;     Parent Loop BB151_57 Depth=2
                                        ;       Parent Loop BB151_60 Depth=3
                                        ;         Parent Loop BB151_70 Depth=4
                                        ; =>        This Inner Loop Header: Depth=5
	s_delay_alu instid0(SALU_CYCLE_1)
	v_mov_b32_e32 v25, s49
	s_add_co_i32 s48, s48, -2
	s_add_co_i32 s49, s49, 16
	s_cmp_lg_u32 s48, 0
	ds_load_2addr_b64 v[26:29], v25 offset1:1
	ds_load_b128 v[30:33], v19
	s_wait_dscnt 0x0
	v_dual_mov_b32 v37, v28 :: v_dual_mov_b32 v35, v32
	v_dual_mov_b32 v28, v27 :: v_dual_mov_b32 v36, v26
	;; [unrolled: 1-line block ×3, first 2 shown]
	s_delay_alu instid0(VALU_DEP_2) | instskip(SKIP_1) | instid1(VALU_DEP_2)
	v_pk_mul_f32 v[26:27], v[28:29], v[22:23]
	v_pk_mul_f32 v[28:29], v[28:29], v[20:21]
	v_pk_fma_f32 v[26:27], v[36:37], v[20:21], v[26:27] neg_lo:[0,0,1] neg_hi:[0,0,1]
	s_delay_alu instid0(VALU_DEP_2) | instskip(NEXT) | instid1(VALU_DEP_2)
	v_pk_fma_f32 v[28:29], v[36:37], v[22:23], v[28:29]
	v_pk_add_f32 v[30:31], v[34:35], v[26:27] neg_lo:[0,1] neg_hi:[0,1]
	s_delay_alu instid0(VALU_DEP_1) | instskip(NEXT) | instid1(VALU_DEP_3)
	v_mov_b32_e32 v26, v30
	v_pk_add_f32 v[28:29], v[32:33], v[28:29] neg_lo:[0,1] neg_hi:[0,1]
	s_delay_alu instid0(VALU_DEP_1)
	v_dual_mov_b32 v27, v28 :: v_dual_mov_b32 v28, v31
	ds_store_b128 v19, v[26:29]
	v_add_nc_u32_e32 v19, 16, v19
	s_cbranch_scc1 .LBB151_72
; %bb.73:                               ;   in Loop: Header=BB151_70 Depth=4
	s_mov_b32 s48, s42
	s_mov_b32 s49, s31
	s_branch .LBB151_76
.LBB151_74:                             ;   in Loop: Header=BB151_70 Depth=4
	s_wait_loadcnt 0x0
	v_mov_b32_e32 v18, v17
	s_mov_b32 s48, 0
	s_mov_b32 s49, s31
	s_cbranch_execz .LBB151_76
; %bb.75:                               ;   in Loop: Header=BB151_70 Depth=4
	s_mov_b32 s48, -1
	s_mov_b32 s49, 0
.LBB151_76:                             ;   in Loop: Header=BB151_70 Depth=4
	s_and_not1_b32 vcc_lo, exec_lo, s48
	s_cbranch_vccnz .LBB151_69
; %bb.77:                               ;   in Loop: Header=BB151_70 Depth=4
	s_wait_xcnt 0x0
	v_dual_mov_b32 v19, v17 :: v_dual_mov_b32 v17, v16
	s_sub_co_i32 s48, s29, s49
	s_lshl_b32 s49, s49, 3
.LBB151_78:                             ;   Parent Loop BB151_4 Depth=1
                                        ;     Parent Loop BB151_57 Depth=2
                                        ;       Parent Loop BB151_60 Depth=3
                                        ;         Parent Loop BB151_70 Depth=4
                                        ; =>        This Inner Loop Header: Depth=5
	s_delay_alu instid0(SALU_CYCLE_1)
	s_add_co_i32 s50, s47, s49
	s_add_co_i32 s48, s48, -1
	v_dual_mov_b32 v20, s50 :: v_dual_add_nc_u32 v25, s49, v1
	s_add_co_i32 s49, s49, 8
	s_cmp_eq_u32 s48, 0
	ds_load_b64 v[20:21], v20
	ds_load_b64 v[22:23], v25
	s_wait_dscnt 0x1
	v_pk_mul_f32 v[26:27], v[20:21], v[18:19] op_sel:[1,0] op_sel_hi:[0,1]
	s_delay_alu instid0(VALU_DEP_1) | instskip(SKIP_1) | instid1(VALU_DEP_2)
	v_pk_fma_f32 v[28:29], v[20:21], v[16:17], v[26:27]
	v_pk_fma_f32 v[20:21], v[20:21], v[16:17], v[26:27] neg_lo:[0,0,1] neg_hi:[0,0,1]
	v_mov_b32_e32 v21, v29
	s_wait_dscnt 0x0
	s_delay_alu instid0(VALU_DEP_1)
	v_pk_add_f32 v[20:21], v[22:23], v[20:21] neg_lo:[0,1] neg_hi:[0,1]
	ds_store_b64 v25, v[20:21]
	s_cbranch_scc0 .LBB151_78
	s_branch .LBB151_69
.LBB151_79:                             ;   in Loop: Header=BB151_60 Depth=3
	s_mov_b32 s18, 0
	s_mov_b32 s47, s45
	s_branch .LBB151_81
.LBB151_80:                             ;   in Loop: Header=BB151_81 Depth=4
	s_add_co_i32 s48, s18, s14
	s_add_co_i32 s18, s18, 1
	s_mul_i32 s49, s48, 0x88
	s_add_co_i32 s47, s47, 8
	s_wait_xcnt 0x0
	v_mov_b32_e32 v17, s49
	s_ashr_i32 s49, s48, 31
	s_cmp_eq_u32 s18, s29
	ds_load_b64 v[20:21], v17
	s_wait_dscnt 0x0
	v_pk_mul_f32 v[22:23], v[20:21], v[18:19] op_sel:[1,0] op_sel_hi:[0,0]
	s_delay_alu instid0(VALU_DEP_1) | instskip(SKIP_2) | instid1(VALU_DEP_3)
	v_pk_fma_f32 v[26:27], v[20:21], v[16:17], v[22:23] op_sel_hi:[1,0,1]
	v_pk_fma_f32 v[16:17], v[20:21], v[16:17], v[22:23] neg_lo:[0,0,1] neg_hi:[0,0,1]
	v_lshl_add_u64 v[20:21], s[48:49], 3, v[12:13]
	v_mov_b32_e32 v17, v27
	ds_store_b64 v19, v[16:17]
	global_store_b64 v[20:21], v[16:17], off
	s_cbranch_scc1 .LBB151_59
.LBB151_81:                             ;   Parent Loop BB151_4 Depth=1
                                        ;     Parent Loop BB151_57 Depth=2
                                        ;       Parent Loop BB151_60 Depth=3
                                        ; =>      This Loop Header: Depth=4
                                        ;           Child Loop BB151_83 Depth 5
	v_lshl_add_u32 v19, s18, 3, v1
	s_cmp_lg_u32 s18, 0
	s_cbranch_scc0 .LBB151_85
; %bb.82:                               ;   in Loop: Header=BB151_81 Depth=4
	s_wait_xcnt 0x0
	ds_load_b64 v[16:17], v19
	v_mov_b32_e32 v18, v1
	s_mov_b32 s48, s47
	s_mov_b32 s49, s18
.LBB151_83:                             ;   Parent Loop BB151_4 Depth=1
                                        ;     Parent Loop BB151_57 Depth=2
                                        ;       Parent Loop BB151_60 Depth=3
                                        ;         Parent Loop BB151_81 Depth=4
                                        ; =>        This Inner Loop Header: Depth=5
	v_mov_b32_e32 v22, s48
	s_add_co_i32 s49, s49, -1
	s_addk_co_i32 s48, 0x80
	s_cmp_eq_u32 s49, 0
	ds_load_b64 v[20:21], v18
	ds_load_b64 v[22:23], v22
	v_add_nc_u32_e32 v18, 8, v18
	s_wait_dscnt 0x0
	v_pk_mul_f32 v[26:27], v[22:23], v[20:21] op_sel:[1,1] op_sel_hi:[0,1]
	s_delay_alu instid0(VALU_DEP_1) | instskip(SKIP_1) | instid1(VALU_DEP_2)
	v_pk_fma_f32 v[28:29], v[22:23], v[20:21], v[26:27] op_sel_hi:[1,0,1]
	v_pk_fma_f32 v[20:21], v[22:23], v[20:21], v[26:27] neg_lo:[0,0,1] neg_hi:[0,0,1]
	v_mov_b32_e32 v21, v29
	s_delay_alu instid0(VALU_DEP_1)
	v_pk_add_f32 v[16:17], v[16:17], v[20:21] neg_lo:[0,1] neg_hi:[0,1]
	ds_store_b64 v19, v[16:17]
	s_cbranch_scc0 .LBB151_83
; %bb.84:                               ;   in Loop: Header=BB151_81 Depth=4
	v_mov_b32_e32 v18, v17
	s_branch .LBB151_80
.LBB151_85:                             ;   in Loop: Header=BB151_81 Depth=4
                                        ; implicit-def: $vgpr16
                                        ; implicit-def: $vgpr18
	s_cbranch_execz .LBB151_80
; %bb.86:                               ;   in Loop: Header=BB151_81 Depth=4
	s_wait_xcnt 0x0
	ds_load_b64 v[16:17], v1
	s_wait_dscnt 0x0
	v_mov_b32_e32 v18, v17
	s_branch .LBB151_80
.LBB151_87:
	s_endpgm
	.section	.rodata,"a",@progbits
	.p2align	6, 0x0
	.amdhsa_kernel _ZL30rocblas_trsm_small_left_deviceILi16ELi16ELb1E19rocblas_complex_numIfES1_PKS1_PS1_Ev13rocblas_fill_18rocblas_operation_17rocblas_diagonal_iiT3_T4_lilT5_lili
		.amdhsa_group_segment_fixed_size 4096
		.amdhsa_private_segment_fixed_size 0
		.amdhsa_kernarg_size 360
		.amdhsa_user_sgpr_count 4
		.amdhsa_user_sgpr_dispatch_ptr 1
		.amdhsa_user_sgpr_queue_ptr 0
		.amdhsa_user_sgpr_kernarg_segment_ptr 1
		.amdhsa_user_sgpr_dispatch_id 0
		.amdhsa_user_sgpr_kernarg_preload_length 0
		.amdhsa_user_sgpr_kernarg_preload_offset 0
		.amdhsa_user_sgpr_private_segment_size 0
		.amdhsa_wavefront_size32 1
		.amdhsa_uses_dynamic_stack 0
		.amdhsa_enable_private_segment 0
		.amdhsa_system_sgpr_workgroup_id_x 1
		.amdhsa_system_sgpr_workgroup_id_y 0
		.amdhsa_system_sgpr_workgroup_id_z 1
		.amdhsa_system_sgpr_workgroup_info 0
		.amdhsa_system_vgpr_workitem_id 2
		.amdhsa_next_free_vgpr 38
		.amdhsa_next_free_sgpr 57
		.amdhsa_named_barrier_count 0
		.amdhsa_reserve_vcc 1
		.amdhsa_float_round_mode_32 0
		.amdhsa_float_round_mode_16_64 0
		.amdhsa_float_denorm_mode_32 3
		.amdhsa_float_denorm_mode_16_64 3
		.amdhsa_fp16_overflow 0
		.amdhsa_memory_ordered 1
		.amdhsa_forward_progress 1
		.amdhsa_inst_pref_size 32
		.amdhsa_round_robin_scheduling 0
		.amdhsa_exception_fp_ieee_invalid_op 0
		.amdhsa_exception_fp_denorm_src 0
		.amdhsa_exception_fp_ieee_div_zero 0
		.amdhsa_exception_fp_ieee_overflow 0
		.amdhsa_exception_fp_ieee_underflow 0
		.amdhsa_exception_fp_ieee_inexact 0
		.amdhsa_exception_int_div_zero 0
	.end_amdhsa_kernel
	.section	.text._ZL30rocblas_trsm_small_left_deviceILi16ELi16ELb1E19rocblas_complex_numIfES1_PKS1_PS1_Ev13rocblas_fill_18rocblas_operation_17rocblas_diagonal_iiT3_T4_lilT5_lili,"axG",@progbits,_ZL30rocblas_trsm_small_left_deviceILi16ELi16ELb1E19rocblas_complex_numIfES1_PKS1_PS1_Ev13rocblas_fill_18rocblas_operation_17rocblas_diagonal_iiT3_T4_lilT5_lili,comdat
.Lfunc_end151:
	.size	_ZL30rocblas_trsm_small_left_deviceILi16ELi16ELb1E19rocblas_complex_numIfES1_PKS1_PS1_Ev13rocblas_fill_18rocblas_operation_17rocblas_diagonal_iiT3_T4_lilT5_lili, .Lfunc_end151-_ZL30rocblas_trsm_small_left_deviceILi16ELi16ELb1E19rocblas_complex_numIfES1_PKS1_PS1_Ev13rocblas_fill_18rocblas_operation_17rocblas_diagonal_iiT3_T4_lilT5_lili
                                        ; -- End function
	.set _ZL30rocblas_trsm_small_left_deviceILi16ELi16ELb1E19rocblas_complex_numIfES1_PKS1_PS1_Ev13rocblas_fill_18rocblas_operation_17rocblas_diagonal_iiT3_T4_lilT5_lili.num_vgpr, 38
	.set _ZL30rocblas_trsm_small_left_deviceILi16ELi16ELb1E19rocblas_complex_numIfES1_PKS1_PS1_Ev13rocblas_fill_18rocblas_operation_17rocblas_diagonal_iiT3_T4_lilT5_lili.num_agpr, 0
	.set _ZL30rocblas_trsm_small_left_deviceILi16ELi16ELb1E19rocblas_complex_numIfES1_PKS1_PS1_Ev13rocblas_fill_18rocblas_operation_17rocblas_diagonal_iiT3_T4_lilT5_lili.numbered_sgpr, 57
	.set _ZL30rocblas_trsm_small_left_deviceILi16ELi16ELb1E19rocblas_complex_numIfES1_PKS1_PS1_Ev13rocblas_fill_18rocblas_operation_17rocblas_diagonal_iiT3_T4_lilT5_lili.num_named_barrier, 0
	.set _ZL30rocblas_trsm_small_left_deviceILi16ELi16ELb1E19rocblas_complex_numIfES1_PKS1_PS1_Ev13rocblas_fill_18rocblas_operation_17rocblas_diagonal_iiT3_T4_lilT5_lili.private_seg_size, 0
	.set _ZL30rocblas_trsm_small_left_deviceILi16ELi16ELb1E19rocblas_complex_numIfES1_PKS1_PS1_Ev13rocblas_fill_18rocblas_operation_17rocblas_diagonal_iiT3_T4_lilT5_lili.uses_vcc, 1
	.set _ZL30rocblas_trsm_small_left_deviceILi16ELi16ELb1E19rocblas_complex_numIfES1_PKS1_PS1_Ev13rocblas_fill_18rocblas_operation_17rocblas_diagonal_iiT3_T4_lilT5_lili.uses_flat_scratch, 0
	.set _ZL30rocblas_trsm_small_left_deviceILi16ELi16ELb1E19rocblas_complex_numIfES1_PKS1_PS1_Ev13rocblas_fill_18rocblas_operation_17rocblas_diagonal_iiT3_T4_lilT5_lili.has_dyn_sized_stack, 0
	.set _ZL30rocblas_trsm_small_left_deviceILi16ELi16ELb1E19rocblas_complex_numIfES1_PKS1_PS1_Ev13rocblas_fill_18rocblas_operation_17rocblas_diagonal_iiT3_T4_lilT5_lili.has_recursion, 0
	.set _ZL30rocblas_trsm_small_left_deviceILi16ELi16ELb1E19rocblas_complex_numIfES1_PKS1_PS1_Ev13rocblas_fill_18rocblas_operation_17rocblas_diagonal_iiT3_T4_lilT5_lili.has_indirect_call, 0
	.section	.AMDGPU.csdata,"",@progbits
; Kernel info:
; codeLenInByte = 4008
; TotalNumSgprs: 59
; NumVgprs: 38
; ScratchSize: 0
; MemoryBound: 0
; FloatMode: 240
; IeeeMode: 1
; LDSByteSize: 4096 bytes/workgroup (compile time only)
; SGPRBlocks: 0
; VGPRBlocks: 2
; NumSGPRsForWavesPerEU: 59
; NumVGPRsForWavesPerEU: 38
; NamedBarCnt: 0
; Occupancy: 16
; WaveLimiterHint : 0
; COMPUTE_PGM_RSRC2:SCRATCH_EN: 0
; COMPUTE_PGM_RSRC2:USER_SGPR: 4
; COMPUTE_PGM_RSRC2:TRAP_HANDLER: 0
; COMPUTE_PGM_RSRC2:TGID_X_EN: 1
; COMPUTE_PGM_RSRC2:TGID_Y_EN: 0
; COMPUTE_PGM_RSRC2:TGID_Z_EN: 1
; COMPUTE_PGM_RSRC2:TIDIG_COMP_CNT: 2
	.section	.text._ZL31rocblas_trsm_small_right_deviceI19rocblas_complex_numIfES1_PKS1_PS1_Li16EEv13rocblas_fill_18rocblas_operation_17rocblas_diagonal_iiT0_T1_lilT2_lili,"axG",@progbits,_ZL31rocblas_trsm_small_right_deviceI19rocblas_complex_numIfES1_PKS1_PS1_Li16EEv13rocblas_fill_18rocblas_operation_17rocblas_diagonal_iiT0_T1_lilT2_lili,comdat
	.globl	_ZL31rocblas_trsm_small_right_deviceI19rocblas_complex_numIfES1_PKS1_PS1_Li16EEv13rocblas_fill_18rocblas_operation_17rocblas_diagonal_iiT0_T1_lilT2_lili ; -- Begin function _ZL31rocblas_trsm_small_right_deviceI19rocblas_complex_numIfES1_PKS1_PS1_Li16EEv13rocblas_fill_18rocblas_operation_17rocblas_diagonal_iiT0_T1_lilT2_lili
	.p2align	8
	.type	_ZL31rocblas_trsm_small_right_deviceI19rocblas_complex_numIfES1_PKS1_PS1_Li16EEv13rocblas_fill_18rocblas_operation_17rocblas_diagonal_iiT0_T1_lilT2_lili,@function
_ZL31rocblas_trsm_small_right_deviceI19rocblas_complex_numIfES1_PKS1_PS1_Li16EEv13rocblas_fill_18rocblas_operation_17rocblas_diagonal_iiT0_T1_lilT2_lili: ; @_ZL31rocblas_trsm_small_right_deviceI19rocblas_complex_numIfES1_PKS1_PS1_Li16EEv13rocblas_fill_18rocblas_operation_17rocblas_diagonal_iiT0_T1_lilT2_lili
; %bb.0:
	s_load_b32 s33, s[0:1], 0x60
	s_bfe_u32 s2, ttmp6, 0x40014
	s_lshr_b32 s4, ttmp7, 16
	s_add_co_i32 s2, s2, 1
	s_bfe_u32 s5, ttmp6, 0x40008
	s_mul_i32 s2, s4, s2
	s_getreg_b32 s3, hwreg(HW_REG_IB_STS2, 6, 4)
	s_add_co_i32 s5, s5, s2
	s_cmp_eq_u32 s3, 0
	s_mov_b32 s19, 0
	s_cselect_b32 s2, s4, s5
	s_wait_kmcnt 0x0
	s_cmp_ge_u32 s2, s33
	s_cbranch_scc1 .LBB152_155
; %bb.1:
	s_clause 0x7
	s_load_b96 s[20:22], s[0:1], 0x48
	s_load_b32 s26, s[0:1], 0x30
	s_load_b128 s[12:15], s[0:1], 0x0
	s_load_b96 s[16:18], s[0:1], 0x10
	s_load_b32 s23, s[0:1], 0x68
	s_load_b128 s[8:11], s[0:1], 0x20
	s_load_b128 s[4:7], s[0:1], 0x38
	s_load_b64 s[24:25], s[0:1], 0x58
	v_dual_mov_b32 v7, 0 :: v_dual_lshlrev_b32 v4, 3, v0
	v_lshlrev_b32_e32 v1, 7, v0
	v_mov_b64_e32 v[14:15], 0x3f800000
	v_lshlrev_b32_e32 v6, 3, v0
	s_delay_alu instid0(VALU_DEP_4) | instskip(NEXT) | instid1(VALU_DEP_4)
	v_or_b32_e32 v24, 0x800, v4
	v_dual_mov_b32 v5, v7 :: v_dual_add_nc_u32 v26, v4, v1
	s_wait_kmcnt 0x0
	s_ashr_i32 s29, s22, 31
	s_mov_b32 s28, s22
	s_ashr_i32 s27, s26, 31
	s_cmp_eq_u64 s[28:29], 1
	s_mov_b32 s22, s17
	s_cselect_b32 s34, -1, 0
	s_lshl_b64 s[0:1], s[20:21], 3
	s_cmp_lg_u32 s12, 0x7a
	s_cselect_b32 s35, -1, 0
	s_cmp_lg_u32 s13, 0x71
	s_cselect_b32 s36, -1, 0
	s_bfe_u32 s20, ttmp6, 0x4000c
	s_min_i32 s37, s16, 16
	s_add_co_i32 s20, s20, 1
	s_and_b32 s21, ttmp6, 15
	s_mul_i32 s20, ttmp9, s20
	s_add_co_i32 s23, s23, -1
	s_add_co_i32 s38, s37, -1
	s_add_co_i32 s21, s21, s20
	s_cmp_eq_u32 s3, 0
	s_mov_b32 s20, s17
	s_cselect_b32 s30, ttmp9, s21
	s_mov_b32 s21, s18
	s_lshl_b32 s3, s30, 4
	s_delay_alu instid0(SALU_CYCLE_1)
	s_sub_co_i32 s3, s15, s3
	s_cmp_ge_u32 s30, s23
	s_mov_b32 s23, s17
	s_cselect_b32 s3, s3, 16
	s_ashr_i32 s31, s30, 31
	v_cmp_gt_i32_e32 vcc_lo, s3, v0
	s_lshl_b64 s[30:31], s[30:31], 7
	s_cmp_eq_u32 s14, 0x84
	s_mov_b32 s14, s18
	s_cselect_b32 s39, -1, 0
	s_cmp_gt_i32 s16, 0
	s_mov_b32 s15, s18
	s_cselect_b32 s43, -1, 0
	s_cmp_lg_u32 s13, 0x6f
	s_cselect_b32 s13, -1, 0
	s_cmp_lg_u32 s12, 0x79
	s_mov_b32 s12, s18
	s_cselect_b32 s3, -1, 0
	s_or_b32 s40, s35, s13
	s_or_b32 s41, s3, s13
	s_cmp_gt_i32 s16, 3
	v_cndmask_b32_e64 v25, 0, 1, s3
	s_cselect_b32 s42, -1, 0
	s_and_b32 s43, vcc_lo, s43
	s_cmp_gt_u32 s16, 1
	s_mov_b32 s13, s17
	s_cselect_b32 s3, -1, 0
	s_and_b32 s17, s16, 0x7ffffffe
	s_and_b32 s44, s3, s34
	s_cmp_lg_u32 s16, s17
	s_add_nc_u64 s[34:35], s[6:7], s[0:1]
	s_cselect_b32 s45, -1, 0
	s_lshl_b64 s[10:11], s[10:11], 3
	s_add_nc_u64 s[0:1], s[30:31], s[0:1]
	s_add_nc_u64 s[8:9], s[8:9], s[10:11]
	;; [unrolled: 1-line block ×3, first 2 shown]
	v_add_nc_u64_e32 v[2:3], s[8:9], v[4:5]
	v_add_nc_u64_e32 v[8:9], s[6:7], v[4:5]
	s_lshl_b32 s46, s37, 7
	v_cmp_gt_i32_e64 s0, s37, v0
	s_mul_i32 s1, s37, 0x88
	s_lshl_b32 s48, s37, 3
	s_add_nc_u64 s[6:7], s[34:35], s[30:31]
	v_add_nc_u64_e32 v[10:11], 4, v[2:3]
	v_or_b32_e32 v2, s46, v4
	v_add_nc_u64_e32 v[12:13], 4, v[8:9]
	s_lshl_b64 s[4:5], s[4:5], 3
	s_lshl_b64 s[8:9], s[26:27], 3
	;; [unrolled: 1-line block ×3, first 2 shown]
	v_add_nc_u32_e32 v5, 0x780, v2
	s_lshl_b64 s[26:27], s[24:25], 3
	s_addk_co_i32 s46, 0xff80
	s_add_co_i32 s47, s1, 0xfffffdf8
	s_add_co_i32 s48, s48, -8
	s_branch .LBB152_3
.LBB152_2:                              ;   in Loop: Header=BB152_3 Depth=1
	s_or_b32 exec_lo, exec_lo, s3
	s_add_co_i32 s2, s2, 0x10000
	s_delay_alu instid0(SALU_CYCLE_1)
	s_cmp_lt_u32 s2, s33
	s_cbranch_scc0 .LBB152_155
.LBB152_3:                              ; =>This Loop Header: Depth=1
                                        ;     Child Loop BB152_6 Depth 2
                                        ;     Child Loop BB152_15 Depth 2
	;; [unrolled: 1-line block ×4, first 2 shown]
                                        ;       Child Loop BB152_26 Depth 3
                                        ;     Child Loop BB152_48 Depth 2
                                        ;       Child Loop BB152_49 Depth 3
                                        ;     Child Loop BB152_57 Depth 2
	;; [unrolled: 2-line block ×8, first 2 shown]
	s_mov_b32 s3, s19
	s_and_saveexec_b32 s18, s0
	s_cbranch_execz .LBB152_12
; %bb.4:                                ;   in Loop: Header=BB152_3 Depth=1
	v_mad_nc_u64_u32 v[0:1], s4, s2, v[10:11]
	v_mov_b32_e32 v16, v4
	s_mov_b32 s28, s37
	s_delay_alu instid0(VALU_DEP_2)
	v_mad_u32 v1, s5, s2, v1
	s_branch .LBB152_6
.LBB152_5:                              ;   in Loop: Header=BB152_6 Depth=2
	global_load_b32 v2, v[0:1], off offset:-4
	s_wait_xcnt 0x0
	v_add_nc_u64_e32 v[0:1], s[8:9], v[0:1]
	s_add_co_i32 s28, s28, -1
	s_delay_alu instid0(SALU_CYCLE_1)
	s_cmp_eq_u32 s28, 0
	s_wait_loadcnt 0x0
	ds_store_b64 v16, v[2:3]
	v_add_nc_u32_e32 v16, 0x80, v16
	s_cbranch_scc1 .LBB152_10
.LBB152_6:                              ;   Parent Loop BB152_3 Depth=1
                                        ; =>  This Inner Loop Header: Depth=2
	s_and_b32 vcc_lo, exec_lo, s36
	s_mov_b32 s29, -1
                                        ; implicit-def: $vgpr3
	s_cbranch_vccz .LBB152_8
; %bb.7:                                ;   in Loop: Header=BB152_6 Depth=2
	global_load_b32 v3, v[0:1], off
	s_mov_b32 s29, 0
.LBB152_8:                              ;   in Loop: Header=BB152_6 Depth=2
	s_delay_alu instid0(SALU_CYCLE_1)
	s_and_not1_b32 vcc_lo, exec_lo, s29
	s_cbranch_vccnz .LBB152_5
; %bb.9:                                ;   in Loop: Header=BB152_6 Depth=2
	global_load_b32 v2, v[0:1], off
	s_wait_loadcnt 0x0
	v_xor_b32_e32 v3, 0x80000000, v2
	s_branch .LBB152_5
.LBB152_10:                             ;   in Loop: Header=BB152_3 Depth=1
	s_and_b32 vcc_lo, exec_lo, s39
	s_cbranch_vccz .LBB152_12
; %bb.11:                               ;   in Loop: Header=BB152_3 Depth=1
	ds_store_b64 v26, v[14:15]
.LBB152_12:                             ;   in Loop: Header=BB152_3 Depth=1
	s_or_b32 exec_lo, exec_lo, s18
	s_mul_u64 s[28:29], s[26:27], s[2:3]
	s_and_saveexec_b32 s49, s43
	s_cbranch_execz .LBB152_20
; %bb.13:                               ;   in Loop: Header=BB152_3 Depth=1
	s_and_not1_b32 vcc_lo, exec_lo, s44
	s_cbranch_vccnz .LBB152_17
; %bb.14:                               ;   in Loop: Header=BB152_3 Depth=1
	s_mul_u64 s[30:31], s[24:25], s[2:3]
	s_mov_b32 s18, 0
	s_lshl_b64 s[30:31], s[30:31], 3
	s_mov_b32 s3, s17
	s_add_nc_u64 s[30:31], s[6:7], s[30:31]
	s_delay_alu instid0(SALU_CYCLE_1)
	v_add_nc_u64_e32 v[0:1], s[30:31], v[6:7]
	s_mov_b32 s30, 1
.LBB152_15:                             ;   Parent Loop BB152_3 Depth=1
                                        ; =>  This Inner Loop Header: Depth=2
	s_mov_b32 s31, s19
	s_delay_alu instid0(VALU_DEP_1)
	v_lshl_add_u64 v[2:3], s[18:19], 3, v[0:1]
	v_lshl_add_u64 v[16:17], s[30:31], 3, v[0:1]
	v_lshl_add_u32 v27, s18, 7, v24
	v_lshl_add_u32 v28, s30, 7, v24
	s_add_co_i32 s3, s3, -2
	s_clause 0x1
	global_load_b64 v[18:19], v[2:3], off
	global_load_b64 v[20:21], v[16:17], off
	s_wait_xcnt 0x1
	v_mov_b64_e32 v[2:3], s[14:15]
	s_wait_xcnt 0x0
	v_mov_b64_e32 v[16:17], s[22:23]
	s_add_co_i32 s18, s18, 2
	s_add_co_i32 s30, s30, 2
	s_mov_b32 s34, s17
	s_mov_b32 s31, s45
	s_cmp_lg_u32 s3, 0
	s_wait_loadcnt 0x0
	v_dual_mov_b32 v22, v18 :: v_dual_mov_b32 v23, v20
	v_mov_b32_e32 v20, v19
	s_delay_alu instid0(VALU_DEP_1) | instskip(SKIP_1) | instid1(VALU_DEP_2)
	v_pk_mul_f32 v[18:19], v[2:3], v[20:21]
	v_pk_mul_f32 v[20:21], v[16:17], v[20:21]
	v_pk_fma_f32 v[16:17], v[16:17], v[22:23], v[18:19] neg_lo:[0,0,1] neg_hi:[0,0,1]
	s_delay_alu instid0(VALU_DEP_2)
	v_pk_fma_f32 v[2:3], v[2:3], v[22:23], v[20:21]
	ds_store_b32 v27, v16
	ds_store_b32 v28, v17
	ds_store_b32 v27, v2 offset:4
	ds_store_b32 v28, v3 offset:4
	s_cbranch_scc1 .LBB152_15
; %bb.16:                               ;   in Loop: Header=BB152_3 Depth=1
	s_and_b32 vcc_lo, exec_lo, s31
	s_cbranch_vccnz .LBB152_18
	s_branch .LBB152_20
.LBB152_17:                             ;   in Loop: Header=BB152_3 Depth=1
	s_mov_b32 s34, 0
	s_cbranch_execz .LBB152_20
.LBB152_18:                             ;   in Loop: Header=BB152_3 Depth=1
	s_mov_b32 s35, s19
	v_lshl_add_u32 v2, s34, 7, v24
	s_mul_u64 s[30:31], s[10:11], s[34:35]
	s_sub_co_i32 s3, s16, s34
	s_add_nc_u64 s[30:31], s[30:31], s[28:29]
	s_delay_alu instid0(SALU_CYCLE_1)
	v_add_nc_u64_e32 v[0:1], s[30:31], v[12:13]
.LBB152_19:                             ;   Parent Loop BB152_3 Depth=1
                                        ; =>  This Inner Loop Header: Depth=2
	global_load_b64 v[16:17], v[0:1], off offset:-4
	v_mov_b64_e32 v[18:19], s[12:13]
	v_mov_b64_e32 v[20:21], s[20:21]
	s_wait_xcnt 0x0
	v_add_nc_u64_e32 v[0:1], s[10:11], v[0:1]
	s_add_co_i32 s3, s3, -1
	s_delay_alu instid0(SALU_CYCLE_1) | instskip(SKIP_2) | instid1(VALU_DEP_1)
	s_cmp_lg_u32 s3, 0
	s_wait_loadcnt 0x0
	v_pk_mul_f32 v[18:19], v[18:19], v[16:17] op_sel:[0,1]
	v_pk_fma_f32 v[22:23], v[20:21], v[16:17], v[18:19] op_sel_hi:[1,0,1]
	v_pk_fma_f32 v[16:17], v[20:21], v[16:17], v[18:19] neg_lo:[0,0,1] neg_hi:[0,0,1]
	s_delay_alu instid0(VALU_DEP_2)
	v_mov_b32_e32 v17, v23
	ds_store_b64 v2, v[16:17]
	v_add_nc_u32_e32 v2, 0x80, v2
	s_cbranch_scc1 .LBB152_19
.LBB152_20:                             ;   in Loop: Header=BB152_3 Depth=1
	s_or_b32 exec_lo, exec_lo, s49
	s_delay_alu instid0(SALU_CYCLE_1)
	s_and_b32 vcc_lo, exec_lo, s41
	s_mov_b32 s3, -1
	s_wait_dscnt 0x0
	; wave barrier
	s_cbranch_vccz .LBB152_120
; %bb.21:                               ;   in Loop: Header=BB152_3 Depth=1
	s_and_b32 vcc_lo, exec_lo, s40
	s_cbranch_vccz .LBB152_87
; %bb.22:                               ;   in Loop: Header=BB152_3 Depth=1
	v_cmp_ne_u32_e32 vcc_lo, 1, v25
	s_cbranch_vccnz .LBB152_55
; %bb.23:                               ;   in Loop: Header=BB152_3 Depth=1
	s_and_not1_b32 vcc_lo, exec_lo, s42
	s_mov_b32 s30, 0
	s_cbranch_vccnz .LBB152_45
; %bb.24:                               ;   in Loop: Header=BB152_3 Depth=1
	s_mov_b32 s3, 0
	s_mov_b32 s18, 0
.LBB152_25:                             ;   Parent Loop BB152_3 Depth=1
                                        ; =>  This Loop Header: Depth=2
                                        ;       Child Loop BB152_26 Depth 3
	s_delay_alu instid0(SALU_CYCLE_1) | instskip(SKIP_3) | instid1(SALU_CYCLE_1)
	s_lshl_b32 s34, s18, 7
	s_or_b32 s35, s18, 1
	s_or_b32 s30, s18, 2
	s_or_b32 s31, s34, 0x180
	v_dual_add_nc_u32 v30, s34, v24 :: v_dual_add_nc_u32 v27, s31, v24
	v_lshl_add_u32 v29, s35, 7, v24
	v_lshl_add_u32 v28, s30, 7, v24
	ds_load_b64 v[0:1], v30
	ds_load_b64 v[22:23], v29
	;; [unrolled: 1-line block ×4, first 2 shown]
	v_mov_b32_e32 v2, v24
	s_cmp_eq_u32 s18, 0
	s_mov_b32 s31, s3
	s_mov_b32 s49, s18
	s_cbranch_scc1 .LBB152_27
.LBB152_26:                             ;   Parent Loop BB152_3 Depth=1
                                        ;     Parent Loop BB152_25 Depth=2
                                        ; =>    This Inner Loop Header: Depth=3
	v_mov_b32_e32 v3, s31
	s_add_co_i32 s49, s49, -1
	s_addk_co_i32 s31, 0x80
	s_cmp_eq_u32 s49, 0
	ds_load_b64 v[20:21], v2
	ds_load_b128 v[32:35], v3
	ds_load_b128 v[36:39], v3 offset:16
	s_wait_dscnt 0x1
	v_dual_mul_f32 v3, v33, v21 :: v_dual_add_nc_u32 v2, 0x80, v2
	v_dual_mul_f32 v31, v32, v21 :: v_dual_mul_f32 v44, v35, v21
	v_mul_f32_e32 v45, v35, v20
	s_wait_dscnt 0x0
	v_pk_mul_f32 v[40:41], v[36:37], v[20:21] op_sel:[0,1]
	v_pk_mul_f32 v[42:43], v[38:39], v[20:21] op_sel:[0,1]
	v_dual_fma_f32 v3, v32, v20, -v3 :: v_dual_fma_f32 v44, v34, v20, -v44
	v_dual_fmac_f32 v31, v33, v20 :: v_dual_fmac_f32 v45, v34, v21
	s_delay_alu instid0(VALU_DEP_4) | instskip(NEXT) | instid1(VALU_DEP_4)
	v_pk_fma_f32 v[32:33], v[36:37], v[20:21], v[40:41] op_sel:[0,0,1] op_sel_hi:[1,0,0]
	v_pk_fma_f32 v[34:35], v[38:39], v[20:21], v[42:43] op_sel:[0,0,1] op_sel_hi:[1,0,0]
	v_pk_fma_f32 v[36:37], v[36:37], v[20:21], v[40:41] op_sel:[0,0,1] op_sel_hi:[1,1,0] neg_lo:[0,0,1] neg_hi:[0,0,1]
	v_pk_fma_f32 v[20:21], v[38:39], v[20:21], v[42:43] op_sel:[0,0,1] op_sel_hi:[1,1,0] neg_lo:[0,0,1] neg_hi:[0,0,1]
	s_delay_alu instid0(VALU_DEP_4) | instskip(NEXT) | instid1(VALU_DEP_4)
	v_dual_sub_f32 v0, v0, v3 :: v_dual_mov_b32 v37, v33
	v_dual_mov_b32 v21, v35 :: v_dual_sub_f32 v1, v1, v31
	v_dual_sub_f32 v22, v22, v44 :: v_dual_sub_f32 v23, v23, v45
	s_delay_alu instid0(VALU_DEP_3) | instskip(NEXT) | instid1(VALU_DEP_3)
	v_pk_add_f32 v[18:19], v[18:19], v[36:37] neg_lo:[0,1] neg_hi:[0,1]
	v_pk_add_f32 v[16:17], v[16:17], v[20:21] neg_lo:[0,1] neg_hi:[0,1]
	s_cbranch_scc0 .LBB152_26
.LBB152_27:                             ;   in Loop: Header=BB152_25 Depth=2
	s_lshl_b32 s31, s18, 3
	s_mov_b32 s49, -1
	s_add_co_i32 s34, s31, s34
	s_delay_alu instid0(SALU_CYCLE_1) | instskip(SKIP_4) | instid1(VALU_DEP_1)
	v_mov_b32_e32 v2, s34
	ds_load_b64 v[2:3], v2
	s_wait_dscnt 0x0
	v_and_b32_e32 v20, 0x7fffffff, v2
	v_and_b32_e32 v21, 0x7fffffff, v3
	v_cmp_ngt_f32_e32 vcc_lo, v20, v21
                                        ; implicit-def: $vgpr21
	s_cbranch_vccz .LBB152_29
; %bb.28:                               ;   in Loop: Header=BB152_25 Depth=2
	v_div_scale_f32 v20, null, v3, v3, v2
	v_div_scale_f32 v32, vcc_lo, v2, v3, v2
	s_mov_b32 s49, 0
	v_rcp_f32_e32 v21, v20
	v_nop
	v_xor_b32_e32 v20, 0x80000000, v20
	s_delay_alu instid0(TRANS32_DEP_1) | instid1(VALU_DEP_1)
	v_fma_f32 v31, v20, v21, 1.0
	s_delay_alu instid0(VALU_DEP_1) | instskip(NEXT) | instid1(VALU_DEP_1)
	v_fmac_f32_e32 v21, v31, v21
	v_mul_f32_e32 v31, v32, v21
	s_delay_alu instid0(VALU_DEP_1) | instskip(NEXT) | instid1(VALU_DEP_1)
	v_fma_f32 v33, v20, v31, v32
	v_fmac_f32_e32 v31, v33, v21
	s_delay_alu instid0(VALU_DEP_1) | instskip(NEXT) | instid1(VALU_DEP_1)
	v_fmac_f32_e32 v32, v20, v31
	v_div_fmas_f32 v20, v32, v21, v31
	s_delay_alu instid0(VALU_DEP_1) | instskip(NEXT) | instid1(VALU_DEP_1)
	v_div_fixup_f32 v20, v20, v3, v2
	v_fma_f32 v21, v2, v20, v3
	s_delay_alu instid0(VALU_DEP_1) | instskip(SKIP_1) | instid1(VALU_DEP_2)
	v_div_scale_f32 v31, null, v21, v21, 1.0
	v_div_scale_f32 v34, vcc_lo, 1.0, v21, 1.0
	v_rcp_f32_e32 v32, v31
	v_nop
	v_xor_b32_e32 v31, 0x80000000, v31
	s_delay_alu instid0(TRANS32_DEP_1) | instid1(VALU_DEP_1)
	v_fma_f32 v33, v31, v32, 1.0
	s_delay_alu instid0(VALU_DEP_1) | instskip(NEXT) | instid1(VALU_DEP_1)
	v_fmac_f32_e32 v32, v33, v32
	v_mul_f32_e32 v33, v34, v32
	s_delay_alu instid0(VALU_DEP_1) | instskip(NEXT) | instid1(VALU_DEP_1)
	v_fma_f32 v35, v31, v33, v34
	v_fmac_f32_e32 v33, v35, v32
	s_delay_alu instid0(VALU_DEP_1) | instskip(NEXT) | instid1(VALU_DEP_1)
	v_fmac_f32_e32 v34, v31, v33
	v_div_fmas_f32 v31, v34, v32, v33
	v_fma_f32 v32, v0, v20, v1
	s_delay_alu instid0(VALU_DEP_2) | instskip(NEXT) | instid1(VALU_DEP_1)
	v_div_fixup_f32 v21, v31, v21, 1.0
	v_dual_fma_f32 v31, v1, v20, -v0 :: v_dual_mul_f32 v20, v32, v21
	s_delay_alu instid0(VALU_DEP_1)
	v_mul_f32_e32 v21, v31, v21
.LBB152_29:                             ;   in Loop: Header=BB152_25 Depth=2
	s_and_not1_b32 vcc_lo, exec_lo, s49
	s_cbranch_vccnz .LBB152_31
; %bb.30:                               ;   in Loop: Header=BB152_25 Depth=2
	v_div_scale_f32 v20, null, v2, v2, v3
	v_div_scale_f32 v32, vcc_lo, v3, v2, v3
	s_delay_alu instid0(VALU_DEP_2)
	v_rcp_f32_e32 v21, v20
	v_nop
	v_xor_b32_e32 v20, 0x80000000, v20
	s_delay_alu instid0(TRANS32_DEP_1) | instid1(VALU_DEP_1)
	v_fma_f32 v31, v20, v21, 1.0
	s_delay_alu instid0(VALU_DEP_1) | instskip(NEXT) | instid1(VALU_DEP_1)
	v_fmac_f32_e32 v21, v31, v21
	v_mul_f32_e32 v31, v32, v21
	s_delay_alu instid0(VALU_DEP_1) | instskip(NEXT) | instid1(VALU_DEP_1)
	v_fma_f32 v33, v20, v31, v32
	v_fmac_f32_e32 v31, v33, v21
	s_delay_alu instid0(VALU_DEP_1) | instskip(NEXT) | instid1(VALU_DEP_1)
	v_fmac_f32_e32 v32, v20, v31
	v_div_fmas_f32 v20, v32, v21, v31
	s_delay_alu instid0(VALU_DEP_1) | instskip(NEXT) | instid1(VALU_DEP_1)
	v_div_fixup_f32 v20, v20, v2, v3
	v_fmac_f32_e32 v2, v3, v20
	s_delay_alu instid0(VALU_DEP_1) | instskip(SKIP_1) | instid1(VALU_DEP_2)
	v_div_scale_f32 v3, null, v2, v2, 1.0
	v_div_scale_f32 v32, vcc_lo, 1.0, v2, 1.0
	v_rcp_f32_e32 v21, v3
	v_nop
	v_xor_b32_e32 v3, 0x80000000, v3
	s_delay_alu instid0(TRANS32_DEP_1) | instid1(VALU_DEP_1)
	v_fma_f32 v31, v3, v21, 1.0
	s_delay_alu instid0(VALU_DEP_1) | instskip(NEXT) | instid1(VALU_DEP_1)
	v_fmac_f32_e32 v21, v31, v21
	v_mul_f32_e32 v31, v32, v21
	s_delay_alu instid0(VALU_DEP_1) | instskip(NEXT) | instid1(VALU_DEP_1)
	v_fma_f32 v33, v3, v31, v32
	v_fmac_f32_e32 v31, v33, v21
	s_delay_alu instid0(VALU_DEP_1) | instskip(NEXT) | instid1(VALU_DEP_1)
	v_fmac_f32_e32 v32, v3, v31
	v_div_fmas_f32 v3, v32, v21, v31
	v_dual_fma_f32 v21, v1, v20, v0 :: v_dual_fma_f32 v0, -v0, v20, v1
	s_delay_alu instid0(VALU_DEP_2) | instskip(NEXT) | instid1(VALU_DEP_1)
	v_div_fixup_f32 v2, v3, v2, 1.0
	v_dual_mul_f32 v20, v21, v2 :: v_dual_mul_f32 v21, v0, v2
.LBB152_31:                             ;   in Loop: Header=BB152_25 Depth=2
	v_mov_b32_e32 v0, s34
	s_mov_b32 s49, -1
	ds_store_b64 v30, v[20:21]
	ds_load_2addr_b64 v[0:3], v0 offset0:1 offset1:17
	s_wait_dscnt 0x0
	v_dual_mul_f32 v31, v21, v1 :: v_dual_mul_f32 v1, v20, v1
	v_and_b32_e32 v32, 0x7fffffff, v2
	v_and_b32_e32 v33, 0x7fffffff, v3
	s_delay_alu instid0(VALU_DEP_3) | instskip(NEXT) | instid1(VALU_DEP_2)
	v_dual_fma_f32 v31, v20, v0, -v31 :: v_dual_fmac_f32 v1, v21, v0
	v_cmp_ngt_f32_e32 vcc_lo, v32, v33
	s_delay_alu instid0(VALU_DEP_2)
	v_dual_sub_f32 v0, v22, v31 :: v_dual_sub_f32 v1, v23, v1
                                        ; implicit-def: $vgpr23
	s_cbranch_vccz .LBB152_33
; %bb.32:                               ;   in Loop: Header=BB152_25 Depth=2
	v_div_scale_f32 v22, null, v3, v3, v2
	v_div_scale_f32 v31, vcc_lo, v2, v3, v2
	s_mov_b32 s49, 0
	v_rcp_f32_e32 v23, v22
	v_nop
	v_xor_b32_e32 v22, 0x80000000, v22
	s_delay_alu instid0(TRANS32_DEP_1) | instid1(VALU_DEP_1)
	v_fma_f32 v30, v22, v23, 1.0
	s_delay_alu instid0(VALU_DEP_1) | instskip(NEXT) | instid1(VALU_DEP_1)
	v_fmac_f32_e32 v23, v30, v23
	v_mul_f32_e32 v30, v31, v23
	s_delay_alu instid0(VALU_DEP_1) | instskip(NEXT) | instid1(VALU_DEP_1)
	v_fma_f32 v32, v22, v30, v31
	v_fmac_f32_e32 v30, v32, v23
	s_delay_alu instid0(VALU_DEP_1) | instskip(NEXT) | instid1(VALU_DEP_1)
	v_fmac_f32_e32 v31, v22, v30
	v_div_fmas_f32 v22, v31, v23, v30
	s_delay_alu instid0(VALU_DEP_1) | instskip(NEXT) | instid1(VALU_DEP_1)
	v_div_fixup_f32 v22, v22, v3, v2
	v_fma_f32 v23, v2, v22, v3
	s_delay_alu instid0(VALU_DEP_1) | instskip(SKIP_1) | instid1(VALU_DEP_2)
	v_div_scale_f32 v30, null, v23, v23, 1.0
	v_div_scale_f32 v33, vcc_lo, 1.0, v23, 1.0
	v_rcp_f32_e32 v31, v30
	v_nop
	v_xor_b32_e32 v30, 0x80000000, v30
	s_delay_alu instid0(TRANS32_DEP_1) | instid1(VALU_DEP_1)
	v_fma_f32 v32, v30, v31, 1.0
	s_delay_alu instid0(VALU_DEP_1) | instskip(NEXT) | instid1(VALU_DEP_1)
	v_fmac_f32_e32 v31, v32, v31
	v_mul_f32_e32 v32, v33, v31
	s_delay_alu instid0(VALU_DEP_1) | instskip(NEXT) | instid1(VALU_DEP_1)
	v_fma_f32 v34, v30, v32, v33
	v_fmac_f32_e32 v32, v34, v31
	s_delay_alu instid0(VALU_DEP_1) | instskip(NEXT) | instid1(VALU_DEP_1)
	v_fmac_f32_e32 v33, v30, v32
	v_div_fmas_f32 v30, v33, v31, v32
	v_fma_f32 v31, v22, v0, v1
	s_delay_alu instid0(VALU_DEP_2) | instskip(NEXT) | instid1(VALU_DEP_1)
	v_div_fixup_f32 v23, v30, v23, 1.0
	v_dual_fma_f32 v30, v22, v1, -v0 :: v_dual_mul_f32 v22, v31, v23
	s_delay_alu instid0(VALU_DEP_1)
	v_mul_f32_e32 v23, v30, v23
.LBB152_33:                             ;   in Loop: Header=BB152_25 Depth=2
	s_and_not1_b32 vcc_lo, exec_lo, s49
	s_cbranch_vccnz .LBB152_35
; %bb.34:                               ;   in Loop: Header=BB152_25 Depth=2
	v_div_scale_f32 v22, null, v2, v2, v3
	v_div_scale_f32 v31, vcc_lo, v3, v2, v3
	s_delay_alu instid0(VALU_DEP_2)
	v_rcp_f32_e32 v23, v22
	v_nop
	v_xor_b32_e32 v22, 0x80000000, v22
	s_delay_alu instid0(TRANS32_DEP_1) | instid1(VALU_DEP_1)
	v_fma_f32 v30, v22, v23, 1.0
	s_delay_alu instid0(VALU_DEP_1) | instskip(NEXT) | instid1(VALU_DEP_1)
	v_fmac_f32_e32 v23, v30, v23
	v_mul_f32_e32 v30, v31, v23
	s_delay_alu instid0(VALU_DEP_1) | instskip(NEXT) | instid1(VALU_DEP_1)
	v_fma_f32 v32, v22, v30, v31
	v_fmac_f32_e32 v30, v32, v23
	s_delay_alu instid0(VALU_DEP_1) | instskip(NEXT) | instid1(VALU_DEP_1)
	v_fmac_f32_e32 v31, v22, v30
	v_div_fmas_f32 v22, v31, v23, v30
	s_delay_alu instid0(VALU_DEP_1) | instskip(NEXT) | instid1(VALU_DEP_1)
	v_div_fixup_f32 v22, v22, v2, v3
	v_fmac_f32_e32 v2, v3, v22
	s_delay_alu instid0(VALU_DEP_1) | instskip(SKIP_1) | instid1(VALU_DEP_2)
	v_div_scale_f32 v3, null, v2, v2, 1.0
	v_div_scale_f32 v31, vcc_lo, 1.0, v2, 1.0
	v_rcp_f32_e32 v23, v3
	v_nop
	v_xor_b32_e32 v3, 0x80000000, v3
	s_delay_alu instid0(TRANS32_DEP_1) | instid1(VALU_DEP_1)
	v_fma_f32 v30, v3, v23, 1.0
	s_delay_alu instid0(VALU_DEP_1) | instskip(NEXT) | instid1(VALU_DEP_1)
	v_fmac_f32_e32 v23, v30, v23
	v_mul_f32_e32 v30, v31, v23
	s_delay_alu instid0(VALU_DEP_1) | instskip(NEXT) | instid1(VALU_DEP_1)
	v_fma_f32 v32, v3, v30, v31
	v_fmac_f32_e32 v30, v32, v23
	s_delay_alu instid0(VALU_DEP_1) | instskip(NEXT) | instid1(VALU_DEP_1)
	v_fmac_f32_e32 v31, v3, v30
	v_div_fmas_f32 v3, v31, v23, v30
	v_dual_fma_f32 v23, v22, v1, v0 :: v_dual_fma_f32 v0, -v22, v0, v1
	s_delay_alu instid0(VALU_DEP_2) | instskip(NEXT) | instid1(VALU_DEP_1)
	v_div_fixup_f32 v2, v3, v2, 1.0
	v_dual_mul_f32 v22, v23, v2 :: v_dual_mul_f32 v23, v0, v2
.LBB152_35:                             ;   in Loop: Header=BB152_25 Depth=2
	s_add_co_i32 s49, s34, 0x88
	s_lshl_b32 s35, s35, 3
	s_delay_alu instid0(VALU_DEP_1) | instskip(SKIP_3) | instid1(SALU_CYCLE_1)
	v_dual_mov_b32 v32, v21 :: v_dual_mov_b32 v34, v23
	s_sub_co_i32 s35, s49, s35
	s_mov_b32 s50, -1
	s_add_co_i32 s35, s35, s31
	v_dual_mov_b32 v0, s34 :: v_dual_mov_b32 v30, s35
	ds_store_b64 v29, v[22:23]
	ds_load_2addr_b64 v[0:3], v0 offset0:2 offset1:34
	ds_load_b64 v[30:31], v30 offset:16
	s_wait_dscnt 0x1
	v_pk_mul_f32 v[32:33], v[32:33], v[0:1] op_sel_hi:[0,1]
	s_wait_dscnt 0x0
	v_pk_mul_f32 v[34:35], v[34:35], v[30:31] op_sel_hi:[0,1]
	s_delay_alu instid0(VALU_DEP_2) | instskip(SKIP_1) | instid1(VALU_DEP_3)
	v_pk_fma_f32 v[36:37], v[20:21], v[0:1], v[32:33] op_sel:[0,0,1] op_sel_hi:[0,1,0]
	v_pk_fma_f32 v[0:1], v[20:21], v[0:1], v[32:33] op_sel:[0,0,1] op_sel_hi:[1,1,0] neg_lo:[0,0,1] neg_hi:[0,0,1]
	v_pk_fma_f32 v[32:33], v[22:23], v[30:31], v[34:35] op_sel:[0,0,1] op_sel_hi:[0,1,0]
	v_and_b32_e32 v32, 0x7fffffff, v2
	v_and_b32_e32 v36, 0x7fffffff, v3
	v_mov_b32_e32 v1, v37
	s_delay_alu instid0(VALU_DEP_2) | instskip(NEXT) | instid1(VALU_DEP_2)
	v_cmp_ngt_f32_e32 vcc_lo, v32, v36
	v_pk_add_f32 v[0:1], v[18:19], v[0:1] neg_lo:[0,1] neg_hi:[0,1]
	v_pk_fma_f32 v[18:19], v[22:23], v[30:31], v[34:35] op_sel:[0,0,1] op_sel_hi:[1,1,0] neg_lo:[0,0,1] neg_hi:[0,0,1]
	v_mov_b32_e32 v19, v33
	s_delay_alu instid0(VALU_DEP_1)
	v_pk_add_f32 v[0:1], v[0:1], v[18:19] neg_lo:[0,1] neg_hi:[0,1]
                                        ; implicit-def: $vgpr18_vgpr19
	s_cbranch_vccz .LBB152_37
; %bb.36:                               ;   in Loop: Header=BB152_25 Depth=2
	v_div_scale_f32 v18, null, v3, v3, v2
	v_div_scale_f32 v30, vcc_lo, v2, v3, v2
	s_mov_b32 s50, 0
	v_rcp_f32_e32 v19, v18
	v_nop
	v_xor_b32_e32 v18, 0x80000000, v18
	s_delay_alu instid0(TRANS32_DEP_1) | instid1(VALU_DEP_1)
	v_fma_f32 v29, v18, v19, 1.0
	s_delay_alu instid0(VALU_DEP_1) | instskip(NEXT) | instid1(VALU_DEP_1)
	v_fmac_f32_e32 v19, v29, v19
	v_mul_f32_e32 v29, v30, v19
	s_delay_alu instid0(VALU_DEP_1) | instskip(NEXT) | instid1(VALU_DEP_1)
	v_fma_f32 v31, v18, v29, v30
	v_fmac_f32_e32 v29, v31, v19
	s_delay_alu instid0(VALU_DEP_1) | instskip(NEXT) | instid1(VALU_DEP_1)
	v_fmac_f32_e32 v30, v18, v29
	v_div_fmas_f32 v18, v30, v19, v29
	s_delay_alu instid0(VALU_DEP_1) | instskip(NEXT) | instid1(VALU_DEP_1)
	v_div_fixup_f32 v18, v18, v3, v2
	v_fma_f32 v19, v2, v18, v3
	s_delay_alu instid0(VALU_DEP_1) | instskip(SKIP_1) | instid1(VALU_DEP_2)
	v_div_scale_f32 v29, null, v19, v19, 1.0
	v_div_scale_f32 v32, vcc_lo, 1.0, v19, 1.0
	v_rcp_f32_e32 v31, v29
	v_nop
	v_xor_b32_e32 v29, 0x80000000, v29
	s_delay_alu instid0(TRANS32_DEP_1) | instid1(VALU_DEP_1)
	v_fma_f32 v30, v29, v31, 1.0
	s_delay_alu instid0(VALU_DEP_1) | instskip(NEXT) | instid1(VALU_DEP_1)
	v_fmac_f32_e32 v31, v30, v31
	v_mul_f32_e32 v33, v32, v31
	s_delay_alu instid0(VALU_DEP_1) | instskip(NEXT) | instid1(VALU_DEP_1)
	v_fma_f32 v30, v29, v33, v32
	v_dual_fmac_f32 v33, v30, v31 :: v_dual_mov_b32 v30, v1
	s_delay_alu instid0(VALU_DEP_1) | instskip(NEXT) | instid1(VALU_DEP_1)
	v_fmac_f32_e32 v32, v29, v33
	v_div_fmas_f32 v29, v32, v31, v33
	s_delay_alu instid0(VALU_DEP_3) | instskip(NEXT) | instid1(VALU_DEP_2)
	v_pk_fma_f32 v[30:31], v[18:19], v[0:1], v[30:31]
	v_div_fixup_f32 v31, v29, v19, 1.0
	s_delay_alu instid0(VALU_DEP_1) | instskip(NEXT) | instid1(VALU_DEP_1)
	v_dual_fma_f32 v19, v18, v1, -v0 :: v_dual_mov_b32 v18, v31
	v_pk_mul_f32 v[18:19], v[30:31], v[18:19]
.LBB152_37:                             ;   in Loop: Header=BB152_25 Depth=2
	s_and_not1_b32 vcc_lo, exec_lo, s50
	s_cbranch_vccnz .LBB152_39
; %bb.38:                               ;   in Loop: Header=BB152_25 Depth=2
	v_div_scale_f32 v18, null, v2, v2, v3
	v_div_scale_f32 v30, vcc_lo, v3, v2, v3
	s_delay_alu instid0(VALU_DEP_2)
	v_rcp_f32_e32 v19, v18
	v_nop
	v_xor_b32_e32 v18, 0x80000000, v18
	s_delay_alu instid0(TRANS32_DEP_1) | instid1(VALU_DEP_1)
	v_fma_f32 v29, v18, v19, 1.0
	s_delay_alu instid0(VALU_DEP_1) | instskip(NEXT) | instid1(VALU_DEP_1)
	v_fmac_f32_e32 v19, v29, v19
	v_mul_f32_e32 v29, v30, v19
	s_delay_alu instid0(VALU_DEP_1) | instskip(NEXT) | instid1(VALU_DEP_1)
	v_fma_f32 v31, v18, v29, v30
	v_fmac_f32_e32 v29, v31, v19
	s_delay_alu instid0(VALU_DEP_1) | instskip(NEXT) | instid1(VALU_DEP_1)
	v_fmac_f32_e32 v30, v18, v29
	v_div_fmas_f32 v18, v30, v19, v29
	s_delay_alu instid0(VALU_DEP_1) | instskip(NEXT) | instid1(VALU_DEP_1)
	v_div_fixup_f32 v18, v18, v2, v3
	v_fma_f32 v19, v3, v18, v2
	s_delay_alu instid0(VALU_DEP_1) | instskip(SKIP_1) | instid1(VALU_DEP_2)
	v_div_scale_f32 v2, null, v19, v19, 1.0
	v_div_scale_f32 v30, vcc_lo, 1.0, v19, 1.0
	v_rcp_f32_e32 v3, v2
	v_nop
	v_xor_b32_e32 v2, 0x80000000, v2
	s_delay_alu instid0(TRANS32_DEP_1) | instid1(VALU_DEP_1)
	v_fma_f32 v29, v2, v3, 1.0
	s_delay_alu instid0(VALU_DEP_1) | instskip(NEXT) | instid1(VALU_DEP_1)
	v_fmac_f32_e32 v3, v29, v3
	v_mul_f32_e32 v29, v30, v3
	s_delay_alu instid0(VALU_DEP_1) | instskip(NEXT) | instid1(VALU_DEP_1)
	v_fma_f32 v31, v2, v29, v30
	v_fmac_f32_e32 v29, v31, v3
	s_delay_alu instid0(VALU_DEP_1) | instskip(NEXT) | instid1(VALU_DEP_1)
	v_fmac_f32_e32 v30, v2, v29
	v_div_fmas_f32 v29, v30, v3, v29
	v_pk_fma_f32 v[2:3], v[18:19], v[0:1], v[0:1] op_sel:[0,1,0] op_sel_hi:[0,0,1] neg_lo:[1,0,0] neg_hi:[1,0,0]
	v_pk_fma_f32 v[0:1], v[18:19], v[0:1], v[0:1] op_sel:[0,1,0] op_sel_hi:[1,0,1]
	s_delay_alu instid0(VALU_DEP_3) | instskip(NEXT) | instid1(VALU_DEP_3)
	v_div_fixup_f32 v2, v29, v19, 1.0
	v_mov_b32_e32 v1, v3
	s_delay_alu instid0(VALU_DEP_1)
	v_pk_mul_f32 v[18:19], v[0:1], v[2:3] op_sel_hi:[1,0]
.LBB152_39:                             ;   in Loop: Header=BB152_25 Depth=2
	v_dual_mov_b32 v0, s34 :: v_dual_mov_b32 v29, s35
	s_lshl_b32 s30, s30, 3
	v_mov_b32_e32 v35, v21
	s_sub_co_i32 s30, s49, s30
	ds_load_2addr_b64 v[0:3], v0 offset0:3 offset1:51
	s_add_co_i32 s30, s30, s31
	ds_load_b64 v[30:31], v29 offset:24
	v_dual_mov_b32 v29, s30 :: v_dual_mov_b32 v34, v21
	v_dual_mov_b32 v21, v20 :: v_dual_mov_b32 v36, v23
	v_mov_b32_e32 v37, v23
	ds_load_b64 v[32:33], v29 offset:160
	s_mov_b32 s30, -1
	ds_store_b64 v28, v[18:19]
	s_wait_dscnt 0x3
	v_pk_mul_f32 v[34:35], v[34:35], v[0:1]
	v_and_b32_e32 v29, 0x7fffffff, v3
	s_wait_dscnt 0x2
	v_pk_mul_f32 v[36:37], v[36:37], v[30:31]
	s_delay_alu instid0(VALU_DEP_3)
	v_pk_fma_f32 v[38:39], v[20:21], v[0:1], v[34:35] op_sel:[0,0,1] op_sel_hi:[1,1,0]
	v_mov_b32_e32 v23, v22
	v_pk_fma_f32 v[0:1], v[20:21], v[0:1], v[34:35] op_sel:[0,0,1] op_sel_hi:[1,1,0] neg_lo:[0,0,1] neg_hi:[0,0,1]
	s_wait_dscnt 0x1
	v_pk_mul_f32 v[34:35], v[18:19], v[32:33] op_sel:[1,1] op_sel_hi:[1,0]
	v_mov_b32_e32 v1, v39
	v_pk_fma_f32 v[20:21], v[22:23], v[30:31], v[36:37] op_sel:[0,0,1] op_sel_hi:[1,1,0]
	v_pk_fma_f32 v[22:23], v[22:23], v[30:31], v[36:37] op_sel:[0,0,1] op_sel_hi:[1,1,0] neg_lo:[0,0,1] neg_hi:[0,0,1]
	s_delay_alu instid0(VALU_DEP_3) | instskip(SKIP_1) | instid1(VALU_DEP_4)
	v_pk_add_f32 v[0:1], v[16:17], v[0:1] neg_lo:[0,1] neg_hi:[0,1]
	v_pk_fma_f32 v[16:17], v[18:19], v[32:33], v[34:35] op_sel_hi:[0,1,1]
	v_mov_b32_e32 v23, v21
	v_and_b32_e32 v16, 0x7fffffff, v2
	v_pk_fma_f32 v[20:21], v[18:19], v[32:33], v[34:35] neg_lo:[0,0,1] neg_hi:[0,0,1]
	s_delay_alu instid0(VALU_DEP_4) | instskip(NEXT) | instid1(VALU_DEP_4)
	v_mov_b32_e32 v21, v17
	v_pk_add_f32 v[0:1], v[0:1], v[22:23] neg_lo:[0,1] neg_hi:[0,1]
	s_delay_alu instid0(VALU_DEP_4) | instskip(NEXT) | instid1(VALU_DEP_2)
	v_cmp_ngt_f32_e32 vcc_lo, v16, v29
                                        ; implicit-def: $vgpr16_vgpr17
	v_pk_add_f32 v[0:1], v[0:1], v[20:21] neg_lo:[0,1] neg_hi:[0,1]
	s_cbranch_vccz .LBB152_41
; %bb.40:                               ;   in Loop: Header=BB152_25 Depth=2
	v_div_scale_f32 v16, null, v3, v3, v2
	v_div_scale_f32 v19, vcc_lo, v2, v3, v2
	s_mov_b32 s30, 0
	v_rcp_f32_e32 v17, v16
	v_nop
	v_xor_b32_e32 v16, 0x80000000, v16
	s_delay_alu instid0(TRANS32_DEP_1) | instid1(VALU_DEP_1)
	v_fma_f32 v18, v16, v17, 1.0
	s_delay_alu instid0(VALU_DEP_1) | instskip(NEXT) | instid1(VALU_DEP_1)
	v_fmac_f32_e32 v17, v18, v17
	v_mul_f32_e32 v18, v19, v17
	s_delay_alu instid0(VALU_DEP_1) | instskip(NEXT) | instid1(VALU_DEP_1)
	v_fma_f32 v20, v16, v18, v19
	v_fmac_f32_e32 v18, v20, v17
	s_delay_alu instid0(VALU_DEP_1) | instskip(NEXT) | instid1(VALU_DEP_1)
	v_fmac_f32_e32 v19, v16, v18
	v_div_fmas_f32 v16, v19, v17, v18
	s_delay_alu instid0(VALU_DEP_1) | instskip(NEXT) | instid1(VALU_DEP_1)
	v_div_fixup_f32 v16, v16, v3, v2
	v_fma_f32 v17, v2, v16, v3
	s_delay_alu instid0(VALU_DEP_1) | instskip(NEXT) | instid1(VALU_DEP_1)
	v_div_scale_f32 v18, null, v17, v17, 1.0
	v_rcp_f32_e32 v19, v18
	v_nop
	v_xor_b32_e32 v18, 0x80000000, v18
	s_delay_alu instid0(TRANS32_DEP_1) | instid1(VALU_DEP_1)
	v_fma_f32 v20, v18, v19, 1.0
	s_delay_alu instid0(VALU_DEP_1) | instskip(SKIP_1) | instid1(VALU_DEP_1)
	v_fmac_f32_e32 v19, v20, v19
	v_div_scale_f32 v20, vcc_lo, 1.0, v17, 1.0
	v_mul_f32_e32 v21, v20, v19
	s_delay_alu instid0(VALU_DEP_1) | instskip(NEXT) | instid1(VALU_DEP_1)
	v_fma_f32 v22, v18, v21, v20
	v_fmac_f32_e32 v21, v22, v19
	s_delay_alu instid0(VALU_DEP_1) | instskip(NEXT) | instid1(VALU_DEP_1)
	v_dual_fmac_f32 v20, v18, v21 :: v_dual_mov_b32 v18, v1
	v_div_fmas_f32 v20, v20, v19, v21
	s_delay_alu instid0(VALU_DEP_2) | instskip(NEXT) | instid1(VALU_DEP_2)
	v_pk_fma_f32 v[18:19], v[16:17], v[0:1], v[18:19]
	v_div_fixup_f32 v19, v20, v17, 1.0
	s_delay_alu instid0(VALU_DEP_1) | instskip(NEXT) | instid1(VALU_DEP_1)
	v_dual_fma_f32 v17, v16, v1, -v0 :: v_dual_mov_b32 v16, v19
	v_pk_mul_f32 v[16:17], v[18:19], v[16:17]
.LBB152_41:                             ;   in Loop: Header=BB152_25 Depth=2
	s_and_not1_b32 vcc_lo, exec_lo, s30
	s_cbranch_vccnz .LBB152_43
; %bb.42:                               ;   in Loop: Header=BB152_25 Depth=2
	v_div_scale_f32 v16, null, v2, v2, v3
	v_div_scale_f32 v19, vcc_lo, v3, v2, v3
	s_delay_alu instid0(VALU_DEP_2)
	v_rcp_f32_e32 v17, v16
	v_nop
	v_xor_b32_e32 v16, 0x80000000, v16
	s_delay_alu instid0(TRANS32_DEP_1) | instid1(VALU_DEP_1)
	v_fma_f32 v18, v16, v17, 1.0
	s_delay_alu instid0(VALU_DEP_1) | instskip(NEXT) | instid1(VALU_DEP_1)
	v_fmac_f32_e32 v17, v18, v17
	v_mul_f32_e32 v18, v19, v17
	s_delay_alu instid0(VALU_DEP_1) | instskip(NEXT) | instid1(VALU_DEP_1)
	v_fma_f32 v20, v16, v18, v19
	v_fmac_f32_e32 v18, v20, v17
	s_delay_alu instid0(VALU_DEP_1) | instskip(NEXT) | instid1(VALU_DEP_1)
	v_fmac_f32_e32 v19, v16, v18
	v_div_fmas_f32 v16, v19, v17, v18
	s_delay_alu instid0(VALU_DEP_1) | instskip(NEXT) | instid1(VALU_DEP_1)
	v_div_fixup_f32 v16, v16, v2, v3
	v_fma_f32 v17, v3, v16, v2
	s_delay_alu instid0(VALU_DEP_1) | instskip(SKIP_1) | instid1(VALU_DEP_2)
	v_div_scale_f32 v2, null, v17, v17, 1.0
	v_div_scale_f32 v19, vcc_lo, 1.0, v17, 1.0
	v_rcp_f32_e32 v3, v2
	v_nop
	v_xor_b32_e32 v2, 0x80000000, v2
	s_delay_alu instid0(TRANS32_DEP_1) | instid1(VALU_DEP_1)
	v_fma_f32 v18, v2, v3, 1.0
	s_delay_alu instid0(VALU_DEP_1) | instskip(NEXT) | instid1(VALU_DEP_1)
	v_fmac_f32_e32 v3, v18, v3
	v_mul_f32_e32 v18, v19, v3
	s_delay_alu instid0(VALU_DEP_1) | instskip(NEXT) | instid1(VALU_DEP_1)
	v_fma_f32 v20, v2, v18, v19
	v_fmac_f32_e32 v18, v20, v3
	s_delay_alu instid0(VALU_DEP_1) | instskip(NEXT) | instid1(VALU_DEP_1)
	v_fmac_f32_e32 v19, v2, v18
	v_div_fmas_f32 v18, v19, v3, v18
	v_pk_fma_f32 v[2:3], v[16:17], v[0:1], v[0:1] op_sel:[0,1,0] op_sel_hi:[0,0,1] neg_lo:[1,0,0] neg_hi:[1,0,0]
	v_pk_fma_f32 v[0:1], v[16:17], v[0:1], v[0:1] op_sel:[0,1,0] op_sel_hi:[1,0,1]
	s_delay_alu instid0(VALU_DEP_3) | instskip(NEXT) | instid1(VALU_DEP_3)
	v_div_fixup_f32 v2, v18, v17, 1.0
	v_mov_b32_e32 v1, v3
	s_delay_alu instid0(VALU_DEP_1)
	v_pk_mul_f32 v[16:17], v[0:1], v[2:3] op_sel_hi:[1,0]
.LBB152_43:                             ;   in Loop: Header=BB152_25 Depth=2
	s_add_co_i32 s30, s18, 4
	s_add_co_i32 s18, s18, 7
	;; [unrolled: 1-line block ×3, first 2 shown]
	s_cmp_ge_i32 s18, s37
	ds_store_b64 v27, v[16:17]
	s_cbranch_scc1 .LBB152_45
; %bb.44:                               ;   in Loop: Header=BB152_25 Depth=2
	s_mov_b32 s18, s30
	s_branch .LBB152_25
.LBB152_45:                             ;   in Loop: Header=BB152_3 Depth=1
	s_cmp_ge_i32 s30, s37
	s_cbranch_scc1 .LBB152_54
; %bb.46:                               ;   in Loop: Header=BB152_3 Depth=1
	s_lshl_b32 s3, s30, 3
	s_branch .LBB152_48
.LBB152_47:                             ;   in Loop: Header=BB152_48 Depth=2
	s_add_co_i32 s30, s30, 1
	s_add_co_i32 s3, s3, 8
	s_cmp_ge_i32 s30, s37
	ds_store_b64 v18, v[16:17]
	s_cbranch_scc1 .LBB152_54
.LBB152_48:                             ;   Parent Loop BB152_3 Depth=1
                                        ; =>  This Loop Header: Depth=2
                                        ;       Child Loop BB152_49 Depth 3
	s_lshl_b32 s18, s30, 7
	s_cmp_eq_u32 s30, 0
	v_dual_add_nc_u32 v18, s18, v24 :: v_dual_mov_b32 v2, v24
	s_mov_b32 s31, s3
	s_mov_b32 s34, s30
	ds_load_b64 v[0:1], v18
	s_cbranch_scc1 .LBB152_50
.LBB152_49:                             ;   Parent Loop BB152_3 Depth=1
                                        ;     Parent Loop BB152_48 Depth=2
                                        ; =>    This Inner Loop Header: Depth=3
	v_mov_b32_e32 v3, s31
	s_add_co_i32 s34, s34, -1
	s_addk_co_i32 s31, 0x80
	s_cmp_eq_u32 s34, 0
	ds_load_b64 v[16:17], v2
	ds_load_b64 v[20:21], v3
	v_add_nc_u32_e32 v2, 0x80, v2
	s_wait_dscnt 0x0
	v_pk_mul_f32 v[22:23], v[20:21], v[16:17] op_sel:[1,1] op_sel_hi:[0,1]
	s_delay_alu instid0(VALU_DEP_1) | instskip(SKIP_1) | instid1(VALU_DEP_2)
	v_pk_fma_f32 v[28:29], v[20:21], v[16:17], v[22:23] op_sel_hi:[1,0,1]
	v_pk_fma_f32 v[16:17], v[20:21], v[16:17], v[22:23] op_sel_hi:[1,0,1] neg_lo:[0,0,1] neg_hi:[0,0,1]
	v_mov_b32_e32 v17, v29
	s_delay_alu instid0(VALU_DEP_1)
	v_pk_add_f32 v[0:1], v[0:1], v[16:17] neg_lo:[0,1] neg_hi:[0,1]
	s_cbranch_scc0 .LBB152_49
.LBB152_50:                             ;   in Loop: Header=BB152_48 Depth=2
	s_lshl_b32 s31, s30, 3
	s_delay_alu instid0(SALU_CYCLE_1) | instskip(NEXT) | instid1(SALU_CYCLE_1)
	s_add_co_i32 s18, s31, s18
	v_mov_b32_e32 v2, s18
	s_mov_b32 s18, -1
	ds_load_b64 v[2:3], v2
	s_wait_dscnt 0x0
	v_and_b32_e32 v16, 0x7fffffff, v2
	v_and_b32_e32 v17, 0x7fffffff, v3
	s_delay_alu instid0(VALU_DEP_1)
	v_cmp_ngt_f32_e32 vcc_lo, v16, v17
                                        ; implicit-def: $vgpr16_vgpr17
	s_cbranch_vccz .LBB152_52
; %bb.51:                               ;   in Loop: Header=BB152_48 Depth=2
	v_div_scale_f32 v16, null, v3, v3, v2
	v_div_scale_f32 v20, vcc_lo, v2, v3, v2
	s_mov_b32 s18, 0
	v_rcp_f32_e32 v17, v16
	v_nop
	v_xor_b32_e32 v16, 0x80000000, v16
	s_delay_alu instid0(TRANS32_DEP_1) | instid1(VALU_DEP_1)
	v_fma_f32 v19, v16, v17, 1.0
	s_delay_alu instid0(VALU_DEP_1) | instskip(NEXT) | instid1(VALU_DEP_1)
	v_fmac_f32_e32 v17, v19, v17
	v_mul_f32_e32 v19, v20, v17
	s_delay_alu instid0(VALU_DEP_1) | instskip(NEXT) | instid1(VALU_DEP_1)
	v_fma_f32 v21, v16, v19, v20
	v_fmac_f32_e32 v19, v21, v17
	s_delay_alu instid0(VALU_DEP_1) | instskip(NEXT) | instid1(VALU_DEP_1)
	v_fmac_f32_e32 v20, v16, v19
	v_div_fmas_f32 v16, v20, v17, v19
	s_delay_alu instid0(VALU_DEP_1) | instskip(NEXT) | instid1(VALU_DEP_1)
	v_div_fixup_f32 v16, v16, v3, v2
	v_fma_f32 v19, v2, v16, v3
	s_delay_alu instid0(VALU_DEP_1) | instskip(SKIP_1) | instid1(VALU_DEP_2)
	v_div_scale_f32 v17, null, v19, v19, 1.0
	v_div_scale_f32 v22, vcc_lo, 1.0, v19, 1.0
	v_rcp_f32_e32 v20, v17
	v_nop
	v_xor_b32_e32 v17, 0x80000000, v17
	s_delay_alu instid0(TRANS32_DEP_1) | instid1(VALU_DEP_1)
	v_fma_f32 v21, v17, v20, 1.0
	s_delay_alu instid0(VALU_DEP_1) | instskip(NEXT) | instid1(VALU_DEP_1)
	v_fmac_f32_e32 v20, v21, v20
	v_mul_f32_e32 v21, v22, v20
	s_delay_alu instid0(VALU_DEP_1) | instskip(NEXT) | instid1(VALU_DEP_1)
	v_fma_f32 v23, v17, v21, v22
	v_fmac_f32_e32 v21, v23, v20
	s_delay_alu instid0(VALU_DEP_1) | instskip(NEXT) | instid1(VALU_DEP_1)
	v_fmac_f32_e32 v22, v17, v21
	v_div_fmas_f32 v22, v22, v20, v21
	v_pk_fma_f32 v[20:21], v[0:1], v[16:17], v[0:1] op_sel:[0,0,1] op_sel_hi:[1,0,0] neg_lo:[0,0,1] neg_hi:[0,0,1]
	v_pk_fma_f32 v[16:17], v[0:1], v[16:17], v[0:1] op_sel:[0,0,1] op_sel_hi:[1,0,0]
	s_delay_alu instid0(VALU_DEP_3) | instskip(NEXT) | instid1(VALU_DEP_3)
	v_div_fixup_f32 v20, v22, v19, 1.0
	v_mov_b32_e32 v17, v21
	s_delay_alu instid0(VALU_DEP_1)
	v_pk_mul_f32 v[16:17], v[16:17], v[20:21] op_sel_hi:[1,0]
.LBB152_52:                             ;   in Loop: Header=BB152_48 Depth=2
	s_and_not1_b32 vcc_lo, exec_lo, s18
	s_cbranch_vccnz .LBB152_47
; %bb.53:                               ;   in Loop: Header=BB152_48 Depth=2
	v_div_scale_f32 v16, null, v2, v2, v3
	v_div_scale_f32 v20, vcc_lo, v3, v2, v3
	s_delay_alu instid0(VALU_DEP_2)
	v_rcp_f32_e32 v17, v16
	v_nop
	v_xor_b32_e32 v16, 0x80000000, v16
	s_delay_alu instid0(TRANS32_DEP_1) | instid1(VALU_DEP_1)
	v_fma_f32 v19, v16, v17, 1.0
	s_delay_alu instid0(VALU_DEP_1) | instskip(NEXT) | instid1(VALU_DEP_1)
	v_fmac_f32_e32 v17, v19, v17
	v_mul_f32_e32 v19, v20, v17
	s_delay_alu instid0(VALU_DEP_1) | instskip(NEXT) | instid1(VALU_DEP_1)
	v_fma_f32 v21, v16, v19, v20
	v_fmac_f32_e32 v19, v21, v17
	s_delay_alu instid0(VALU_DEP_1) | instskip(NEXT) | instid1(VALU_DEP_1)
	v_fmac_f32_e32 v20, v16, v19
	v_div_fmas_f32 v16, v20, v17, v19
	s_delay_alu instid0(VALU_DEP_1) | instskip(NEXT) | instid1(VALU_DEP_1)
	v_div_fixup_f32 v16, v16, v2, v3
	v_fmac_f32_e32 v2, v3, v16
	s_delay_alu instid0(VALU_DEP_1) | instskip(SKIP_1) | instid1(VALU_DEP_2)
	v_div_scale_f32 v3, null, v2, v2, 1.0
	v_div_scale_f32 v20, vcc_lo, 1.0, v2, 1.0
	v_rcp_f32_e32 v17, v3
	v_nop
	v_xor_b32_e32 v3, 0x80000000, v3
	s_delay_alu instid0(TRANS32_DEP_1) | instid1(VALU_DEP_1)
	v_fma_f32 v19, v3, v17, 1.0
	s_delay_alu instid0(VALU_DEP_1) | instskip(NEXT) | instid1(VALU_DEP_1)
	v_fmac_f32_e32 v17, v19, v17
	v_mul_f32_e32 v19, v20, v17
	s_delay_alu instid0(VALU_DEP_1) | instskip(NEXT) | instid1(VALU_DEP_1)
	v_fma_f32 v21, v3, v19, v20
	v_fmac_f32_e32 v19, v21, v17
	s_delay_alu instid0(VALU_DEP_1) | instskip(NEXT) | instid1(VALU_DEP_1)
	v_fmac_f32_e32 v20, v3, v19
	v_div_fmas_f32 v3, v20, v17, v19
	v_pk_fma_f32 v[20:21], v[0:1], v[16:17], v[0:1] op_sel:[1,0,0] op_sel_hi:[0,0,1] neg_lo:[1,0,0] neg_hi:[1,0,0]
	v_pk_fma_f32 v[0:1], v[0:1], v[16:17], v[0:1] op_sel:[1,0,0] op_sel_hi:[0,0,1]
	s_delay_alu instid0(VALU_DEP_3) | instskip(NEXT) | instid1(VALU_DEP_3)
	v_div_fixup_f32 v2, v3, v2, 1.0
	v_mov_b32_e32 v1, v21
	s_delay_alu instid0(VALU_DEP_1)
	v_pk_mul_f32 v[16:17], v[0:1], v[2:3] op_sel_hi:[1,0]
	s_branch .LBB152_47
.LBB152_54:                             ;   in Loop: Header=BB152_3 Depth=1
	s_mov_b32 s3, 0
.LBB152_55:                             ;   in Loop: Header=BB152_3 Depth=1
	s_delay_alu instid0(SALU_CYCLE_1)
	s_and_b32 vcc_lo, exec_lo, s3
	s_cbranch_vccz .LBB152_86
; %bb.56:                               ;   in Loop: Header=BB152_3 Depth=1
	s_mov_b32 s30, s38
	s_and_not1_b32 vcc_lo, exec_lo, s42
	s_mov_b32 s3, s1
	s_mov_b32 s18, s38
	s_cbranch_vccnz .LBB152_77
.LBB152_57:                             ;   Parent Loop BB152_3 Depth=1
                                        ; =>  This Loop Header: Depth=2
                                        ;       Child Loop BB152_58 Depth 3
	s_add_co_i32 s50, s18, -1
	s_add_co_i32 s31, s18, -3
	v_lshl_add_u32 v30, s18, 7, v24
	s_add_co_i32 s49, s18, -2
	v_lshl_add_u32 v29, s50, 7, v24
	s_lshl_b32 s30, s31, 7
	v_lshl_add_u32 v28, s49, 7, v24
	v_dual_mov_b32 v16, v5 :: v_dual_add_nc_u32 v27, s30, v24
	ds_load_b64 v[20:21], v30
	ds_load_b64 v[18:19], v29
	;; [unrolled: 1-line block ×4, first 2 shown]
	s_cmp_le_i32 s38, s18
	s_mov_b32 s34, s3
	s_mov_b32 s35, s38
	s_cbranch_scc1 .LBB152_59
.LBB152_58:                             ;   Parent Loop BB152_3 Depth=1
                                        ;     Parent Loop BB152_57 Depth=2
                                        ; =>    This Inner Loop Header: Depth=3
	s_add_co_i32 s51, s34, 0xffffff70
	s_add_co_i32 s52, s34, 0xffffff60
	s_delay_alu instid0(SALU_CYCLE_1)
	v_dual_mov_b32 v17, s51 :: v_dual_mov_b32 v31, s52
	ds_load_b64 v[22:23], v16
	s_add_co_i32 s35, s35, -1
	s_addk_co_i32 s34, 0xff80
	ds_load_2addr_b64 v[32:35], v17 offset1:1
	ds_load_2addr_b64 v[36:39], v31 offset1:1
	v_add_nc_u32_e32 v16, 0xffffff80, v16
	s_cmp_le_i32 s35, s18
	s_wait_dscnt 0x1
	v_dual_mul_f32 v17, v35, v23 :: v_dual_mul_f32 v31, v34, v23
	v_dual_mul_f32 v44, v33, v23 :: v_dual_mul_f32 v45, v33, v22
	s_wait_dscnt 0x0
	v_pk_mul_f32 v[40:41], v[38:39], v[22:23] op_sel:[0,1]
	v_pk_mul_f32 v[42:43], v[36:37], v[22:23] op_sel:[0,1]
	v_dual_fma_f32 v17, v34, v22, -v17 :: v_dual_fmac_f32 v31, v35, v22
	v_dual_fma_f32 v44, v32, v22, -v44 :: v_dual_fmac_f32 v45, v32, v23
	s_delay_alu instid0(VALU_DEP_4) | instskip(NEXT) | instid1(VALU_DEP_4)
	v_pk_fma_f32 v[32:33], v[38:39], v[22:23], v[40:41] op_sel:[0,0,1] op_sel_hi:[1,0,0]
	v_pk_fma_f32 v[34:35], v[36:37], v[22:23], v[42:43] op_sel:[0,0,1] op_sel_hi:[1,0,0]
	v_pk_fma_f32 v[38:39], v[38:39], v[22:23], v[40:41] op_sel:[0,0,1] op_sel_hi:[1,1,0] neg_lo:[0,0,1] neg_hi:[0,0,1]
	v_pk_fma_f32 v[22:23], v[36:37], v[22:23], v[42:43] op_sel:[0,0,1] op_sel_hi:[1,1,0] neg_lo:[0,0,1] neg_hi:[0,0,1]
	s_delay_alu instid0(VALU_DEP_4) | instskip(NEXT) | instid1(VALU_DEP_4)
	v_dual_sub_f32 v20, v20, v17 :: v_dual_mov_b32 v39, v33
	v_dual_mov_b32 v23, v35 :: v_dual_sub_f32 v21, v21, v31
	v_dual_sub_f32 v18, v18, v44 :: v_dual_sub_f32 v19, v19, v45
	s_delay_alu instid0(VALU_DEP_3) | instskip(NEXT) | instid1(VALU_DEP_3)
	v_pk_add_f32 v[2:3], v[2:3], v[38:39] neg_lo:[0,1] neg_hi:[0,1]
	v_pk_add_f32 v[0:1], v[0:1], v[22:23] neg_lo:[0,1] neg_hi:[0,1]
	s_cbranch_scc0 .LBB152_58
.LBB152_59:                             ;   in Loop: Header=BB152_57 Depth=2
	s_lshl_b32 s34, s18, 3
	s_lshl_b32 s35, s18, 7
	s_mov_b32 s51, -1
	s_add_co_i32 s35, s34, s35
	s_delay_alu instid0(SALU_CYCLE_1) | instskip(SKIP_4) | instid1(VALU_DEP_1)
	v_mov_b32_e32 v16, s35
	ds_load_b64 v[22:23], v16
	s_wait_dscnt 0x0
	v_and_b32_e32 v16, 0x7fffffff, v22
	v_and_b32_e32 v17, 0x7fffffff, v23
	v_cmp_ngt_f32_e32 vcc_lo, v16, v17
                                        ; implicit-def: $vgpr17
	s_cbranch_vccz .LBB152_61
; %bb.60:                               ;   in Loop: Header=BB152_57 Depth=2
	v_div_scale_f32 v16, null, v23, v23, v22
	v_div_scale_f32 v32, vcc_lo, v22, v23, v22
	s_mov_b32 s51, 0
	v_rcp_f32_e32 v17, v16
	v_nop
	v_xor_b32_e32 v16, 0x80000000, v16
	s_delay_alu instid0(TRANS32_DEP_1) | instid1(VALU_DEP_1)
	v_fma_f32 v31, v16, v17, 1.0
	s_delay_alu instid0(VALU_DEP_1) | instskip(NEXT) | instid1(VALU_DEP_1)
	v_fmac_f32_e32 v17, v31, v17
	v_mul_f32_e32 v31, v32, v17
	s_delay_alu instid0(VALU_DEP_1) | instskip(NEXT) | instid1(VALU_DEP_1)
	v_fma_f32 v33, v16, v31, v32
	v_fmac_f32_e32 v31, v33, v17
	s_delay_alu instid0(VALU_DEP_1) | instskip(NEXT) | instid1(VALU_DEP_1)
	v_fmac_f32_e32 v32, v16, v31
	v_div_fmas_f32 v16, v32, v17, v31
	s_delay_alu instid0(VALU_DEP_1) | instskip(NEXT) | instid1(VALU_DEP_1)
	v_div_fixup_f32 v16, v16, v23, v22
	v_fma_f32 v17, v22, v16, v23
	s_delay_alu instid0(VALU_DEP_1) | instskip(SKIP_1) | instid1(VALU_DEP_2)
	v_div_scale_f32 v31, null, v17, v17, 1.0
	v_div_scale_f32 v34, vcc_lo, 1.0, v17, 1.0
	v_rcp_f32_e32 v32, v31
	v_nop
	v_xor_b32_e32 v31, 0x80000000, v31
	s_delay_alu instid0(TRANS32_DEP_1) | instid1(VALU_DEP_1)
	v_fma_f32 v33, v31, v32, 1.0
	s_delay_alu instid0(VALU_DEP_1) | instskip(NEXT) | instid1(VALU_DEP_1)
	v_fmac_f32_e32 v32, v33, v32
	v_mul_f32_e32 v33, v34, v32
	s_delay_alu instid0(VALU_DEP_1) | instskip(NEXT) | instid1(VALU_DEP_1)
	v_fma_f32 v35, v31, v33, v34
	v_fmac_f32_e32 v33, v35, v32
	s_delay_alu instid0(VALU_DEP_1) | instskip(NEXT) | instid1(VALU_DEP_1)
	v_fmac_f32_e32 v34, v31, v33
	v_div_fmas_f32 v31, v34, v32, v33
	v_fma_f32 v32, v20, v16, v21
	s_delay_alu instid0(VALU_DEP_2) | instskip(NEXT) | instid1(VALU_DEP_1)
	v_div_fixup_f32 v17, v31, v17, 1.0
	v_dual_fma_f32 v31, v21, v16, -v20 :: v_dual_mul_f32 v16, v32, v17
	s_delay_alu instid0(VALU_DEP_1)
	v_mul_f32_e32 v17, v31, v17
.LBB152_61:                             ;   in Loop: Header=BB152_57 Depth=2
	s_and_not1_b32 vcc_lo, exec_lo, s51
	s_cbranch_vccnz .LBB152_63
; %bb.62:                               ;   in Loop: Header=BB152_57 Depth=2
	v_div_scale_f32 v16, null, v22, v22, v23
	v_div_scale_f32 v32, vcc_lo, v23, v22, v23
	s_delay_alu instid0(VALU_DEP_2)
	v_rcp_f32_e32 v17, v16
	v_nop
	v_xor_b32_e32 v16, 0x80000000, v16
	s_delay_alu instid0(TRANS32_DEP_1) | instid1(VALU_DEP_1)
	v_fma_f32 v31, v16, v17, 1.0
	s_delay_alu instid0(VALU_DEP_1) | instskip(NEXT) | instid1(VALU_DEP_1)
	v_fmac_f32_e32 v17, v31, v17
	v_mul_f32_e32 v31, v32, v17
	s_delay_alu instid0(VALU_DEP_1) | instskip(NEXT) | instid1(VALU_DEP_1)
	v_fma_f32 v33, v16, v31, v32
	v_fmac_f32_e32 v31, v33, v17
	s_delay_alu instid0(VALU_DEP_1) | instskip(NEXT) | instid1(VALU_DEP_1)
	v_fmac_f32_e32 v32, v16, v31
	v_div_fmas_f32 v16, v32, v17, v31
	s_delay_alu instid0(VALU_DEP_1) | instskip(NEXT) | instid1(VALU_DEP_1)
	v_div_fixup_f32 v16, v16, v22, v23
	v_fmac_f32_e32 v22, v23, v16
	s_delay_alu instid0(VALU_DEP_1) | instskip(SKIP_1) | instid1(VALU_DEP_2)
	v_div_scale_f32 v17, null, v22, v22, 1.0
	v_div_scale_f32 v32, vcc_lo, 1.0, v22, 1.0
	v_rcp_f32_e32 v23, v17
	v_nop
	v_xor_b32_e32 v17, 0x80000000, v17
	s_delay_alu instid0(TRANS32_DEP_1) | instid1(VALU_DEP_1)
	v_fma_f32 v31, v17, v23, 1.0
	s_delay_alu instid0(VALU_DEP_1) | instskip(NEXT) | instid1(VALU_DEP_1)
	v_fmac_f32_e32 v23, v31, v23
	v_mul_f32_e32 v31, v32, v23
	s_delay_alu instid0(VALU_DEP_1) | instskip(NEXT) | instid1(VALU_DEP_1)
	v_fma_f32 v33, v17, v31, v32
	v_fmac_f32_e32 v31, v33, v23
	s_delay_alu instid0(VALU_DEP_1) | instskip(NEXT) | instid1(VALU_DEP_1)
	v_fmac_f32_e32 v32, v17, v31
	v_div_fmas_f32 v17, v32, v23, v31
	v_dual_fma_f32 v23, v21, v16, v20 :: v_dual_fma_f32 v20, -v20, v16, v21
	s_delay_alu instid0(VALU_DEP_2) | instskip(NEXT) | instid1(VALU_DEP_1)
	v_div_fixup_f32 v17, v17, v22, 1.0
	v_dual_mul_f32 v16, v23, v17 :: v_dual_mul_f32 v17, v20, v17
.LBB152_63:                             ;   in Loop: Header=BB152_57 Depth=2
	s_lshl_b32 s51, s50, 7
	s_add_co_i32 s52, s35, -8
	s_add_co_i32 s51, s34, s51
	s_delay_alu instid0(SALU_CYCLE_1) | instskip(NEXT) | instid1(SALU_CYCLE_1)
	s_add_co_i32 s51, s51, -8
	v_dual_mov_b32 v20, s52 :: v_dual_mov_b32 v21, s51
	s_mov_b32 s52, -1
	ds_load_b64 v[22:23], v20
	ds_load_b64 v[20:21], v21
	ds_store_b64 v30, v[16:17]
	s_wait_dscnt 0x2
	v_dual_mul_f32 v31, v17, v23 :: v_dual_mul_f32 v23, v16, v23
	s_wait_dscnt 0x1
	v_and_b32_e32 v32, 0x7fffffff, v20
	v_and_b32_e32 v33, 0x7fffffff, v21
	s_delay_alu instid0(VALU_DEP_3) | instskip(SKIP_1) | instid1(VALU_DEP_3)
	v_fmac_f32_e32 v23, v17, v22
	v_fma_f32 v31, v16, v22, -v31
	v_cmp_ngt_f32_e32 vcc_lo, v32, v33
	s_delay_alu instid0(VALU_DEP_3) | instskip(NEXT) | instid1(VALU_DEP_3)
	v_sub_f32_e32 v23, v19, v23
	v_sub_f32_e32 v22, v18, v31
                                        ; implicit-def: $vgpr19
	s_cbranch_vccz .LBB152_65
; %bb.64:                               ;   in Loop: Header=BB152_57 Depth=2
	v_div_scale_f32 v18, null, v21, v21, v20
	v_div_scale_f32 v31, vcc_lo, v20, v21, v20
	s_mov_b32 s52, 0
	v_rcp_f32_e32 v19, v18
	v_nop
	v_xor_b32_e32 v18, 0x80000000, v18
	s_delay_alu instid0(TRANS32_DEP_1) | instid1(VALU_DEP_1)
	v_fma_f32 v30, v18, v19, 1.0
	s_delay_alu instid0(VALU_DEP_1) | instskip(NEXT) | instid1(VALU_DEP_1)
	v_fmac_f32_e32 v19, v30, v19
	v_mul_f32_e32 v30, v31, v19
	s_delay_alu instid0(VALU_DEP_1) | instskip(NEXT) | instid1(VALU_DEP_1)
	v_fma_f32 v32, v18, v30, v31
	v_fmac_f32_e32 v30, v32, v19
	s_delay_alu instid0(VALU_DEP_1) | instskip(NEXT) | instid1(VALU_DEP_1)
	v_fmac_f32_e32 v31, v18, v30
	v_div_fmas_f32 v18, v31, v19, v30
	s_delay_alu instid0(VALU_DEP_1) | instskip(NEXT) | instid1(VALU_DEP_1)
	v_div_fixup_f32 v18, v18, v21, v20
	v_fma_f32 v19, v20, v18, v21
	s_delay_alu instid0(VALU_DEP_1) | instskip(SKIP_1) | instid1(VALU_DEP_2)
	v_div_scale_f32 v30, null, v19, v19, 1.0
	v_div_scale_f32 v33, vcc_lo, 1.0, v19, 1.0
	v_rcp_f32_e32 v31, v30
	v_nop
	v_xor_b32_e32 v30, 0x80000000, v30
	s_delay_alu instid0(TRANS32_DEP_1) | instid1(VALU_DEP_1)
	v_fma_f32 v32, v30, v31, 1.0
	s_delay_alu instid0(VALU_DEP_1) | instskip(NEXT) | instid1(VALU_DEP_1)
	v_fmac_f32_e32 v31, v32, v31
	v_mul_f32_e32 v32, v33, v31
	s_delay_alu instid0(VALU_DEP_1) | instskip(NEXT) | instid1(VALU_DEP_1)
	v_fma_f32 v34, v30, v32, v33
	v_fmac_f32_e32 v32, v34, v31
	s_delay_alu instid0(VALU_DEP_1) | instskip(NEXT) | instid1(VALU_DEP_1)
	v_fmac_f32_e32 v33, v30, v32
	v_div_fmas_f32 v30, v33, v31, v32
	v_fma_f32 v31, v18, v22, v23
	s_delay_alu instid0(VALU_DEP_2) | instskip(SKIP_1) | instid1(VALU_DEP_1)
	v_div_fixup_f32 v19, v30, v19, 1.0
	v_fma_f32 v30, v18, v23, -v22
	v_dual_mul_f32 v18, v31, v19 :: v_dual_mul_f32 v19, v30, v19
.LBB152_65:                             ;   in Loop: Header=BB152_57 Depth=2
	s_and_not1_b32 vcc_lo, exec_lo, s52
	s_cbranch_vccnz .LBB152_67
; %bb.66:                               ;   in Loop: Header=BB152_57 Depth=2
	v_div_scale_f32 v18, null, v20, v20, v21
	v_div_scale_f32 v31, vcc_lo, v21, v20, v21
	s_delay_alu instid0(VALU_DEP_2)
	v_rcp_f32_e32 v19, v18
	v_nop
	v_xor_b32_e32 v18, 0x80000000, v18
	s_delay_alu instid0(TRANS32_DEP_1) | instid1(VALU_DEP_1)
	v_fma_f32 v30, v18, v19, 1.0
	s_delay_alu instid0(VALU_DEP_1) | instskip(NEXT) | instid1(VALU_DEP_1)
	v_fmac_f32_e32 v19, v30, v19
	v_mul_f32_e32 v30, v31, v19
	s_delay_alu instid0(VALU_DEP_1) | instskip(NEXT) | instid1(VALU_DEP_1)
	v_fma_f32 v32, v18, v30, v31
	v_fmac_f32_e32 v30, v32, v19
	s_delay_alu instid0(VALU_DEP_1) | instskip(NEXT) | instid1(VALU_DEP_1)
	v_fmac_f32_e32 v31, v18, v30
	v_div_fmas_f32 v18, v31, v19, v30
	s_delay_alu instid0(VALU_DEP_1) | instskip(NEXT) | instid1(VALU_DEP_1)
	v_div_fixup_f32 v18, v18, v20, v21
	v_fmac_f32_e32 v20, v21, v18
	s_delay_alu instid0(VALU_DEP_1) | instskip(SKIP_1) | instid1(VALU_DEP_2)
	v_div_scale_f32 v19, null, v20, v20, 1.0
	v_div_scale_f32 v31, vcc_lo, 1.0, v20, 1.0
	v_rcp_f32_e32 v21, v19
	v_nop
	v_xor_b32_e32 v19, 0x80000000, v19
	s_delay_alu instid0(TRANS32_DEP_1) | instid1(VALU_DEP_1)
	v_fma_f32 v30, v19, v21, 1.0
	s_delay_alu instid0(VALU_DEP_1) | instskip(NEXT) | instid1(VALU_DEP_1)
	v_fmac_f32_e32 v21, v30, v21
	v_mul_f32_e32 v30, v31, v21
	s_delay_alu instid0(VALU_DEP_1) | instskip(NEXT) | instid1(VALU_DEP_1)
	v_fma_f32 v32, v19, v30, v31
	v_fmac_f32_e32 v30, v32, v21
	s_delay_alu instid0(VALU_DEP_1) | instskip(NEXT) | instid1(VALU_DEP_1)
	v_fmac_f32_e32 v31, v19, v30
	v_div_fmas_f32 v19, v31, v21, v30
	v_fma_f32 v21, v18, v23, v22
	s_delay_alu instid0(VALU_DEP_2) | instskip(NEXT) | instid1(VALU_DEP_1)
	v_div_fixup_f32 v19, v19, v20, 1.0
	v_dual_fma_f32 v20, -v18, v22, v23 :: v_dual_mul_f32 v18, v21, v19
	s_delay_alu instid0(VALU_DEP_1)
	v_mul_f32_e32 v19, v20, v19
.LBB152_67:                             ;   in Loop: Header=BB152_57 Depth=2
	s_add_co_i32 s52, s35, -16
	s_lshl_b32 s50, s50, 3
	v_mov_b32_e32 v20, s52
	s_sub_co_i32 s51, s51, s50
	s_lshl_b32 s50, s49, 3
	s_lshl_b32 s49, s49, 7
	s_add_co_i32 s52, s51, s50
	s_add_co_i32 s49, s34, s49
	v_mov_b32_e32 v21, s52
	ds_load_b64 v[22:23], v20
	s_add_co_i32 s49, s49, -16
	v_mov_b32_e32 v32, v17
	s_mov_b32 s52, -1
	ds_load_b64 v[30:31], v21
	v_mov_b32_e32 v20, s49
	ds_store_b64 v29, v[18:19]
	ds_load_b64 v[20:21], v20
	s_wait_dscnt 0x3
	v_pk_mul_f32 v[32:33], v[32:33], v[22:23] op_sel_hi:[0,1]
	s_delay_alu instid0(VALU_DEP_1) | instskip(SKIP_2) | instid1(VALU_DEP_3)
	v_pk_fma_f32 v[36:37], v[16:17], v[22:23], v[32:33] op_sel:[0,0,1] op_sel_hi:[0,1,0]
	v_mov_b32_e32 v34, v19
	v_pk_fma_f32 v[22:23], v[16:17], v[22:23], v[32:33] op_sel:[0,0,1] op_sel_hi:[1,1,0] neg_lo:[0,0,1] neg_hi:[0,0,1]
	v_mov_b32_e32 v23, v37
	s_wait_dscnt 0x2
	s_delay_alu instid0(VALU_DEP_3) | instskip(SKIP_3) | instid1(VALU_DEP_3)
	v_pk_mul_f32 v[34:35], v[34:35], v[30:31] op_sel_hi:[0,1]
	s_wait_dscnt 0x0
	v_and_b32_e32 v36, 0x7fffffff, v21
	v_pk_add_f32 v[2:3], v[2:3], v[22:23] neg_lo:[0,1] neg_hi:[0,1]
	v_pk_fma_f32 v[32:33], v[18:19], v[30:31], v[34:35] op_sel:[0,0,1] op_sel_hi:[0,1,0]
	v_and_b32_e32 v32, 0x7fffffff, v20
	v_pk_fma_f32 v[30:31], v[18:19], v[30:31], v[34:35] op_sel:[0,0,1] op_sel_hi:[1,1,0] neg_lo:[0,0,1] neg_hi:[0,0,1]
                                        ; implicit-def: $vgpr22_vgpr23
	s_delay_alu instid0(VALU_DEP_3) | instskip(NEXT) | instid1(VALU_DEP_3)
	v_mov_b32_e32 v31, v33
	v_cmp_ngt_f32_e32 vcc_lo, v32, v36
	s_delay_alu instid0(VALU_DEP_2)
	v_pk_add_f32 v[2:3], v[2:3], v[30:31] neg_lo:[0,1] neg_hi:[0,1]
	s_cbranch_vccz .LBB152_69
; %bb.68:                               ;   in Loop: Header=BB152_57 Depth=2
	v_div_scale_f32 v22, null, v21, v21, v20
	v_div_scale_f32 v30, vcc_lo, v20, v21, v20
	s_mov_b32 s52, 0
	v_rcp_f32_e32 v23, v22
	v_nop
	v_xor_b32_e32 v22, 0x80000000, v22
	s_delay_alu instid0(TRANS32_DEP_1) | instid1(VALU_DEP_1)
	v_fma_f32 v29, v22, v23, 1.0
	s_delay_alu instid0(VALU_DEP_1) | instskip(NEXT) | instid1(VALU_DEP_1)
	v_fmac_f32_e32 v23, v29, v23
	v_mul_f32_e32 v29, v30, v23
	s_delay_alu instid0(VALU_DEP_1) | instskip(NEXT) | instid1(VALU_DEP_1)
	v_fma_f32 v31, v22, v29, v30
	v_fmac_f32_e32 v29, v31, v23
	s_delay_alu instid0(VALU_DEP_1) | instskip(NEXT) | instid1(VALU_DEP_1)
	v_fmac_f32_e32 v30, v22, v29
	v_div_fmas_f32 v22, v30, v23, v29
	s_delay_alu instid0(VALU_DEP_1) | instskip(NEXT) | instid1(VALU_DEP_1)
	v_div_fixup_f32 v22, v22, v21, v20
	v_fma_f32 v23, v20, v22, v21
	s_delay_alu instid0(VALU_DEP_1) | instskip(SKIP_1) | instid1(VALU_DEP_2)
	v_div_scale_f32 v29, null, v23, v23, 1.0
	v_div_scale_f32 v32, vcc_lo, 1.0, v23, 1.0
	v_rcp_f32_e32 v31, v29
	v_nop
	v_xor_b32_e32 v29, 0x80000000, v29
	s_delay_alu instid0(TRANS32_DEP_1) | instid1(VALU_DEP_1)
	v_fma_f32 v30, v29, v31, 1.0
	s_delay_alu instid0(VALU_DEP_1) | instskip(NEXT) | instid1(VALU_DEP_1)
	v_fmac_f32_e32 v31, v30, v31
	v_mul_f32_e32 v33, v32, v31
	s_delay_alu instid0(VALU_DEP_1) | instskip(NEXT) | instid1(VALU_DEP_1)
	v_fma_f32 v30, v29, v33, v32
	v_dual_fmac_f32 v33, v30, v31 :: v_dual_mov_b32 v30, v3
	s_delay_alu instid0(VALU_DEP_1) | instskip(NEXT) | instid1(VALU_DEP_1)
	v_fmac_f32_e32 v32, v29, v33
	v_div_fmas_f32 v29, v32, v31, v33
	s_delay_alu instid0(VALU_DEP_3) | instskip(NEXT) | instid1(VALU_DEP_2)
	v_pk_fma_f32 v[30:31], v[22:23], v[2:3], v[30:31]
	v_div_fixup_f32 v31, v29, v23, 1.0
	s_delay_alu instid0(VALU_DEP_1) | instskip(NEXT) | instid1(VALU_DEP_1)
	v_dual_fma_f32 v23, v22, v3, -v2 :: v_dual_mov_b32 v22, v31
	v_pk_mul_f32 v[22:23], v[30:31], v[22:23]
.LBB152_69:                             ;   in Loop: Header=BB152_57 Depth=2
	s_and_not1_b32 vcc_lo, exec_lo, s52
	s_cbranch_vccnz .LBB152_71
; %bb.70:                               ;   in Loop: Header=BB152_57 Depth=2
	v_div_scale_f32 v22, null, v20, v20, v21
	v_div_scale_f32 v30, vcc_lo, v21, v20, v21
	s_delay_alu instid0(VALU_DEP_2)
	v_rcp_f32_e32 v23, v22
	v_nop
	v_xor_b32_e32 v22, 0x80000000, v22
	s_delay_alu instid0(TRANS32_DEP_1) | instid1(VALU_DEP_1)
	v_fma_f32 v29, v22, v23, 1.0
	s_delay_alu instid0(VALU_DEP_1) | instskip(NEXT) | instid1(VALU_DEP_1)
	v_fmac_f32_e32 v23, v29, v23
	v_mul_f32_e32 v29, v30, v23
	s_delay_alu instid0(VALU_DEP_1) | instskip(NEXT) | instid1(VALU_DEP_1)
	v_fma_f32 v31, v22, v29, v30
	v_fmac_f32_e32 v29, v31, v23
	s_delay_alu instid0(VALU_DEP_1) | instskip(NEXT) | instid1(VALU_DEP_1)
	v_fmac_f32_e32 v30, v22, v29
	v_div_fmas_f32 v22, v30, v23, v29
	s_delay_alu instid0(VALU_DEP_1) | instskip(NEXT) | instid1(VALU_DEP_1)
	v_div_fixup_f32 v22, v22, v20, v21
	v_fmac_f32_e32 v20, v21, v22
	s_delay_alu instid0(VALU_DEP_1) | instskip(SKIP_1) | instid1(VALU_DEP_2)
	v_div_scale_f32 v21, null, v20, v20, 1.0
	v_div_scale_f32 v30, vcc_lo, 1.0, v20, 1.0
	v_rcp_f32_e32 v23, v21
	v_nop
	v_xor_b32_e32 v21, 0x80000000, v21
	s_delay_alu instid0(TRANS32_DEP_1) | instid1(VALU_DEP_1)
	v_fma_f32 v29, v21, v23, 1.0
	s_delay_alu instid0(VALU_DEP_1) | instskip(NEXT) | instid1(VALU_DEP_1)
	v_fmac_f32_e32 v23, v29, v23
	v_mul_f32_e32 v29, v30, v23
	s_delay_alu instid0(VALU_DEP_1) | instskip(NEXT) | instid1(VALU_DEP_1)
	v_fma_f32 v31, v21, v29, v30
	v_fmac_f32_e32 v29, v31, v23
	s_delay_alu instid0(VALU_DEP_1) | instskip(NEXT) | instid1(VALU_DEP_1)
	v_fmac_f32_e32 v30, v21, v29
	v_div_fmas_f32 v21, v30, v23, v29
	v_pk_fma_f32 v[30:31], v[22:23], v[2:3], v[2:3] op_sel:[0,1,0] op_sel_hi:[0,0,1] neg_lo:[1,0,0] neg_hi:[1,0,0]
	v_pk_fma_f32 v[2:3], v[22:23], v[2:3], v[2:3] op_sel:[0,1,0] op_sel_hi:[1,0,1]
	s_delay_alu instid0(VALU_DEP_3) | instskip(NEXT) | instid1(VALU_DEP_3)
	v_div_fixup_f32 v20, v21, v20, 1.0
	v_mov_b32_e32 v3, v31
	s_delay_alu instid0(VALU_DEP_1)
	v_pk_mul_f32 v[22:23], v[2:3], v[20:21] op_sel_hi:[1,0]
.LBB152_71:                             ;   in Loop: Header=BB152_57 Depth=2
	s_sub_co_i32 s35, s35, 24
	s_lshl_b32 s31, s31, 3
	v_mov_b32_e32 v2, s35
	s_add_co_i32 s35, s51, s31
	s_add_co_i32 s34, s34, s30
	v_mov_b32_e32 v3, s35
	s_sub_co_i32 s35, s49, s50
	ds_load_b64 v[20:21], v2
	s_add_co_i32 s31, s35, s31
	v_mov_b32_e32 v34, v17
	ds_load_b64 v[30:31], v3
	v_mov_b32_e32 v2, s31
	s_sub_co_i32 s30, s34, 24
	v_dual_mov_b32 v37, v19 :: v_dual_mov_b32 v35, v17
	v_dual_mov_b32 v17, v16 :: v_dual_mov_b32 v36, v19
	ds_load_b64 v[32:33], v2
	v_dual_mov_b32 v2, s30 :: v_dual_mov_b32 v19, v18
	s_mov_b32 s30, -1
	ds_store_b64 v28, v[22:23]
	ds_load_b64 v[2:3], v2
	s_wait_dscnt 0x4
	v_pk_mul_f32 v[34:35], v[34:35], v[20:21]
	s_wait_dscnt 0x3
	v_pk_mul_f32 v[36:37], v[36:37], v[30:31]
	s_delay_alu instid0(VALU_DEP_2) | instskip(SKIP_1) | instid1(VALU_DEP_3)
	v_pk_fma_f32 v[38:39], v[16:17], v[20:21], v[34:35] op_sel:[0,0,1] op_sel_hi:[1,1,0]
	v_pk_fma_f32 v[16:17], v[16:17], v[20:21], v[34:35] op_sel:[0,0,1] op_sel_hi:[1,1,0] neg_lo:[0,0,1] neg_hi:[0,0,1]
	v_pk_fma_f32 v[20:21], v[18:19], v[30:31], v[36:37] op_sel:[0,0,1] op_sel_hi:[1,1,0]
	v_pk_fma_f32 v[18:19], v[18:19], v[30:31], v[36:37] op_sel:[0,0,1] op_sel_hi:[1,1,0] neg_lo:[0,0,1] neg_hi:[0,0,1]
	s_delay_alu instid0(VALU_DEP_4) | instskip(SKIP_3) | instid1(VALU_DEP_3)
	v_mov_b32_e32 v17, v39
	s_wait_dscnt 0x2
	v_pk_mul_f32 v[34:35], v[22:23], v[32:33] op_sel:[1,1] op_sel_hi:[1,0]
	v_mov_b32_e32 v19, v21
	v_pk_add_f32 v[0:1], v[0:1], v[16:17] neg_lo:[0,1] neg_hi:[0,1]
	s_delay_alu instid0(VALU_DEP_3)
	v_pk_fma_f32 v[16:17], v[22:23], v[32:33], v[34:35] op_sel_hi:[0,1,1]
	s_wait_dscnt 0x0
	v_and_b32_e32 v16, 0x7fffffff, v2
	v_and_b32_e32 v29, 0x7fffffff, v3
	v_pk_fma_f32 v[20:21], v[22:23], v[32:33], v[34:35] neg_lo:[0,0,1] neg_hi:[0,0,1]
	v_pk_add_f32 v[0:1], v[0:1], v[18:19] neg_lo:[0,1] neg_hi:[0,1]
	v_mov_b32_e32 v21, v17
	s_delay_alu instid0(VALU_DEP_4) | instskip(NEXT) | instid1(VALU_DEP_2)
	v_cmp_ngt_f32_e32 vcc_lo, v16, v29
                                        ; implicit-def: $vgpr16_vgpr17
	v_pk_add_f32 v[0:1], v[0:1], v[20:21] neg_lo:[0,1] neg_hi:[0,1]
	s_cbranch_vccz .LBB152_73
; %bb.72:                               ;   in Loop: Header=BB152_57 Depth=2
	v_div_scale_f32 v16, null, v3, v3, v2
	v_div_scale_f32 v19, vcc_lo, v2, v3, v2
	s_mov_b32 s30, 0
	v_rcp_f32_e32 v17, v16
	v_nop
	v_xor_b32_e32 v16, 0x80000000, v16
	s_delay_alu instid0(TRANS32_DEP_1) | instid1(VALU_DEP_1)
	v_fma_f32 v18, v16, v17, 1.0
	s_delay_alu instid0(VALU_DEP_1) | instskip(NEXT) | instid1(VALU_DEP_1)
	v_fmac_f32_e32 v17, v18, v17
	v_mul_f32_e32 v18, v19, v17
	s_delay_alu instid0(VALU_DEP_1) | instskip(NEXT) | instid1(VALU_DEP_1)
	v_fma_f32 v20, v16, v18, v19
	v_fmac_f32_e32 v18, v20, v17
	s_delay_alu instid0(VALU_DEP_1) | instskip(NEXT) | instid1(VALU_DEP_1)
	v_fmac_f32_e32 v19, v16, v18
	v_div_fmas_f32 v16, v19, v17, v18
	s_delay_alu instid0(VALU_DEP_1) | instskip(NEXT) | instid1(VALU_DEP_1)
	v_div_fixup_f32 v16, v16, v3, v2
	v_fma_f32 v17, v2, v16, v3
	s_delay_alu instid0(VALU_DEP_1) | instskip(NEXT) | instid1(VALU_DEP_1)
	v_div_scale_f32 v18, null, v17, v17, 1.0
	v_rcp_f32_e32 v19, v18
	v_nop
	v_xor_b32_e32 v18, 0x80000000, v18
	s_delay_alu instid0(TRANS32_DEP_1) | instid1(VALU_DEP_1)
	v_fma_f32 v20, v18, v19, 1.0
	s_delay_alu instid0(VALU_DEP_1) | instskip(SKIP_1) | instid1(VALU_DEP_1)
	v_fmac_f32_e32 v19, v20, v19
	v_div_scale_f32 v20, vcc_lo, 1.0, v17, 1.0
	v_mul_f32_e32 v21, v20, v19
	s_delay_alu instid0(VALU_DEP_1) | instskip(NEXT) | instid1(VALU_DEP_1)
	v_fma_f32 v22, v18, v21, v20
	v_fmac_f32_e32 v21, v22, v19
	s_delay_alu instid0(VALU_DEP_1) | instskip(NEXT) | instid1(VALU_DEP_1)
	v_dual_fmac_f32 v20, v18, v21 :: v_dual_mov_b32 v18, v1
	v_div_fmas_f32 v20, v20, v19, v21
	s_delay_alu instid0(VALU_DEP_2) | instskip(NEXT) | instid1(VALU_DEP_2)
	v_pk_fma_f32 v[18:19], v[16:17], v[0:1], v[18:19]
	v_div_fixup_f32 v19, v20, v17, 1.0
	s_delay_alu instid0(VALU_DEP_1) | instskip(NEXT) | instid1(VALU_DEP_1)
	v_dual_fma_f32 v17, v16, v1, -v0 :: v_dual_mov_b32 v16, v19
	v_pk_mul_f32 v[16:17], v[18:19], v[16:17]
.LBB152_73:                             ;   in Loop: Header=BB152_57 Depth=2
	s_and_not1_b32 vcc_lo, exec_lo, s30
	s_cbranch_vccnz .LBB152_75
; %bb.74:                               ;   in Loop: Header=BB152_57 Depth=2
	v_div_scale_f32 v16, null, v2, v2, v3
	v_div_scale_f32 v19, vcc_lo, v3, v2, v3
	s_delay_alu instid0(VALU_DEP_2)
	v_rcp_f32_e32 v17, v16
	v_nop
	v_xor_b32_e32 v16, 0x80000000, v16
	s_delay_alu instid0(TRANS32_DEP_1) | instid1(VALU_DEP_1)
	v_fma_f32 v18, v16, v17, 1.0
	s_delay_alu instid0(VALU_DEP_1) | instskip(NEXT) | instid1(VALU_DEP_1)
	v_fmac_f32_e32 v17, v18, v17
	v_mul_f32_e32 v18, v19, v17
	s_delay_alu instid0(VALU_DEP_1) | instskip(NEXT) | instid1(VALU_DEP_1)
	v_fma_f32 v20, v16, v18, v19
	v_fmac_f32_e32 v18, v20, v17
	s_delay_alu instid0(VALU_DEP_1) | instskip(NEXT) | instid1(VALU_DEP_1)
	v_fmac_f32_e32 v19, v16, v18
	v_div_fmas_f32 v16, v19, v17, v18
	s_delay_alu instid0(VALU_DEP_1) | instskip(NEXT) | instid1(VALU_DEP_1)
	v_div_fixup_f32 v16, v16, v2, v3
	v_fmac_f32_e32 v2, v3, v16
	s_delay_alu instid0(VALU_DEP_1) | instskip(SKIP_1) | instid1(VALU_DEP_2)
	v_div_scale_f32 v3, null, v2, v2, 1.0
	v_div_scale_f32 v19, vcc_lo, 1.0, v2, 1.0
	v_rcp_f32_e32 v17, v3
	v_nop
	v_xor_b32_e32 v3, 0x80000000, v3
	s_delay_alu instid0(TRANS32_DEP_1) | instid1(VALU_DEP_1)
	v_fma_f32 v18, v3, v17, 1.0
	s_delay_alu instid0(VALU_DEP_1) | instskip(NEXT) | instid1(VALU_DEP_1)
	v_fmac_f32_e32 v17, v18, v17
	v_mul_f32_e32 v18, v19, v17
	s_delay_alu instid0(VALU_DEP_1) | instskip(NEXT) | instid1(VALU_DEP_1)
	v_fma_f32 v20, v3, v18, v19
	v_fmac_f32_e32 v18, v20, v17
	s_delay_alu instid0(VALU_DEP_1) | instskip(NEXT) | instid1(VALU_DEP_1)
	v_fmac_f32_e32 v19, v3, v18
	v_div_fmas_f32 v3, v19, v17, v18
	v_pk_fma_f32 v[18:19], v[16:17], v[0:1], v[0:1] op_sel:[0,1,0] op_sel_hi:[0,0,1] neg_lo:[1,0,0] neg_hi:[1,0,0]
	v_pk_fma_f32 v[0:1], v[16:17], v[0:1], v[0:1] op_sel:[0,1,0] op_sel_hi:[1,0,1]
	s_delay_alu instid0(VALU_DEP_3) | instskip(NEXT) | instid1(VALU_DEP_3)
	v_div_fixup_f32 v2, v3, v2, 1.0
	v_mov_b32_e32 v1, v19
	s_delay_alu instid0(VALU_DEP_1)
	v_pk_mul_f32 v[16:17], v[0:1], v[2:3] op_sel_hi:[1,0]
.LBB152_75:                             ;   in Loop: Header=BB152_57 Depth=2
	s_add_co_i32 s30, s18, -4
	s_sub_co_i32 s3, s3, 32
	s_cmp_lt_i32 s18, 7
	ds_store_b64 v27, v[16:17]
	s_cbranch_scc1 .LBB152_77
; %bb.76:                               ;   in Loop: Header=BB152_57 Depth=2
	s_mov_b32 s18, s30
	s_branch .LBB152_57
.LBB152_77:                             ;   in Loop: Header=BB152_3 Depth=1
	s_cmp_lt_i32 s30, 0
	s_cbranch_scc1 .LBB152_86
; %bb.78:                               ;   in Loop: Header=BB152_3 Depth=1
	s_lshl_b32 s3, s30, 3
	s_delay_alu instid0(SALU_CYCLE_1)
	s_add_co_i32 s3, s46, s3
	s_branch .LBB152_80
.LBB152_79:                             ;   in Loop: Header=BB152_80 Depth=2
	s_add_co_i32 s18, s30, -1
	s_add_co_i32 s3, s3, -8
	s_cmp_lt_i32 s30, 1
	s_mov_b32 s30, s18
	ds_store_b64 v18, v[16:17]
	s_cbranch_scc1 .LBB152_86
.LBB152_80:                             ;   Parent Loop BB152_3 Depth=1
                                        ; =>  This Loop Header: Depth=2
                                        ;       Child Loop BB152_81 Depth 3
	s_lshl_b32 s18, s30, 7
	s_cmp_le_i32 s38, s30
	v_dual_add_nc_u32 v18, s18, v24 :: v_dual_mov_b32 v2, v5
	s_mov_b32 s31, s3
	s_mov_b32 s34, s38
	ds_load_b64 v[0:1], v18
	s_cbranch_scc1 .LBB152_82
.LBB152_81:                             ;   Parent Loop BB152_3 Depth=1
                                        ;     Parent Loop BB152_80 Depth=2
                                        ; =>    This Inner Loop Header: Depth=3
	v_mov_b32_e32 v3, s31
	s_add_co_i32 s34, s34, -1
	s_addk_co_i32 s31, 0xff80
	s_cmp_le_i32 s34, s30
	ds_load_b64 v[16:17], v2
	ds_load_b64 v[20:21], v3
	v_add_nc_u32_e32 v2, 0xffffff80, v2
	s_wait_dscnt 0x0
	v_pk_mul_f32 v[22:23], v[20:21], v[16:17] op_sel:[1,1] op_sel_hi:[0,1]
	s_delay_alu instid0(VALU_DEP_1) | instskip(SKIP_1) | instid1(VALU_DEP_2)
	v_pk_fma_f32 v[28:29], v[20:21], v[16:17], v[22:23] op_sel_hi:[1,0,1]
	v_pk_fma_f32 v[16:17], v[20:21], v[16:17], v[22:23] op_sel_hi:[1,0,1] neg_lo:[0,0,1] neg_hi:[0,0,1]
	v_mov_b32_e32 v17, v29
	s_delay_alu instid0(VALU_DEP_1)
	v_pk_add_f32 v[0:1], v[0:1], v[16:17] neg_lo:[0,1] neg_hi:[0,1]
	s_cbranch_scc0 .LBB152_81
.LBB152_82:                             ;   in Loop: Header=BB152_80 Depth=2
	s_lshl_b32 s31, s30, 3
	s_delay_alu instid0(SALU_CYCLE_1) | instskip(NEXT) | instid1(SALU_CYCLE_1)
	s_add_co_i32 s18, s31, s18
	v_mov_b32_e32 v2, s18
	s_mov_b32 s18, -1
	ds_load_b64 v[2:3], v2
	s_wait_dscnt 0x0
	v_and_b32_e32 v16, 0x7fffffff, v2
	v_and_b32_e32 v17, 0x7fffffff, v3
	s_delay_alu instid0(VALU_DEP_1)
	v_cmp_ngt_f32_e32 vcc_lo, v16, v17
                                        ; implicit-def: $vgpr16_vgpr17
	s_cbranch_vccz .LBB152_84
; %bb.83:                               ;   in Loop: Header=BB152_80 Depth=2
	v_div_scale_f32 v16, null, v3, v3, v2
	v_div_scale_f32 v20, vcc_lo, v2, v3, v2
	s_mov_b32 s18, 0
	v_rcp_f32_e32 v17, v16
	v_nop
	v_xor_b32_e32 v16, 0x80000000, v16
	s_delay_alu instid0(TRANS32_DEP_1) | instid1(VALU_DEP_1)
	v_fma_f32 v19, v16, v17, 1.0
	s_delay_alu instid0(VALU_DEP_1) | instskip(NEXT) | instid1(VALU_DEP_1)
	v_fmac_f32_e32 v17, v19, v17
	v_mul_f32_e32 v19, v20, v17
	s_delay_alu instid0(VALU_DEP_1) | instskip(NEXT) | instid1(VALU_DEP_1)
	v_fma_f32 v21, v16, v19, v20
	v_fmac_f32_e32 v19, v21, v17
	s_delay_alu instid0(VALU_DEP_1) | instskip(NEXT) | instid1(VALU_DEP_1)
	v_fmac_f32_e32 v20, v16, v19
	v_div_fmas_f32 v16, v20, v17, v19
	s_delay_alu instid0(VALU_DEP_1) | instskip(NEXT) | instid1(VALU_DEP_1)
	v_div_fixup_f32 v16, v16, v3, v2
	v_fma_f32 v19, v2, v16, v3
	s_delay_alu instid0(VALU_DEP_1) | instskip(SKIP_1) | instid1(VALU_DEP_2)
	v_div_scale_f32 v17, null, v19, v19, 1.0
	v_div_scale_f32 v22, vcc_lo, 1.0, v19, 1.0
	v_rcp_f32_e32 v20, v17
	v_nop
	v_xor_b32_e32 v17, 0x80000000, v17
	s_delay_alu instid0(TRANS32_DEP_1) | instid1(VALU_DEP_1)
	v_fma_f32 v21, v17, v20, 1.0
	s_delay_alu instid0(VALU_DEP_1) | instskip(NEXT) | instid1(VALU_DEP_1)
	v_fmac_f32_e32 v20, v21, v20
	v_mul_f32_e32 v21, v22, v20
	s_delay_alu instid0(VALU_DEP_1) | instskip(NEXT) | instid1(VALU_DEP_1)
	v_fma_f32 v23, v17, v21, v22
	v_fmac_f32_e32 v21, v23, v20
	s_delay_alu instid0(VALU_DEP_1) | instskip(NEXT) | instid1(VALU_DEP_1)
	v_fmac_f32_e32 v22, v17, v21
	v_div_fmas_f32 v22, v22, v20, v21
	v_pk_fma_f32 v[20:21], v[0:1], v[16:17], v[0:1] op_sel:[0,0,1] op_sel_hi:[1,0,0] neg_lo:[0,0,1] neg_hi:[0,0,1]
	v_pk_fma_f32 v[16:17], v[0:1], v[16:17], v[0:1] op_sel:[0,0,1] op_sel_hi:[1,0,0]
	s_delay_alu instid0(VALU_DEP_3) | instskip(NEXT) | instid1(VALU_DEP_3)
	v_div_fixup_f32 v20, v22, v19, 1.0
	v_mov_b32_e32 v17, v21
	s_delay_alu instid0(VALU_DEP_1)
	v_pk_mul_f32 v[16:17], v[16:17], v[20:21] op_sel_hi:[1,0]
.LBB152_84:                             ;   in Loop: Header=BB152_80 Depth=2
	s_and_not1_b32 vcc_lo, exec_lo, s18
	s_cbranch_vccnz .LBB152_79
; %bb.85:                               ;   in Loop: Header=BB152_80 Depth=2
	v_div_scale_f32 v16, null, v2, v2, v3
	v_div_scale_f32 v20, vcc_lo, v3, v2, v3
	s_delay_alu instid0(VALU_DEP_2)
	v_rcp_f32_e32 v17, v16
	v_nop
	v_xor_b32_e32 v16, 0x80000000, v16
	s_delay_alu instid0(TRANS32_DEP_1) | instid1(VALU_DEP_1)
	v_fma_f32 v19, v16, v17, 1.0
	s_delay_alu instid0(VALU_DEP_1) | instskip(NEXT) | instid1(VALU_DEP_1)
	v_fmac_f32_e32 v17, v19, v17
	v_mul_f32_e32 v19, v20, v17
	s_delay_alu instid0(VALU_DEP_1) | instskip(NEXT) | instid1(VALU_DEP_1)
	v_fma_f32 v21, v16, v19, v20
	v_fmac_f32_e32 v19, v21, v17
	s_delay_alu instid0(VALU_DEP_1) | instskip(NEXT) | instid1(VALU_DEP_1)
	v_fmac_f32_e32 v20, v16, v19
	v_div_fmas_f32 v16, v20, v17, v19
	s_delay_alu instid0(VALU_DEP_1) | instskip(NEXT) | instid1(VALU_DEP_1)
	v_div_fixup_f32 v16, v16, v2, v3
	v_fmac_f32_e32 v2, v3, v16
	s_delay_alu instid0(VALU_DEP_1) | instskip(SKIP_1) | instid1(VALU_DEP_2)
	v_div_scale_f32 v3, null, v2, v2, 1.0
	v_div_scale_f32 v20, vcc_lo, 1.0, v2, 1.0
	v_rcp_f32_e32 v17, v3
	v_nop
	v_xor_b32_e32 v3, 0x80000000, v3
	s_delay_alu instid0(TRANS32_DEP_1) | instid1(VALU_DEP_1)
	v_fma_f32 v19, v3, v17, 1.0
	s_delay_alu instid0(VALU_DEP_1) | instskip(NEXT) | instid1(VALU_DEP_1)
	v_fmac_f32_e32 v17, v19, v17
	v_mul_f32_e32 v19, v20, v17
	s_delay_alu instid0(VALU_DEP_1) | instskip(NEXT) | instid1(VALU_DEP_1)
	v_fma_f32 v21, v3, v19, v20
	v_fmac_f32_e32 v19, v21, v17
	s_delay_alu instid0(VALU_DEP_1) | instskip(NEXT) | instid1(VALU_DEP_1)
	v_fmac_f32_e32 v20, v3, v19
	v_div_fmas_f32 v3, v20, v17, v19
	v_pk_fma_f32 v[20:21], v[0:1], v[16:17], v[0:1] op_sel:[1,0,0] op_sel_hi:[0,0,1] neg_lo:[1,0,0] neg_hi:[1,0,0]
	v_pk_fma_f32 v[0:1], v[0:1], v[16:17], v[0:1] op_sel:[1,0,0] op_sel_hi:[0,0,1]
	s_delay_alu instid0(VALU_DEP_3) | instskip(NEXT) | instid1(VALU_DEP_3)
	v_div_fixup_f32 v2, v3, v2, 1.0
	v_mov_b32_e32 v1, v21
	s_delay_alu instid0(VALU_DEP_1)
	v_pk_mul_f32 v[16:17], v[0:1], v[2:3] op_sel_hi:[1,0]
	s_branch .LBB152_79
.LBB152_86:                             ;   in Loop: Header=BB152_3 Depth=1
	s_mov_b32 s3, 0
.LBB152_87:                             ;   in Loop: Header=BB152_3 Depth=1
	s_delay_alu instid0(SALU_CYCLE_1)
	s_and_not1_b32 vcc_lo, exec_lo, s3
	s_cbranch_vccnz .LBB152_119
; %bb.88:                               ;   in Loop: Header=BB152_3 Depth=1
	s_mov_b32 s30, s38
	s_and_not1_b32 vcc_lo, exec_lo, s42
	s_mov_b32 s3, s47
	s_mov_b32 s18, s38
	s_cbranch_vccnz .LBB152_110
.LBB152_89:                             ;   Parent Loop BB152_3 Depth=1
                                        ; =>  This Loop Header: Depth=2
                                        ;       Child Loop BB152_90 Depth 3
	s_add_co_i32 s49, s18, -1
	v_lshl_add_u32 v30, s18, 7, v24
	s_add_co_i32 s34, s18, -2
	v_lshl_add_u32 v29, s49, 7, v24
	;; [unrolled: 2-line block ×3, first 2 shown]
	v_lshl_add_u32 v27, s30, 7, v24
	ds_load_b64 v[0:1], v30
	ds_load_b64 v[22:23], v29
	;; [unrolled: 1-line block ×4, first 2 shown]
	v_mov_b32_e32 v2, v5
	s_cmp_le_i32 s38, s18
	s_mov_b32 s31, s3
	s_mov_b32 s35, s38
	s_cbranch_scc1 .LBB152_91
.LBB152_90:                             ;   Parent Loop BB152_3 Depth=1
                                        ;     Parent Loop BB152_89 Depth=2
                                        ; =>    This Inner Loop Header: Depth=3
	v_mov_b32_e32 v3, s31
	s_add_co_i32 s35, s35, -1
	s_add_co_i32 s31, s31, -8
	s_cmp_le_i32 s35, s18
	ds_load_b64 v[20:21], v2
	ds_load_2addr_b64 v[32:35], v3 offset1:16
	ds_load_2addr_b64 v[36:39], v3 offset0:32 offset1:48
	v_add_nc_u32_e32 v2, 0xffffff80, v2
	s_wait_dscnt 0x1
	v_pk_mul_f32 v[40:41], v[34:35], v[20:21] op_sel:[0,1]
	s_wait_dscnt 0x0
	v_dual_mul_f32 v3, v39, v21 :: v_dual_mul_f32 v31, v38, v21
	v_dual_mul_f32 v44, v37, v21 :: v_dual_mul_f32 v45, v37, v20
	v_pk_mul_f32 v[42:43], v[32:33], v[20:21] op_sel:[0,1]
	s_delay_alu instid0(VALU_DEP_3) | instskip(NEXT) | instid1(VALU_DEP_3)
	v_fma_f32 v3, v38, v20, -v3
	v_dual_fmac_f32 v31, v39, v20 :: v_dual_fma_f32 v44, v36, v20, -v44
	s_delay_alu instid0(VALU_DEP_4) | instskip(SKIP_4) | instid1(VALU_DEP_4)
	v_fmac_f32_e32 v45, v36, v21
	v_pk_fma_f32 v[36:37], v[34:35], v[20:21], v[40:41] op_sel:[0,0,1] op_sel_hi:[1,0,0]
	v_pk_fma_f32 v[38:39], v[32:33], v[20:21], v[42:43] op_sel:[0,0,1] op_sel_hi:[1,0,0]
	v_pk_fma_f32 v[34:35], v[34:35], v[20:21], v[40:41] op_sel:[0,0,1] op_sel_hi:[1,1,0] neg_lo:[0,0,1] neg_hi:[0,0,1]
	v_pk_fma_f32 v[20:21], v[32:33], v[20:21], v[42:43] op_sel:[0,0,1] op_sel_hi:[1,1,0] neg_lo:[0,0,1] neg_hi:[0,0,1]
	v_dual_sub_f32 v0, v0, v3 :: v_dual_mov_b32 v35, v37
	s_delay_alu instid0(VALU_DEP_4) | instskip(SKIP_1) | instid1(VALU_DEP_3)
	v_dual_mov_b32 v21, v39 :: v_dual_sub_f32 v1, v1, v31
	v_dual_sub_f32 v22, v22, v44 :: v_dual_sub_f32 v23, v23, v45
	v_pk_add_f32 v[18:19], v[18:19], v[34:35] neg_lo:[0,1] neg_hi:[0,1]
	s_delay_alu instid0(VALU_DEP_3)
	v_pk_add_f32 v[16:17], v[16:17], v[20:21] neg_lo:[0,1] neg_hi:[0,1]
	s_cbranch_scc0 .LBB152_90
.LBB152_91:                             ;   in Loop: Header=BB152_89 Depth=2
	s_lshl_b32 s50, s49, 4
	s_lshl_b32 s35, s34, 4
	;; [unrolled: 1-line block ×3, first 2 shown]
; %bb.92:                               ;   in Loop: Header=BB152_89 Depth=2
	s_mul_i32 s51, s18, 0x88
	s_delay_alu instid0(SALU_CYCLE_1)
	v_mov_b32_e32 v2, s51
	s_mov_b32 s51, -1
	ds_load_b64 v[2:3], v2
	s_wait_dscnt 0x0
	v_and_b32_e32 v20, 0x7fffffff, v2
	v_and_b32_e32 v21, 0x7fffffff, v3
	s_delay_alu instid0(VALU_DEP_1)
	v_cmp_ngt_f32_e32 vcc_lo, v20, v21
                                        ; implicit-def: $vgpr21
	s_cbranch_vccz .LBB152_94
; %bb.93:                               ;   in Loop: Header=BB152_89 Depth=2
	v_div_scale_f32 v20, null, v3, v3, v2
	v_div_scale_f32 v32, vcc_lo, v2, v3, v2
	s_mov_b32 s51, 0
	v_rcp_f32_e32 v21, v20
	v_nop
	v_xor_b32_e32 v20, 0x80000000, v20
	s_delay_alu instid0(TRANS32_DEP_1) | instid1(VALU_DEP_1)
	v_fma_f32 v31, v20, v21, 1.0
	s_delay_alu instid0(VALU_DEP_1) | instskip(NEXT) | instid1(VALU_DEP_1)
	v_fmac_f32_e32 v21, v31, v21
	v_mul_f32_e32 v31, v32, v21
	s_delay_alu instid0(VALU_DEP_1) | instskip(NEXT) | instid1(VALU_DEP_1)
	v_fma_f32 v33, v20, v31, v32
	v_fmac_f32_e32 v31, v33, v21
	s_delay_alu instid0(VALU_DEP_1) | instskip(NEXT) | instid1(VALU_DEP_1)
	v_fmac_f32_e32 v32, v20, v31
	v_div_fmas_f32 v20, v32, v21, v31
	s_delay_alu instid0(VALU_DEP_1) | instskip(NEXT) | instid1(VALU_DEP_1)
	v_div_fixup_f32 v20, v20, v3, v2
	v_fma_f32 v21, v2, v20, v3
	s_delay_alu instid0(VALU_DEP_1) | instskip(SKIP_1) | instid1(VALU_DEP_2)
	v_div_scale_f32 v31, null, v21, v21, 1.0
	v_div_scale_f32 v34, vcc_lo, 1.0, v21, 1.0
	v_rcp_f32_e32 v32, v31
	v_nop
	v_xor_b32_e32 v31, 0x80000000, v31
	s_delay_alu instid0(TRANS32_DEP_1) | instid1(VALU_DEP_1)
	v_fma_f32 v33, v31, v32, 1.0
	s_delay_alu instid0(VALU_DEP_1) | instskip(NEXT) | instid1(VALU_DEP_1)
	v_fmac_f32_e32 v32, v33, v32
	v_mul_f32_e32 v33, v34, v32
	s_delay_alu instid0(VALU_DEP_1) | instskip(NEXT) | instid1(VALU_DEP_1)
	v_fma_f32 v35, v31, v33, v34
	v_fmac_f32_e32 v33, v35, v32
	s_delay_alu instid0(VALU_DEP_1) | instskip(NEXT) | instid1(VALU_DEP_1)
	v_fmac_f32_e32 v34, v31, v33
	v_div_fmas_f32 v31, v34, v32, v33
	v_fma_f32 v32, v0, v20, v1
	s_delay_alu instid0(VALU_DEP_2) | instskip(NEXT) | instid1(VALU_DEP_1)
	v_div_fixup_f32 v21, v31, v21, 1.0
	v_dual_fma_f32 v31, v1, v20, -v0 :: v_dual_mul_f32 v20, v32, v21
	s_delay_alu instid0(VALU_DEP_1)
	v_mul_f32_e32 v21, v31, v21
.LBB152_94:                             ;   in Loop: Header=BB152_89 Depth=2
	s_and_not1_b32 vcc_lo, exec_lo, s51
	s_cbranch_vccnz .LBB152_96
; %bb.95:                               ;   in Loop: Header=BB152_89 Depth=2
	v_div_scale_f32 v20, null, v2, v2, v3
	v_div_scale_f32 v32, vcc_lo, v3, v2, v3
	s_delay_alu instid0(VALU_DEP_2)
	v_rcp_f32_e32 v21, v20
	v_nop
	v_xor_b32_e32 v20, 0x80000000, v20
	s_delay_alu instid0(TRANS32_DEP_1) | instid1(VALU_DEP_1)
	v_fma_f32 v31, v20, v21, 1.0
	s_delay_alu instid0(VALU_DEP_1) | instskip(NEXT) | instid1(VALU_DEP_1)
	v_fmac_f32_e32 v21, v31, v21
	v_mul_f32_e32 v31, v32, v21
	s_delay_alu instid0(VALU_DEP_1) | instskip(NEXT) | instid1(VALU_DEP_1)
	v_fma_f32 v33, v20, v31, v32
	v_fmac_f32_e32 v31, v33, v21
	s_delay_alu instid0(VALU_DEP_1) | instskip(NEXT) | instid1(VALU_DEP_1)
	v_fmac_f32_e32 v32, v20, v31
	v_div_fmas_f32 v20, v32, v21, v31
	s_delay_alu instid0(VALU_DEP_1) | instskip(NEXT) | instid1(VALU_DEP_1)
	v_div_fixup_f32 v20, v20, v2, v3
	v_fmac_f32_e32 v2, v3, v20
	s_delay_alu instid0(VALU_DEP_1) | instskip(SKIP_1) | instid1(VALU_DEP_2)
	v_div_scale_f32 v3, null, v2, v2, 1.0
	v_div_scale_f32 v32, vcc_lo, 1.0, v2, 1.0
	v_rcp_f32_e32 v21, v3
	v_nop
	v_xor_b32_e32 v3, 0x80000000, v3
	s_delay_alu instid0(TRANS32_DEP_1) | instid1(VALU_DEP_1)
	v_fma_f32 v31, v3, v21, 1.0
	s_delay_alu instid0(VALU_DEP_1) | instskip(NEXT) | instid1(VALU_DEP_1)
	v_fmac_f32_e32 v21, v31, v21
	v_mul_f32_e32 v31, v32, v21
	s_delay_alu instid0(VALU_DEP_1) | instskip(NEXT) | instid1(VALU_DEP_1)
	v_fma_f32 v33, v3, v31, v32
	v_fmac_f32_e32 v31, v33, v21
	s_delay_alu instid0(VALU_DEP_1) | instskip(NEXT) | instid1(VALU_DEP_1)
	v_fmac_f32_e32 v32, v3, v31
	v_div_fmas_f32 v3, v32, v21, v31
	v_dual_fma_f32 v21, v1, v20, v0 :: v_dual_fma_f32 v0, -v0, v20, v1
	s_delay_alu instid0(VALU_DEP_2) | instskip(NEXT) | instid1(VALU_DEP_1)
	v_div_fixup_f32 v2, v3, v2, 1.0
	v_dual_mul_f32 v20, v21, v2 :: v_dual_mul_f32 v21, v0, v2
.LBB152_96:                             ;   in Loop: Header=BB152_89 Depth=2
	s_lshl_b32 s50, s50, 3
	s_lshl_b32 s49, s49, 3
	ds_store_b64 v30, v[20:21]
	s_add_co_i32 s49, s50, s49
	s_delay_alu instid0(SALU_CYCLE_1)
	v_mov_b32_e32 v0, s49
	s_mov_b32 s49, -1
	ds_load_2addr_b64 v[0:3], v0 offset1:1
	s_wait_dscnt 0x0
	v_dual_mul_f32 v31, v21, v3 :: v_dual_mul_f32 v3, v20, v3
	v_and_b32_e32 v32, 0x7fffffff, v0
	v_and_b32_e32 v33, 0x7fffffff, v1
	s_delay_alu instid0(VALU_DEP_3) | instskip(NEXT) | instid1(VALU_DEP_4)
	v_fma_f32 v31, v20, v2, -v31
	v_fmac_f32_e32 v3, v21, v2
	s_delay_alu instid0(VALU_DEP_3) | instskip(NEXT) | instid1(VALU_DEP_3)
	v_cmp_ngt_f32_e32 vcc_lo, v32, v33
	v_sub_f32_e32 v2, v22, v31
	s_delay_alu instid0(VALU_DEP_3)
	v_sub_f32_e32 v3, v23, v3
                                        ; implicit-def: $vgpr23
	s_cbranch_vccz .LBB152_98
; %bb.97:                               ;   in Loop: Header=BB152_89 Depth=2
	v_div_scale_f32 v22, null, v1, v1, v0
	v_div_scale_f32 v31, vcc_lo, v0, v1, v0
	s_mov_b32 s49, 0
	v_rcp_f32_e32 v23, v22
	v_nop
	v_xor_b32_e32 v22, 0x80000000, v22
	s_delay_alu instid0(TRANS32_DEP_1) | instid1(VALU_DEP_1)
	v_fma_f32 v30, v22, v23, 1.0
	s_delay_alu instid0(VALU_DEP_1) | instskip(NEXT) | instid1(VALU_DEP_1)
	v_fmac_f32_e32 v23, v30, v23
	v_mul_f32_e32 v30, v31, v23
	s_delay_alu instid0(VALU_DEP_1) | instskip(NEXT) | instid1(VALU_DEP_1)
	v_fma_f32 v32, v22, v30, v31
	v_fmac_f32_e32 v30, v32, v23
	s_delay_alu instid0(VALU_DEP_1) | instskip(NEXT) | instid1(VALU_DEP_1)
	v_fmac_f32_e32 v31, v22, v30
	v_div_fmas_f32 v22, v31, v23, v30
	s_delay_alu instid0(VALU_DEP_1) | instskip(NEXT) | instid1(VALU_DEP_1)
	v_div_fixup_f32 v22, v22, v1, v0
	v_fma_f32 v23, v0, v22, v1
	s_delay_alu instid0(VALU_DEP_1) | instskip(SKIP_1) | instid1(VALU_DEP_2)
	v_div_scale_f32 v30, null, v23, v23, 1.0
	v_div_scale_f32 v33, vcc_lo, 1.0, v23, 1.0
	v_rcp_f32_e32 v31, v30
	v_nop
	v_xor_b32_e32 v30, 0x80000000, v30
	s_delay_alu instid0(TRANS32_DEP_1) | instid1(VALU_DEP_1)
	v_fma_f32 v32, v30, v31, 1.0
	s_delay_alu instid0(VALU_DEP_1) | instskip(NEXT) | instid1(VALU_DEP_1)
	v_fmac_f32_e32 v31, v32, v31
	v_mul_f32_e32 v32, v33, v31
	s_delay_alu instid0(VALU_DEP_1) | instskip(NEXT) | instid1(VALU_DEP_1)
	v_fma_f32 v34, v30, v32, v33
	v_fmac_f32_e32 v32, v34, v31
	s_delay_alu instid0(VALU_DEP_1) | instskip(NEXT) | instid1(VALU_DEP_1)
	v_fmac_f32_e32 v33, v30, v32
	v_div_fmas_f32 v30, v33, v31, v32
	v_fma_f32 v31, v22, v2, v3
	s_delay_alu instid0(VALU_DEP_2) | instskip(SKIP_1) | instid1(VALU_DEP_1)
	v_div_fixup_f32 v23, v30, v23, 1.0
	v_fma_f32 v30, v22, v3, -v2
	v_dual_mul_f32 v22, v31, v23 :: v_dual_mul_f32 v23, v30, v23
.LBB152_98:                             ;   in Loop: Header=BB152_89 Depth=2
	s_and_not1_b32 vcc_lo, exec_lo, s49
	s_cbranch_vccnz .LBB152_100
; %bb.99:                               ;   in Loop: Header=BB152_89 Depth=2
	v_div_scale_f32 v22, null, v0, v0, v1
	v_div_scale_f32 v31, vcc_lo, v1, v0, v1
	s_delay_alu instid0(VALU_DEP_2)
	v_rcp_f32_e32 v23, v22
	v_nop
	v_xor_b32_e32 v22, 0x80000000, v22
	s_delay_alu instid0(TRANS32_DEP_1) | instid1(VALU_DEP_1)
	v_fma_f32 v30, v22, v23, 1.0
	s_delay_alu instid0(VALU_DEP_1) | instskip(NEXT) | instid1(VALU_DEP_1)
	v_fmac_f32_e32 v23, v30, v23
	v_mul_f32_e32 v30, v31, v23
	s_delay_alu instid0(VALU_DEP_1) | instskip(NEXT) | instid1(VALU_DEP_1)
	v_fma_f32 v32, v22, v30, v31
	v_fmac_f32_e32 v30, v32, v23
	s_delay_alu instid0(VALU_DEP_1) | instskip(NEXT) | instid1(VALU_DEP_1)
	v_fmac_f32_e32 v31, v22, v30
	v_div_fmas_f32 v22, v31, v23, v30
	s_delay_alu instid0(VALU_DEP_1) | instskip(NEXT) | instid1(VALU_DEP_1)
	v_div_fixup_f32 v22, v22, v0, v1
	v_fmac_f32_e32 v0, v1, v22
	s_delay_alu instid0(VALU_DEP_1) | instskip(SKIP_1) | instid1(VALU_DEP_2)
	v_div_scale_f32 v1, null, v0, v0, 1.0
	v_div_scale_f32 v31, vcc_lo, 1.0, v0, 1.0
	v_rcp_f32_e32 v23, v1
	v_nop
	v_xor_b32_e32 v1, 0x80000000, v1
	s_delay_alu instid0(TRANS32_DEP_1) | instid1(VALU_DEP_1)
	v_fma_f32 v30, v1, v23, 1.0
	s_delay_alu instid0(VALU_DEP_1) | instskip(NEXT) | instid1(VALU_DEP_1)
	v_fmac_f32_e32 v23, v30, v23
	v_mul_f32_e32 v30, v31, v23
	s_delay_alu instid0(VALU_DEP_1) | instskip(NEXT) | instid1(VALU_DEP_1)
	v_fma_f32 v32, v1, v30, v31
	v_fmac_f32_e32 v30, v32, v23
	s_delay_alu instid0(VALU_DEP_1) | instskip(NEXT) | instid1(VALU_DEP_1)
	v_fmac_f32_e32 v31, v1, v30
	v_div_fmas_f32 v1, v31, v23, v30
	v_fma_f32 v23, v22, v3, v2
	s_delay_alu instid0(VALU_DEP_2) | instskip(NEXT) | instid1(VALU_DEP_1)
	v_div_fixup_f32 v0, v1, v0, 1.0
	v_dual_fma_f32 v1, -v22, v2, v3 :: v_dual_mul_f32 v22, v23, v0
	s_delay_alu instid0(VALU_DEP_1)
	v_mul_f32_e32 v23, v1, v0
.LBB152_100:                            ;   in Loop: Header=BB152_89 Depth=2
	s_lshl_b32 s49, s35, 3
	s_lshl_b32 s35, s18, 3
	;; [unrolled: 1-line block ×3, first 2 shown]
	s_add_co_i32 s50, s49, s35
	s_add_co_i32 s34, s49, s34
	v_dual_mov_b32 v0, s50 :: v_dual_mov_b32 v32, v21
	ds_store_b64 v29, v[22:23]
	v_mov_b32_e32 v34, v23
	ds_load_b64 v[30:31], v0
	v_mov_b32_e32 v0, s34
	s_mov_b32 s34, -1
	ds_load_2addr_b64 v[0:3], v0 offset1:1
	s_wait_dscnt 0x1
	v_pk_mul_f32 v[32:33], v[32:33], v[30:31] op_sel_hi:[0,1]
	s_delay_alu instid0(VALU_DEP_1) | instskip(SKIP_4) | instid1(VALU_DEP_3)
	v_pk_fma_f32 v[36:37], v[20:21], v[30:31], v[32:33] op_sel:[0,0,1] op_sel_hi:[0,1,0]
	s_wait_dscnt 0x0
	v_pk_mul_f32 v[34:35], v[34:35], v[2:3] op_sel_hi:[0,1]
	v_pk_fma_f32 v[30:31], v[20:21], v[30:31], v[32:33] op_sel:[0,0,1] op_sel_hi:[1,1,0] neg_lo:[0,0,1] neg_hi:[0,0,1]
	v_and_b32_e32 v36, 0x7fffffff, v1
	v_pk_fma_f32 v[32:33], v[22:23], v[2:3], v[34:35] op_sel:[0,0,1] op_sel_hi:[0,1,0]
	v_mov_b32_e32 v31, v37
	v_and_b32_e32 v32, 0x7fffffff, v0
	v_pk_fma_f32 v[2:3], v[22:23], v[2:3], v[34:35] op_sel:[0,0,1] op_sel_hi:[1,1,0] neg_lo:[0,0,1] neg_hi:[0,0,1]
	s_delay_alu instid0(VALU_DEP_4) | instskip(NEXT) | instid1(VALU_DEP_4)
	v_mov_b32_e32 v3, v33
	v_pk_add_f32 v[18:19], v[18:19], v[30:31] neg_lo:[0,1] neg_hi:[0,1]
	s_delay_alu instid0(VALU_DEP_4) | instskip(NEXT) | instid1(VALU_DEP_2)
	v_cmp_ngt_f32_e32 vcc_lo, v32, v36
	v_pk_add_f32 v[2:3], v[18:19], v[2:3] neg_lo:[0,1] neg_hi:[0,1]
                                        ; implicit-def: $vgpr18_vgpr19
	s_cbranch_vccz .LBB152_102
; %bb.101:                              ;   in Loop: Header=BB152_89 Depth=2
	v_div_scale_f32 v18, null, v1, v1, v0
	v_div_scale_f32 v30, vcc_lo, v0, v1, v0
	s_mov_b32 s34, 0
	v_rcp_f32_e32 v19, v18
	v_nop
	v_xor_b32_e32 v18, 0x80000000, v18
	s_delay_alu instid0(TRANS32_DEP_1) | instid1(VALU_DEP_1)
	v_fma_f32 v29, v18, v19, 1.0
	s_delay_alu instid0(VALU_DEP_1) | instskip(NEXT) | instid1(VALU_DEP_1)
	v_fmac_f32_e32 v19, v29, v19
	v_mul_f32_e32 v29, v30, v19
	s_delay_alu instid0(VALU_DEP_1) | instskip(NEXT) | instid1(VALU_DEP_1)
	v_fma_f32 v31, v18, v29, v30
	v_fmac_f32_e32 v29, v31, v19
	s_delay_alu instid0(VALU_DEP_1) | instskip(NEXT) | instid1(VALU_DEP_1)
	v_fmac_f32_e32 v30, v18, v29
	v_div_fmas_f32 v18, v30, v19, v29
	s_delay_alu instid0(VALU_DEP_1) | instskip(NEXT) | instid1(VALU_DEP_1)
	v_div_fixup_f32 v18, v18, v1, v0
	v_fma_f32 v19, v0, v18, v1
	s_delay_alu instid0(VALU_DEP_1) | instskip(SKIP_1) | instid1(VALU_DEP_2)
	v_div_scale_f32 v29, null, v19, v19, 1.0
	v_div_scale_f32 v32, vcc_lo, 1.0, v19, 1.0
	v_rcp_f32_e32 v31, v29
	v_nop
	v_xor_b32_e32 v29, 0x80000000, v29
	s_delay_alu instid0(TRANS32_DEP_1) | instid1(VALU_DEP_1)
	v_fma_f32 v30, v29, v31, 1.0
	s_delay_alu instid0(VALU_DEP_1) | instskip(NEXT) | instid1(VALU_DEP_1)
	v_fmac_f32_e32 v31, v30, v31
	v_mul_f32_e32 v33, v32, v31
	s_delay_alu instid0(VALU_DEP_1) | instskip(NEXT) | instid1(VALU_DEP_1)
	v_fma_f32 v30, v29, v33, v32
	v_dual_fmac_f32 v33, v30, v31 :: v_dual_mov_b32 v30, v3
	s_delay_alu instid0(VALU_DEP_1) | instskip(NEXT) | instid1(VALU_DEP_1)
	v_fmac_f32_e32 v32, v29, v33
	v_div_fmas_f32 v29, v32, v31, v33
	s_delay_alu instid0(VALU_DEP_3) | instskip(NEXT) | instid1(VALU_DEP_2)
	v_pk_fma_f32 v[30:31], v[18:19], v[2:3], v[30:31]
	v_div_fixup_f32 v31, v29, v19, 1.0
	s_delay_alu instid0(VALU_DEP_1) | instskip(NEXT) | instid1(VALU_DEP_1)
	v_dual_fma_f32 v19, v18, v3, -v2 :: v_dual_mov_b32 v18, v31
	v_pk_mul_f32 v[18:19], v[30:31], v[18:19]
.LBB152_102:                            ;   in Loop: Header=BB152_89 Depth=2
	s_and_not1_b32 vcc_lo, exec_lo, s34
	s_cbranch_vccnz .LBB152_104
; %bb.103:                              ;   in Loop: Header=BB152_89 Depth=2
	v_div_scale_f32 v18, null, v0, v0, v1
	v_div_scale_f32 v30, vcc_lo, v1, v0, v1
	s_delay_alu instid0(VALU_DEP_2)
	v_rcp_f32_e32 v19, v18
	v_nop
	v_xor_b32_e32 v18, 0x80000000, v18
	s_delay_alu instid0(TRANS32_DEP_1) | instid1(VALU_DEP_1)
	v_fma_f32 v29, v18, v19, 1.0
	s_delay_alu instid0(VALU_DEP_1) | instskip(NEXT) | instid1(VALU_DEP_1)
	v_fmac_f32_e32 v19, v29, v19
	v_mul_f32_e32 v29, v30, v19
	s_delay_alu instid0(VALU_DEP_1) | instskip(NEXT) | instid1(VALU_DEP_1)
	v_fma_f32 v31, v18, v29, v30
	v_fmac_f32_e32 v29, v31, v19
	s_delay_alu instid0(VALU_DEP_1) | instskip(NEXT) | instid1(VALU_DEP_1)
	v_fmac_f32_e32 v30, v18, v29
	v_div_fmas_f32 v18, v30, v19, v29
	s_delay_alu instid0(VALU_DEP_1) | instskip(NEXT) | instid1(VALU_DEP_1)
	v_div_fixup_f32 v18, v18, v0, v1
	v_fmac_f32_e32 v0, v1, v18
	s_delay_alu instid0(VALU_DEP_1) | instskip(SKIP_1) | instid1(VALU_DEP_2)
	v_div_scale_f32 v1, null, v0, v0, 1.0
	v_div_scale_f32 v30, vcc_lo, 1.0, v0, 1.0
	v_rcp_f32_e32 v19, v1
	v_nop
	v_xor_b32_e32 v1, 0x80000000, v1
	s_delay_alu instid0(TRANS32_DEP_1) | instid1(VALU_DEP_1)
	v_fma_f32 v29, v1, v19, 1.0
	s_delay_alu instid0(VALU_DEP_1) | instskip(NEXT) | instid1(VALU_DEP_1)
	v_fmac_f32_e32 v19, v29, v19
	v_mul_f32_e32 v29, v30, v19
	s_delay_alu instid0(VALU_DEP_1) | instskip(NEXT) | instid1(VALU_DEP_1)
	v_fma_f32 v31, v1, v29, v30
	v_fmac_f32_e32 v29, v31, v19
	s_delay_alu instid0(VALU_DEP_1) | instskip(NEXT) | instid1(VALU_DEP_1)
	v_fmac_f32_e32 v30, v1, v29
	v_div_fmas_f32 v1, v30, v19, v29
	v_pk_fma_f32 v[30:31], v[18:19], v[2:3], v[2:3] op_sel:[0,1,0] op_sel_hi:[0,0,1] neg_lo:[1,0,0] neg_hi:[1,0,0]
	v_pk_fma_f32 v[2:3], v[18:19], v[2:3], v[2:3] op_sel:[0,1,0] op_sel_hi:[1,0,1]
	s_delay_alu instid0(VALU_DEP_3) | instskip(NEXT) | instid1(VALU_DEP_3)
	v_div_fixup_f32 v0, v1, v0, 1.0
	v_mov_b32_e32 v3, v31
	s_delay_alu instid0(VALU_DEP_1)
	v_pk_mul_f32 v[18:19], v[2:3], v[0:1] op_sel_hi:[1,0]
.LBB152_104:                            ;   in Loop: Header=BB152_89 Depth=2
	s_lshl_b32 s31, s31, 3
	s_lshl_b32 s30, s30, 3
	s_add_co_i32 s34, s31, s35
	s_add_co_i32 s30, s31, s30
	s_add_co_i32 s34, s34, -8
	v_dual_mov_b32 v34, v21 :: v_dual_mov_b32 v35, v21
	v_dual_mov_b32 v0, s34 :: v_dual_mov_b32 v1, s30
	;; [unrolled: 1-line block ×3, first 2 shown]
	ds_load_2addr_b64 v[30:33], v0 offset1:1
	ds_load_2addr_b64 v[0:3], v1 offset1:1
	v_dual_mov_b32 v21, v20 :: v_dual_mov_b32 v23, v22
	s_mov_b32 s30, -1
	ds_store_b64 v28, v[18:19]
	s_wait_dscnt 0x2
	v_pk_mul_f32 v[34:35], v[34:35], v[32:33]
	v_pk_mul_f32 v[36:37], v[36:37], v[30:31]
	s_wait_dscnt 0x1
	v_dual_mov_b32 v38, v3 :: v_dual_mov_b32 v39, v2
	v_and_b32_e32 v29, 0x7fffffff, v1
	v_pk_fma_f32 v[40:41], v[20:21], v[32:33], v[34:35] op_sel:[0,0,1] op_sel_hi:[1,1,0]
	v_pk_fma_f32 v[20:21], v[20:21], v[32:33], v[34:35] op_sel:[0,0,1] op_sel_hi:[1,1,0] neg_lo:[0,0,1] neg_hi:[0,0,1]
	v_pk_fma_f32 v[32:33], v[22:23], v[30:31], v[36:37] op_sel:[0,0,1] op_sel_hi:[1,1,0]
	v_pk_mul_f32 v[34:35], v[18:19], v[38:39] op_sel:[1,0]
	v_pk_fma_f32 v[22:23], v[22:23], v[30:31], v[36:37] op_sel:[0,0,1] op_sel_hi:[1,1,0] neg_lo:[0,0,1] neg_hi:[0,0,1]
	s_delay_alu instid0(VALU_DEP_3) | instskip(NEXT) | instid1(VALU_DEP_1)
	v_dual_mov_b32 v21, v41 :: v_dual_mov_b32 v23, v33
	v_pk_add_f32 v[16:17], v[16:17], v[20:21] neg_lo:[0,1] neg_hi:[0,1]
	s_delay_alu instid0(VALU_DEP_4) | instskip(SKIP_2) | instid1(VALU_DEP_4)
	v_pk_fma_f32 v[20:21], v[18:19], v[2:3], v[34:35] op_sel_hi:[0,1,1]
	v_and_b32_e32 v20, 0x7fffffff, v0
	v_pk_fma_f32 v[2:3], v[18:19], v[2:3], v[34:35] neg_lo:[0,0,1] neg_hi:[0,0,1]
	v_pk_add_f32 v[16:17], v[16:17], v[22:23] neg_lo:[0,1] neg_hi:[0,1]
	s_delay_alu instid0(VALU_DEP_4) | instskip(NEXT) | instid1(VALU_DEP_4)
	v_mov_b32_e32 v3, v21
	v_cmp_ngt_f32_e32 vcc_lo, v20, v29
	s_delay_alu instid0(VALU_DEP_2)
	v_pk_add_f32 v[2:3], v[16:17], v[2:3] neg_lo:[0,1] neg_hi:[0,1]
                                        ; implicit-def: $vgpr16_vgpr17
	s_cbranch_vccz .LBB152_106
; %bb.105:                              ;   in Loop: Header=BB152_89 Depth=2
	v_div_scale_f32 v16, null, v1, v1, v0
	v_div_scale_f32 v19, vcc_lo, v0, v1, v0
	s_mov_b32 s30, 0
	v_rcp_f32_e32 v17, v16
	v_nop
	v_xor_b32_e32 v16, 0x80000000, v16
	s_delay_alu instid0(TRANS32_DEP_1) | instid1(VALU_DEP_1)
	v_fma_f32 v18, v16, v17, 1.0
	s_delay_alu instid0(VALU_DEP_1) | instskip(NEXT) | instid1(VALU_DEP_1)
	v_fmac_f32_e32 v17, v18, v17
	v_mul_f32_e32 v18, v19, v17
	s_delay_alu instid0(VALU_DEP_1) | instskip(NEXT) | instid1(VALU_DEP_1)
	v_fma_f32 v20, v16, v18, v19
	v_fmac_f32_e32 v18, v20, v17
	s_delay_alu instid0(VALU_DEP_1) | instskip(NEXT) | instid1(VALU_DEP_1)
	v_fmac_f32_e32 v19, v16, v18
	v_div_fmas_f32 v16, v19, v17, v18
	s_delay_alu instid0(VALU_DEP_1) | instskip(NEXT) | instid1(VALU_DEP_1)
	v_div_fixup_f32 v16, v16, v1, v0
	v_fma_f32 v17, v0, v16, v1
	s_delay_alu instid0(VALU_DEP_1) | instskip(NEXT) | instid1(VALU_DEP_1)
	v_div_scale_f32 v18, null, v17, v17, 1.0
	v_rcp_f32_e32 v19, v18
	v_nop
	v_xor_b32_e32 v18, 0x80000000, v18
	s_delay_alu instid0(TRANS32_DEP_1) | instid1(VALU_DEP_1)
	v_fma_f32 v20, v18, v19, 1.0
	s_delay_alu instid0(VALU_DEP_1) | instskip(SKIP_1) | instid1(VALU_DEP_1)
	v_fmac_f32_e32 v19, v20, v19
	v_div_scale_f32 v20, vcc_lo, 1.0, v17, 1.0
	v_mul_f32_e32 v21, v20, v19
	s_delay_alu instid0(VALU_DEP_1) | instskip(NEXT) | instid1(VALU_DEP_1)
	v_fma_f32 v22, v18, v21, v20
	v_fmac_f32_e32 v21, v22, v19
	s_delay_alu instid0(VALU_DEP_1) | instskip(NEXT) | instid1(VALU_DEP_1)
	v_dual_fmac_f32 v20, v18, v21 :: v_dual_mov_b32 v18, v3
	v_div_fmas_f32 v20, v20, v19, v21
	s_delay_alu instid0(VALU_DEP_2) | instskip(NEXT) | instid1(VALU_DEP_2)
	v_pk_fma_f32 v[18:19], v[16:17], v[2:3], v[18:19]
	v_div_fixup_f32 v19, v20, v17, 1.0
	s_delay_alu instid0(VALU_DEP_1) | instskip(NEXT) | instid1(VALU_DEP_1)
	v_dual_fma_f32 v17, v16, v3, -v2 :: v_dual_mov_b32 v16, v19
	v_pk_mul_f32 v[16:17], v[18:19], v[16:17]
.LBB152_106:                            ;   in Loop: Header=BB152_89 Depth=2
	s_and_not1_b32 vcc_lo, exec_lo, s30
	s_cbranch_vccnz .LBB152_108
; %bb.107:                              ;   in Loop: Header=BB152_89 Depth=2
	v_div_scale_f32 v16, null, v0, v0, v1
	v_div_scale_f32 v19, vcc_lo, v1, v0, v1
	s_delay_alu instid0(VALU_DEP_2)
	v_rcp_f32_e32 v17, v16
	v_nop
	v_xor_b32_e32 v16, 0x80000000, v16
	s_delay_alu instid0(TRANS32_DEP_1) | instid1(VALU_DEP_1)
	v_fma_f32 v18, v16, v17, 1.0
	s_delay_alu instid0(VALU_DEP_1) | instskip(NEXT) | instid1(VALU_DEP_1)
	v_fmac_f32_e32 v17, v18, v17
	v_mul_f32_e32 v18, v19, v17
	s_delay_alu instid0(VALU_DEP_1) | instskip(NEXT) | instid1(VALU_DEP_1)
	v_fma_f32 v20, v16, v18, v19
	v_fmac_f32_e32 v18, v20, v17
	s_delay_alu instid0(VALU_DEP_1) | instskip(NEXT) | instid1(VALU_DEP_1)
	v_fmac_f32_e32 v19, v16, v18
	v_div_fmas_f32 v16, v19, v17, v18
	s_delay_alu instid0(VALU_DEP_1) | instskip(NEXT) | instid1(VALU_DEP_1)
	v_div_fixup_f32 v16, v16, v0, v1
	v_fmac_f32_e32 v0, v1, v16
	s_delay_alu instid0(VALU_DEP_1) | instskip(SKIP_1) | instid1(VALU_DEP_2)
	v_div_scale_f32 v1, null, v0, v0, 1.0
	v_div_scale_f32 v19, vcc_lo, 1.0, v0, 1.0
	v_rcp_f32_e32 v17, v1
	v_nop
	v_xor_b32_e32 v1, 0x80000000, v1
	s_delay_alu instid0(TRANS32_DEP_1) | instid1(VALU_DEP_1)
	v_fma_f32 v18, v1, v17, 1.0
	s_delay_alu instid0(VALU_DEP_1) | instskip(NEXT) | instid1(VALU_DEP_1)
	v_fmac_f32_e32 v17, v18, v17
	v_mul_f32_e32 v18, v19, v17
	s_delay_alu instid0(VALU_DEP_1) | instskip(NEXT) | instid1(VALU_DEP_1)
	v_fma_f32 v20, v1, v18, v19
	v_fmac_f32_e32 v18, v20, v17
	s_delay_alu instid0(VALU_DEP_1) | instskip(NEXT) | instid1(VALU_DEP_1)
	v_fmac_f32_e32 v19, v1, v18
	v_div_fmas_f32 v1, v19, v17, v18
	v_pk_fma_f32 v[18:19], v[16:17], v[2:3], v[2:3] op_sel:[0,1,0] op_sel_hi:[0,0,1] neg_lo:[1,0,0] neg_hi:[1,0,0]
	v_pk_fma_f32 v[2:3], v[16:17], v[2:3], v[2:3] op_sel:[0,1,0] op_sel_hi:[1,0,1]
	s_delay_alu instid0(VALU_DEP_3) | instskip(NEXT) | instid1(VALU_DEP_3)
	v_div_fixup_f32 v0, v1, v0, 1.0
	v_mov_b32_e32 v3, v19
	s_delay_alu instid0(VALU_DEP_1)
	v_pk_mul_f32 v[16:17], v[2:3], v[0:1] op_sel_hi:[1,0]
.LBB152_108:                            ;   in Loop: Header=BB152_89 Depth=2
	s_add_co_i32 s30, s18, -4
	s_addk_co_i32 s3, 0xfe00
	s_cmp_lt_i32 s18, 7
	ds_store_b64 v27, v[16:17]
	s_cbranch_scc1 .LBB152_110
; %bb.109:                              ;   in Loop: Header=BB152_89 Depth=2
	s_mov_b32 s18, s30
	s_branch .LBB152_89
.LBB152_110:                            ;   in Loop: Header=BB152_3 Depth=1
	s_cmp_lt_i32 s30, 0
	s_cbranch_scc1 .LBB152_119
; %bb.111:                              ;   in Loop: Header=BB152_3 Depth=1
	s_lshl_b32 s3, s30, 7
	s_delay_alu instid0(SALU_CYCLE_1)
	s_add_co_i32 s3, s48, s3
	s_branch .LBB152_113
.LBB152_112:                            ;   in Loop: Header=BB152_113 Depth=2
	v_sub_co_u32 v0, s18, s30, 1
	s_and_b32 vcc_lo, exec_lo, s18
	s_addk_co_i32 s3, 0xff80
	ds_store_b64 v18, v[16:17]
	v_readfirstlane_b32 s30, v0
	s_cbranch_vccnz .LBB152_119
.LBB152_113:                            ;   Parent Loop BB152_3 Depth=1
                                        ; =>  This Loop Header: Depth=2
                                        ;       Child Loop BB152_114 Depth 3
	v_lshl_add_u32 v18, s30, 7, v24
	v_mov_b32_e32 v2, v5
	s_cmp_le_i32 s38, s30
	s_mov_b32 s18, s3
	s_mov_b32 s31, s38
	ds_load_b64 v[0:1], v18
	s_cbranch_scc1 .LBB152_115
.LBB152_114:                            ;   Parent Loop BB152_3 Depth=1
                                        ;     Parent Loop BB152_113 Depth=2
                                        ; =>    This Inner Loop Header: Depth=3
	v_mov_b32_e32 v3, s18
	s_add_co_i32 s31, s31, -1
	s_add_co_i32 s18, s18, -8
	s_cmp_le_u32 s31, s30
	ds_load_b64 v[16:17], v2
	ds_load_b64 v[20:21], v3
	v_add_nc_u32_e32 v2, 0xffffff80, v2
	s_wait_dscnt 0x0
	v_pk_mul_f32 v[22:23], v[20:21], v[16:17] op_sel:[1,1] op_sel_hi:[0,1]
	s_delay_alu instid0(VALU_DEP_1) | instskip(SKIP_1) | instid1(VALU_DEP_2)
	v_pk_fma_f32 v[28:29], v[20:21], v[16:17], v[22:23] op_sel_hi:[1,0,1]
	v_pk_fma_f32 v[16:17], v[20:21], v[16:17], v[22:23] op_sel_hi:[1,0,1] neg_lo:[0,0,1] neg_hi:[0,0,1]
	v_mov_b32_e32 v17, v29
	s_delay_alu instid0(VALU_DEP_1)
	v_pk_add_f32 v[0:1], v[0:1], v[16:17] neg_lo:[0,1] neg_hi:[0,1]
	s_cbranch_scc0 .LBB152_114
.LBB152_115:                            ;   in Loop: Header=BB152_113 Depth=2
	s_mul_i32 s18, s30, 0x88
	s_delay_alu instid0(SALU_CYCLE_1)
	v_mov_b32_e32 v2, s18
	s_mov_b32 s18, -1
	ds_load_b64 v[2:3], v2
	s_wait_dscnt 0x0
	v_and_b32_e32 v16, 0x7fffffff, v2
	v_and_b32_e32 v17, 0x7fffffff, v3
	s_delay_alu instid0(VALU_DEP_1)
	v_cmp_ngt_f32_e32 vcc_lo, v16, v17
                                        ; implicit-def: $vgpr16_vgpr17
	s_cbranch_vccz .LBB152_117
; %bb.116:                              ;   in Loop: Header=BB152_113 Depth=2
	v_div_scale_f32 v16, null, v3, v3, v2
	v_div_scale_f32 v20, vcc_lo, v2, v3, v2
	s_mov_b32 s18, 0
	v_rcp_f32_e32 v17, v16
	v_nop
	v_xor_b32_e32 v16, 0x80000000, v16
	s_delay_alu instid0(TRANS32_DEP_1) | instid1(VALU_DEP_1)
	v_fma_f32 v19, v16, v17, 1.0
	s_delay_alu instid0(VALU_DEP_1) | instskip(NEXT) | instid1(VALU_DEP_1)
	v_fmac_f32_e32 v17, v19, v17
	v_mul_f32_e32 v19, v20, v17
	s_delay_alu instid0(VALU_DEP_1) | instskip(NEXT) | instid1(VALU_DEP_1)
	v_fma_f32 v21, v16, v19, v20
	v_fmac_f32_e32 v19, v21, v17
	s_delay_alu instid0(VALU_DEP_1) | instskip(NEXT) | instid1(VALU_DEP_1)
	v_fmac_f32_e32 v20, v16, v19
	v_div_fmas_f32 v16, v20, v17, v19
	s_delay_alu instid0(VALU_DEP_1) | instskip(NEXT) | instid1(VALU_DEP_1)
	v_div_fixup_f32 v16, v16, v3, v2
	v_fma_f32 v19, v2, v16, v3
	s_delay_alu instid0(VALU_DEP_1) | instskip(SKIP_1) | instid1(VALU_DEP_2)
	v_div_scale_f32 v17, null, v19, v19, 1.0
	v_div_scale_f32 v22, vcc_lo, 1.0, v19, 1.0
	v_rcp_f32_e32 v20, v17
	v_nop
	v_xor_b32_e32 v17, 0x80000000, v17
	s_delay_alu instid0(TRANS32_DEP_1) | instid1(VALU_DEP_1)
	v_fma_f32 v21, v17, v20, 1.0
	s_delay_alu instid0(VALU_DEP_1) | instskip(NEXT) | instid1(VALU_DEP_1)
	v_fmac_f32_e32 v20, v21, v20
	v_mul_f32_e32 v21, v22, v20
	s_delay_alu instid0(VALU_DEP_1) | instskip(NEXT) | instid1(VALU_DEP_1)
	v_fma_f32 v23, v17, v21, v22
	v_fmac_f32_e32 v21, v23, v20
	s_delay_alu instid0(VALU_DEP_1) | instskip(NEXT) | instid1(VALU_DEP_1)
	v_fmac_f32_e32 v22, v17, v21
	v_div_fmas_f32 v22, v22, v20, v21
	v_pk_fma_f32 v[20:21], v[0:1], v[16:17], v[0:1] op_sel:[0,0,1] op_sel_hi:[1,0,0] neg_lo:[0,0,1] neg_hi:[0,0,1]
	v_pk_fma_f32 v[16:17], v[0:1], v[16:17], v[0:1] op_sel:[0,0,1] op_sel_hi:[1,0,0]
	s_delay_alu instid0(VALU_DEP_3) | instskip(NEXT) | instid1(VALU_DEP_3)
	v_div_fixup_f32 v20, v22, v19, 1.0
	v_mov_b32_e32 v17, v21
	s_delay_alu instid0(VALU_DEP_1)
	v_pk_mul_f32 v[16:17], v[16:17], v[20:21] op_sel_hi:[1,0]
.LBB152_117:                            ;   in Loop: Header=BB152_113 Depth=2
	s_and_not1_b32 vcc_lo, exec_lo, s18
	s_cbranch_vccnz .LBB152_112
; %bb.118:                              ;   in Loop: Header=BB152_113 Depth=2
	v_div_scale_f32 v16, null, v2, v2, v3
	v_div_scale_f32 v20, vcc_lo, v3, v2, v3
	s_delay_alu instid0(VALU_DEP_2)
	v_rcp_f32_e32 v17, v16
	v_nop
	v_xor_b32_e32 v16, 0x80000000, v16
	s_delay_alu instid0(TRANS32_DEP_1) | instid1(VALU_DEP_1)
	v_fma_f32 v19, v16, v17, 1.0
	s_delay_alu instid0(VALU_DEP_1) | instskip(NEXT) | instid1(VALU_DEP_1)
	v_fmac_f32_e32 v17, v19, v17
	v_mul_f32_e32 v19, v20, v17
	s_delay_alu instid0(VALU_DEP_1) | instskip(NEXT) | instid1(VALU_DEP_1)
	v_fma_f32 v21, v16, v19, v20
	v_fmac_f32_e32 v19, v21, v17
	s_delay_alu instid0(VALU_DEP_1) | instskip(NEXT) | instid1(VALU_DEP_1)
	v_fmac_f32_e32 v20, v16, v19
	v_div_fmas_f32 v16, v20, v17, v19
	s_delay_alu instid0(VALU_DEP_1) | instskip(NEXT) | instid1(VALU_DEP_1)
	v_div_fixup_f32 v16, v16, v2, v3
	v_fmac_f32_e32 v2, v3, v16
	s_delay_alu instid0(VALU_DEP_1) | instskip(SKIP_1) | instid1(VALU_DEP_2)
	v_div_scale_f32 v3, null, v2, v2, 1.0
	v_div_scale_f32 v20, vcc_lo, 1.0, v2, 1.0
	v_rcp_f32_e32 v17, v3
	v_nop
	v_xor_b32_e32 v3, 0x80000000, v3
	s_delay_alu instid0(TRANS32_DEP_1) | instid1(VALU_DEP_1)
	v_fma_f32 v19, v3, v17, 1.0
	s_delay_alu instid0(VALU_DEP_1) | instskip(NEXT) | instid1(VALU_DEP_1)
	v_fmac_f32_e32 v17, v19, v17
	v_mul_f32_e32 v19, v20, v17
	s_delay_alu instid0(VALU_DEP_1) | instskip(NEXT) | instid1(VALU_DEP_1)
	v_fma_f32 v21, v3, v19, v20
	v_fmac_f32_e32 v19, v21, v17
	s_delay_alu instid0(VALU_DEP_1) | instskip(NEXT) | instid1(VALU_DEP_1)
	v_fmac_f32_e32 v20, v3, v19
	v_div_fmas_f32 v3, v20, v17, v19
	v_pk_fma_f32 v[20:21], v[0:1], v[16:17], v[0:1] op_sel:[1,0,0] op_sel_hi:[0,0,1] neg_lo:[1,0,0] neg_hi:[1,0,0]
	v_pk_fma_f32 v[0:1], v[0:1], v[16:17], v[0:1] op_sel:[1,0,0] op_sel_hi:[0,0,1]
	s_delay_alu instid0(VALU_DEP_3) | instskip(NEXT) | instid1(VALU_DEP_3)
	v_div_fixup_f32 v2, v3, v2, 1.0
	v_mov_b32_e32 v1, v21
	s_delay_alu instid0(VALU_DEP_1)
	v_pk_mul_f32 v[16:17], v[0:1], v[2:3] op_sel_hi:[1,0]
	s_branch .LBB152_112
.LBB152_119:                            ;   in Loop: Header=BB152_3 Depth=1
	s_mov_b32 s3, 0
.LBB152_120:                            ;   in Loop: Header=BB152_3 Depth=1
	s_delay_alu instid0(SALU_CYCLE_1)
	s_and_not1_b32 vcc_lo, exec_lo, s3
	s_cbranch_vccnz .LBB152_152
; %bb.121:                              ;   in Loop: Header=BB152_3 Depth=1
	s_and_not1_b32 vcc_lo, exec_lo, s42
	s_mov_b32 s30, 0
	s_cbranch_vccnz .LBB152_143
; %bb.122:                              ;   in Loop: Header=BB152_3 Depth=1
	s_mov_b32 s3, 0
	s_mov_b32 s18, 0
.LBB152_123:                            ;   Parent Loop BB152_3 Depth=1
                                        ; =>  This Loop Header: Depth=2
                                        ;       Child Loop BB152_124 Depth 3
	s_delay_alu instid0(SALU_CYCLE_1)
	s_or_b32 s34, s18, 1
	v_lshl_add_u32 v30, s18, 7, v24
	s_or_b32 s31, s18, 2
	s_or_b32 s30, s18, 3
	v_lshl_add_u32 v29, s34, 7, v24
	v_lshl_add_u32 v28, s31, 7, v24
	;; [unrolled: 1-line block ×3, first 2 shown]
	ds_load_b64 v[0:1], v30
	ds_load_b64 v[22:23], v29
	;; [unrolled: 1-line block ×4, first 2 shown]
	v_mov_b32_e32 v2, v24
	s_cmp_eq_u32 s18, 0
	s_mov_b32 s35, s3
	s_mov_b32 s49, s18
	s_cbranch_scc1 .LBB152_125
.LBB152_124:                            ;   Parent Loop BB152_3 Depth=1
                                        ;     Parent Loop BB152_123 Depth=2
                                        ; =>    This Inner Loop Header: Depth=3
	v_mov_b32_e32 v3, s35
	s_add_co_i32 s49, s49, -1
	s_add_co_i32 s35, s35, 8
	s_cmp_eq_u32 s49, 0
	ds_load_b64 v[20:21], v2
	ds_load_2addr_b64 v[32:35], v3 offset0:32 offset1:48
	ds_load_2addr_b64 v[36:39], v3 offset1:16
	v_add_nc_u32_e32 v2, 0x80, v2
	s_wait_dscnt 0x1
	v_pk_mul_f32 v[40:41], v[32:33], v[20:21] op_sel:[0,1]
	s_wait_dscnt 0x0
	v_dual_mul_f32 v3, v37, v21 :: v_dual_mul_f32 v31, v36, v21
	v_dual_mul_f32 v44, v39, v21 :: v_dual_mul_f32 v45, v39, v20
	v_pk_mul_f32 v[42:43], v[34:35], v[20:21] op_sel:[0,1]
	s_delay_alu instid0(VALU_DEP_3) | instskip(NEXT) | instid1(VALU_DEP_3)
	v_fma_f32 v3, v36, v20, -v3
	v_dual_fmac_f32 v31, v37, v20 :: v_dual_fma_f32 v44, v38, v20, -v44
	s_delay_alu instid0(VALU_DEP_4) | instskip(SKIP_4) | instid1(VALU_DEP_4)
	v_fmac_f32_e32 v45, v38, v21
	v_pk_fma_f32 v[36:37], v[32:33], v[20:21], v[40:41] op_sel:[0,0,1] op_sel_hi:[1,0,0]
	v_pk_fma_f32 v[38:39], v[34:35], v[20:21], v[42:43] op_sel:[0,0,1] op_sel_hi:[1,0,0]
	v_pk_fma_f32 v[32:33], v[32:33], v[20:21], v[40:41] op_sel:[0,0,1] op_sel_hi:[1,1,0] neg_lo:[0,0,1] neg_hi:[0,0,1]
	v_pk_fma_f32 v[20:21], v[34:35], v[20:21], v[42:43] op_sel:[0,0,1] op_sel_hi:[1,1,0] neg_lo:[0,0,1] neg_hi:[0,0,1]
	v_dual_sub_f32 v0, v0, v3 :: v_dual_mov_b32 v33, v37
	s_delay_alu instid0(VALU_DEP_4) | instskip(SKIP_1) | instid1(VALU_DEP_3)
	v_dual_mov_b32 v21, v39 :: v_dual_sub_f32 v1, v1, v31
	v_dual_sub_f32 v22, v22, v44 :: v_dual_sub_f32 v23, v23, v45
	v_pk_add_f32 v[18:19], v[18:19], v[32:33] neg_lo:[0,1] neg_hi:[0,1]
	s_delay_alu instid0(VALU_DEP_3)
	v_pk_add_f32 v[16:17], v[16:17], v[20:21] neg_lo:[0,1] neg_hi:[0,1]
	s_cbranch_scc0 .LBB152_124
.LBB152_125:                            ;   in Loop: Header=BB152_123 Depth=2
	s_mul_i32 s49, s18, 0x88
	s_lshl_b32 s34, s34, 4
	v_mov_b32_e32 v2, s49
	s_lshl_b32 s35, s31, 4
	s_lshl_b32 s30, s30, 4
	s_mov_b32 s49, -1
	ds_load_b64 v[2:3], v2
	s_wait_dscnt 0x0
	v_and_b32_e32 v20, 0x7fffffff, v2
	v_and_b32_e32 v21, 0x7fffffff, v3
	s_delay_alu instid0(VALU_DEP_1)
	v_cmp_ngt_f32_e32 vcc_lo, v20, v21
                                        ; implicit-def: $vgpr21
	s_cbranch_vccz .LBB152_127
; %bb.126:                              ;   in Loop: Header=BB152_123 Depth=2
	v_div_scale_f32 v20, null, v3, v3, v2
	v_div_scale_f32 v32, vcc_lo, v2, v3, v2
	s_mov_b32 s49, 0
	v_rcp_f32_e32 v21, v20
	v_nop
	v_xor_b32_e32 v20, 0x80000000, v20
	s_delay_alu instid0(TRANS32_DEP_1) | instid1(VALU_DEP_1)
	v_fma_f32 v31, v20, v21, 1.0
	s_delay_alu instid0(VALU_DEP_1) | instskip(NEXT) | instid1(VALU_DEP_1)
	v_fmac_f32_e32 v21, v31, v21
	v_mul_f32_e32 v31, v32, v21
	s_delay_alu instid0(VALU_DEP_1) | instskip(NEXT) | instid1(VALU_DEP_1)
	v_fma_f32 v33, v20, v31, v32
	v_fmac_f32_e32 v31, v33, v21
	s_delay_alu instid0(VALU_DEP_1) | instskip(NEXT) | instid1(VALU_DEP_1)
	v_fmac_f32_e32 v32, v20, v31
	v_div_fmas_f32 v20, v32, v21, v31
	s_delay_alu instid0(VALU_DEP_1) | instskip(NEXT) | instid1(VALU_DEP_1)
	v_div_fixup_f32 v20, v20, v3, v2
	v_fma_f32 v21, v2, v20, v3
	s_delay_alu instid0(VALU_DEP_1) | instskip(SKIP_1) | instid1(VALU_DEP_2)
	v_div_scale_f32 v31, null, v21, v21, 1.0
	v_div_scale_f32 v34, vcc_lo, 1.0, v21, 1.0
	v_rcp_f32_e32 v32, v31
	v_nop
	v_xor_b32_e32 v31, 0x80000000, v31
	s_delay_alu instid0(TRANS32_DEP_1) | instid1(VALU_DEP_1)
	v_fma_f32 v33, v31, v32, 1.0
	s_delay_alu instid0(VALU_DEP_1) | instskip(NEXT) | instid1(VALU_DEP_1)
	v_fmac_f32_e32 v32, v33, v32
	v_mul_f32_e32 v33, v34, v32
	s_delay_alu instid0(VALU_DEP_1) | instskip(NEXT) | instid1(VALU_DEP_1)
	v_fma_f32 v35, v31, v33, v34
	v_fmac_f32_e32 v33, v35, v32
	s_delay_alu instid0(VALU_DEP_1) | instskip(NEXT) | instid1(VALU_DEP_1)
	v_fmac_f32_e32 v34, v31, v33
	v_div_fmas_f32 v31, v34, v32, v33
	v_fma_f32 v32, v0, v20, v1
	s_delay_alu instid0(VALU_DEP_2) | instskip(NEXT) | instid1(VALU_DEP_1)
	v_div_fixup_f32 v21, v31, v21, 1.0
	v_dual_fma_f32 v31, v1, v20, -v0 :: v_dual_mul_f32 v20, v32, v21
	s_delay_alu instid0(VALU_DEP_1)
	v_mul_f32_e32 v21, v31, v21
.LBB152_127:                            ;   in Loop: Header=BB152_123 Depth=2
	s_and_not1_b32 vcc_lo, exec_lo, s49
	s_cbranch_vccnz .LBB152_129
; %bb.128:                              ;   in Loop: Header=BB152_123 Depth=2
	v_div_scale_f32 v20, null, v2, v2, v3
	v_div_scale_f32 v32, vcc_lo, v3, v2, v3
	s_delay_alu instid0(VALU_DEP_2)
	v_rcp_f32_e32 v21, v20
	v_nop
	v_xor_b32_e32 v20, 0x80000000, v20
	s_delay_alu instid0(TRANS32_DEP_1) | instid1(VALU_DEP_1)
	v_fma_f32 v31, v20, v21, 1.0
	s_delay_alu instid0(VALU_DEP_1) | instskip(NEXT) | instid1(VALU_DEP_1)
	v_fmac_f32_e32 v21, v31, v21
	v_mul_f32_e32 v31, v32, v21
	s_delay_alu instid0(VALU_DEP_1) | instskip(NEXT) | instid1(VALU_DEP_1)
	v_fma_f32 v33, v20, v31, v32
	v_fmac_f32_e32 v31, v33, v21
	s_delay_alu instid0(VALU_DEP_1) | instskip(NEXT) | instid1(VALU_DEP_1)
	v_fmac_f32_e32 v32, v20, v31
	v_div_fmas_f32 v20, v32, v21, v31
	s_delay_alu instid0(VALU_DEP_1) | instskip(NEXT) | instid1(VALU_DEP_1)
	v_div_fixup_f32 v20, v20, v2, v3
	v_fmac_f32_e32 v2, v3, v20
	s_delay_alu instid0(VALU_DEP_1) | instskip(SKIP_1) | instid1(VALU_DEP_2)
	v_div_scale_f32 v3, null, v2, v2, 1.0
	v_div_scale_f32 v32, vcc_lo, 1.0, v2, 1.0
	v_rcp_f32_e32 v21, v3
	v_nop
	v_xor_b32_e32 v3, 0x80000000, v3
	s_delay_alu instid0(TRANS32_DEP_1) | instid1(VALU_DEP_1)
	v_fma_f32 v31, v3, v21, 1.0
	s_delay_alu instid0(VALU_DEP_1) | instskip(NEXT) | instid1(VALU_DEP_1)
	v_fmac_f32_e32 v21, v31, v21
	v_mul_f32_e32 v31, v32, v21
	s_delay_alu instid0(VALU_DEP_1) | instskip(NEXT) | instid1(VALU_DEP_1)
	v_fma_f32 v33, v3, v31, v32
	v_fmac_f32_e32 v31, v33, v21
	s_delay_alu instid0(VALU_DEP_1) | instskip(NEXT) | instid1(VALU_DEP_1)
	v_fmac_f32_e32 v32, v3, v31
	v_div_fmas_f32 v3, v32, v21, v31
	v_dual_fma_f32 v21, v1, v20, v0 :: v_dual_fma_f32 v0, -v0, v20, v1
	s_delay_alu instid0(VALU_DEP_2) | instskip(NEXT) | instid1(VALU_DEP_1)
	v_div_fixup_f32 v2, v3, v2, 1.0
	v_dual_mul_f32 v20, v21, v2 :: v_dual_mul_f32 v21, v0, v2
.LBB152_129:                            ;   in Loop: Header=BB152_123 Depth=2
	s_lshl_b32 s49, s34, 3
	s_lshl_b32 s34, s18, 3
	ds_store_b64 v30, v[20:21]
	s_add_co_i32 s49, s49, s34
	s_delay_alu instid0(SALU_CYCLE_1)
	v_mov_b32_e32 v0, s49
	s_mov_b32 s49, -1
	ds_load_b128 v[0:3], v0
	s_wait_dscnt 0x0
	v_dual_mul_f32 v31, v21, v1 :: v_dual_mul_f32 v1, v20, v1
	v_and_b32_e32 v32, 0x7fffffff, v2
	v_and_b32_e32 v33, 0x7fffffff, v3
	s_delay_alu instid0(VALU_DEP_3) | instskip(NEXT) | instid1(VALU_DEP_2)
	v_dual_fma_f32 v31, v20, v0, -v31 :: v_dual_fmac_f32 v1, v21, v0
	v_cmp_ngt_f32_e32 vcc_lo, v32, v33
	s_delay_alu instid0(VALU_DEP_2)
	v_dual_sub_f32 v0, v22, v31 :: v_dual_sub_f32 v1, v23, v1
                                        ; implicit-def: $vgpr23
	s_cbranch_vccz .LBB152_131
; %bb.130:                              ;   in Loop: Header=BB152_123 Depth=2
	v_div_scale_f32 v22, null, v3, v3, v2
	v_div_scale_f32 v31, vcc_lo, v2, v3, v2
	s_mov_b32 s49, 0
	v_rcp_f32_e32 v23, v22
	v_nop
	v_xor_b32_e32 v22, 0x80000000, v22
	s_delay_alu instid0(TRANS32_DEP_1) | instid1(VALU_DEP_1)
	v_fma_f32 v30, v22, v23, 1.0
	s_delay_alu instid0(VALU_DEP_1) | instskip(NEXT) | instid1(VALU_DEP_1)
	v_fmac_f32_e32 v23, v30, v23
	v_mul_f32_e32 v30, v31, v23
	s_delay_alu instid0(VALU_DEP_1) | instskip(NEXT) | instid1(VALU_DEP_1)
	v_fma_f32 v32, v22, v30, v31
	v_fmac_f32_e32 v30, v32, v23
	s_delay_alu instid0(VALU_DEP_1) | instskip(NEXT) | instid1(VALU_DEP_1)
	v_fmac_f32_e32 v31, v22, v30
	v_div_fmas_f32 v22, v31, v23, v30
	s_delay_alu instid0(VALU_DEP_1) | instskip(NEXT) | instid1(VALU_DEP_1)
	v_div_fixup_f32 v22, v22, v3, v2
	v_fma_f32 v23, v2, v22, v3
	s_delay_alu instid0(VALU_DEP_1) | instskip(SKIP_1) | instid1(VALU_DEP_2)
	v_div_scale_f32 v30, null, v23, v23, 1.0
	v_div_scale_f32 v33, vcc_lo, 1.0, v23, 1.0
	v_rcp_f32_e32 v31, v30
	v_nop
	v_xor_b32_e32 v30, 0x80000000, v30
	s_delay_alu instid0(TRANS32_DEP_1) | instid1(VALU_DEP_1)
	v_fma_f32 v32, v30, v31, 1.0
	s_delay_alu instid0(VALU_DEP_1) | instskip(NEXT) | instid1(VALU_DEP_1)
	v_fmac_f32_e32 v31, v32, v31
	v_mul_f32_e32 v32, v33, v31
	s_delay_alu instid0(VALU_DEP_1) | instskip(NEXT) | instid1(VALU_DEP_1)
	v_fma_f32 v34, v30, v32, v33
	v_fmac_f32_e32 v32, v34, v31
	s_delay_alu instid0(VALU_DEP_1) | instskip(NEXT) | instid1(VALU_DEP_1)
	v_fmac_f32_e32 v33, v30, v32
	v_div_fmas_f32 v30, v33, v31, v32
	v_fma_f32 v31, v22, v0, v1
	s_delay_alu instid0(VALU_DEP_2) | instskip(NEXT) | instid1(VALU_DEP_1)
	v_div_fixup_f32 v23, v30, v23, 1.0
	v_dual_fma_f32 v30, v22, v1, -v0 :: v_dual_mul_f32 v22, v31, v23
	s_delay_alu instid0(VALU_DEP_1)
	v_mul_f32_e32 v23, v30, v23
.LBB152_131:                            ;   in Loop: Header=BB152_123 Depth=2
	s_and_not1_b32 vcc_lo, exec_lo, s49
	s_cbranch_vccnz .LBB152_133
; %bb.132:                              ;   in Loop: Header=BB152_123 Depth=2
	v_div_scale_f32 v22, null, v2, v2, v3
	v_div_scale_f32 v31, vcc_lo, v3, v2, v3
	s_delay_alu instid0(VALU_DEP_2)
	v_rcp_f32_e32 v23, v22
	v_nop
	v_xor_b32_e32 v22, 0x80000000, v22
	s_delay_alu instid0(TRANS32_DEP_1) | instid1(VALU_DEP_1)
	v_fma_f32 v30, v22, v23, 1.0
	s_delay_alu instid0(VALU_DEP_1) | instskip(NEXT) | instid1(VALU_DEP_1)
	v_fmac_f32_e32 v23, v30, v23
	v_mul_f32_e32 v30, v31, v23
	s_delay_alu instid0(VALU_DEP_1) | instskip(NEXT) | instid1(VALU_DEP_1)
	v_fma_f32 v32, v22, v30, v31
	v_fmac_f32_e32 v30, v32, v23
	s_delay_alu instid0(VALU_DEP_1) | instskip(NEXT) | instid1(VALU_DEP_1)
	v_fmac_f32_e32 v31, v22, v30
	v_div_fmas_f32 v22, v31, v23, v30
	s_delay_alu instid0(VALU_DEP_1) | instskip(NEXT) | instid1(VALU_DEP_1)
	v_div_fixup_f32 v22, v22, v2, v3
	v_fmac_f32_e32 v2, v3, v22
	s_delay_alu instid0(VALU_DEP_1) | instskip(SKIP_1) | instid1(VALU_DEP_2)
	v_div_scale_f32 v3, null, v2, v2, 1.0
	v_div_scale_f32 v31, vcc_lo, 1.0, v2, 1.0
	v_rcp_f32_e32 v23, v3
	v_nop
	v_xor_b32_e32 v3, 0x80000000, v3
	s_delay_alu instid0(TRANS32_DEP_1) | instid1(VALU_DEP_1)
	v_fma_f32 v30, v3, v23, 1.0
	s_delay_alu instid0(VALU_DEP_1) | instskip(NEXT) | instid1(VALU_DEP_1)
	v_fmac_f32_e32 v23, v30, v23
	v_mul_f32_e32 v30, v31, v23
	s_delay_alu instid0(VALU_DEP_1) | instskip(NEXT) | instid1(VALU_DEP_1)
	v_fma_f32 v32, v3, v30, v31
	v_fmac_f32_e32 v30, v32, v23
	s_delay_alu instid0(VALU_DEP_1) | instskip(NEXT) | instid1(VALU_DEP_1)
	v_fmac_f32_e32 v31, v3, v30
	v_div_fmas_f32 v3, v31, v23, v30
	v_dual_fma_f32 v23, v22, v1, v0 :: v_dual_fma_f32 v0, -v22, v0, v1
	s_delay_alu instid0(VALU_DEP_2) | instskip(NEXT) | instid1(VALU_DEP_1)
	v_div_fixup_f32 v2, v3, v2, 1.0
	v_dual_mul_f32 v22, v23, v2 :: v_dual_mul_f32 v23, v0, v2
.LBB152_133:                            ;   in Loop: Header=BB152_123 Depth=2
	s_lshl_b32 s35, s35, 3
	s_lshl_b32 s31, s31, 3
	s_add_co_i32 s49, s35, s34
	s_add_co_i32 s31, s35, s31
	v_dual_mov_b32 v0, s49 :: v_dual_mov_b32 v2, v21
	ds_store_b64 v29, v[22:23]
	v_mov_b32_e32 v34, v23
	ds_load_b128 v[30:33], v0
	v_mov_b32_e32 v0, s31
	s_mov_b32 s31, -1
	ds_load_b64 v[0:1], v0
	s_wait_dscnt 0x1
	v_pk_mul_f32 v[2:3], v[2:3], v[30:31] op_sel_hi:[0,1]
	v_pk_mul_f32 v[34:35], v[34:35], v[32:33] op_sel_hi:[0,1]
	s_delay_alu instid0(VALU_DEP_2) | instskip(SKIP_1) | instid1(VALU_DEP_3)
	v_pk_fma_f32 v[36:37], v[20:21], v[30:31], v[2:3] op_sel:[0,0,1] op_sel_hi:[0,1,0]
	v_pk_fma_f32 v[2:3], v[20:21], v[30:31], v[2:3] op_sel:[0,0,1] op_sel_hi:[1,1,0] neg_lo:[0,0,1] neg_hi:[0,0,1]
	v_pk_fma_f32 v[30:31], v[22:23], v[32:33], v[34:35] op_sel:[0,0,1] op_sel_hi:[0,1,0]
	s_wait_dscnt 0x0
	v_and_b32_e32 v30, 0x7fffffff, v0
	v_and_b32_e32 v36, 0x7fffffff, v1
	v_mov_b32_e32 v3, v37
	v_pk_fma_f32 v[32:33], v[22:23], v[32:33], v[34:35] op_sel:[0,0,1] op_sel_hi:[1,1,0] neg_lo:[0,0,1] neg_hi:[0,0,1]
	v_mov_b32_e32 v33, v31
	s_delay_alu instid0(VALU_DEP_4) | instskip(NEXT) | instid1(VALU_DEP_4)
	v_cmp_ngt_f32_e32 vcc_lo, v30, v36
	v_pk_add_f32 v[2:3], v[18:19], v[2:3] neg_lo:[0,1] neg_hi:[0,1]
                                        ; implicit-def: $vgpr18_vgpr19
	s_delay_alu instid0(VALU_DEP_1)
	v_pk_add_f32 v[2:3], v[2:3], v[32:33] neg_lo:[0,1] neg_hi:[0,1]
	s_cbranch_vccz .LBB152_135
; %bb.134:                              ;   in Loop: Header=BB152_123 Depth=2
	v_div_scale_f32 v18, null, v1, v1, v0
	v_div_scale_f32 v30, vcc_lo, v0, v1, v0
	s_mov_b32 s31, 0
	v_rcp_f32_e32 v19, v18
	v_nop
	v_xor_b32_e32 v18, 0x80000000, v18
	s_delay_alu instid0(TRANS32_DEP_1) | instid1(VALU_DEP_1)
	v_fma_f32 v29, v18, v19, 1.0
	s_delay_alu instid0(VALU_DEP_1) | instskip(NEXT) | instid1(VALU_DEP_1)
	v_fmac_f32_e32 v19, v29, v19
	v_mul_f32_e32 v29, v30, v19
	s_delay_alu instid0(VALU_DEP_1) | instskip(NEXT) | instid1(VALU_DEP_1)
	v_fma_f32 v31, v18, v29, v30
	v_fmac_f32_e32 v29, v31, v19
	s_delay_alu instid0(VALU_DEP_1) | instskip(NEXT) | instid1(VALU_DEP_1)
	v_fmac_f32_e32 v30, v18, v29
	v_div_fmas_f32 v18, v30, v19, v29
	s_delay_alu instid0(VALU_DEP_1) | instskip(NEXT) | instid1(VALU_DEP_1)
	v_div_fixup_f32 v18, v18, v1, v0
	v_fma_f32 v19, v0, v18, v1
	s_delay_alu instid0(VALU_DEP_1) | instskip(SKIP_1) | instid1(VALU_DEP_2)
	v_div_scale_f32 v29, null, v19, v19, 1.0
	v_div_scale_f32 v32, vcc_lo, 1.0, v19, 1.0
	v_rcp_f32_e32 v31, v29
	v_nop
	v_xor_b32_e32 v29, 0x80000000, v29
	s_delay_alu instid0(TRANS32_DEP_1) | instid1(VALU_DEP_1)
	v_fma_f32 v30, v29, v31, 1.0
	s_delay_alu instid0(VALU_DEP_1) | instskip(NEXT) | instid1(VALU_DEP_1)
	v_fmac_f32_e32 v31, v30, v31
	v_mul_f32_e32 v33, v32, v31
	s_delay_alu instid0(VALU_DEP_1) | instskip(NEXT) | instid1(VALU_DEP_1)
	v_fma_f32 v30, v29, v33, v32
	v_dual_fmac_f32 v33, v30, v31 :: v_dual_mov_b32 v30, v3
	s_delay_alu instid0(VALU_DEP_1) | instskip(NEXT) | instid1(VALU_DEP_1)
	v_fmac_f32_e32 v32, v29, v33
	v_div_fmas_f32 v29, v32, v31, v33
	s_delay_alu instid0(VALU_DEP_3) | instskip(NEXT) | instid1(VALU_DEP_2)
	v_pk_fma_f32 v[30:31], v[18:19], v[2:3], v[30:31]
	v_div_fixup_f32 v31, v29, v19, 1.0
	s_delay_alu instid0(VALU_DEP_1) | instskip(NEXT) | instid1(VALU_DEP_1)
	v_dual_fma_f32 v19, v18, v3, -v2 :: v_dual_mov_b32 v18, v31
	v_pk_mul_f32 v[18:19], v[30:31], v[18:19]
.LBB152_135:                            ;   in Loop: Header=BB152_123 Depth=2
	s_and_not1_b32 vcc_lo, exec_lo, s31
	s_cbranch_vccnz .LBB152_137
; %bb.136:                              ;   in Loop: Header=BB152_123 Depth=2
	v_div_scale_f32 v18, null, v0, v0, v1
	v_div_scale_f32 v30, vcc_lo, v1, v0, v1
	s_delay_alu instid0(VALU_DEP_2)
	v_rcp_f32_e32 v19, v18
	v_nop
	v_xor_b32_e32 v18, 0x80000000, v18
	s_delay_alu instid0(TRANS32_DEP_1) | instid1(VALU_DEP_1)
	v_fma_f32 v29, v18, v19, 1.0
	s_delay_alu instid0(VALU_DEP_1) | instskip(NEXT) | instid1(VALU_DEP_1)
	v_fmac_f32_e32 v19, v29, v19
	v_mul_f32_e32 v29, v30, v19
	s_delay_alu instid0(VALU_DEP_1) | instskip(NEXT) | instid1(VALU_DEP_1)
	v_fma_f32 v31, v18, v29, v30
	v_fmac_f32_e32 v29, v31, v19
	s_delay_alu instid0(VALU_DEP_1) | instskip(NEXT) | instid1(VALU_DEP_1)
	v_fmac_f32_e32 v30, v18, v29
	v_div_fmas_f32 v18, v30, v19, v29
	s_delay_alu instid0(VALU_DEP_1) | instskip(NEXT) | instid1(VALU_DEP_1)
	v_div_fixup_f32 v18, v18, v0, v1
	v_fmac_f32_e32 v0, v1, v18
	s_delay_alu instid0(VALU_DEP_1) | instskip(SKIP_1) | instid1(VALU_DEP_2)
	v_div_scale_f32 v1, null, v0, v0, 1.0
	v_div_scale_f32 v30, vcc_lo, 1.0, v0, 1.0
	v_rcp_f32_e32 v19, v1
	v_nop
	v_xor_b32_e32 v1, 0x80000000, v1
	s_delay_alu instid0(TRANS32_DEP_1) | instid1(VALU_DEP_1)
	v_fma_f32 v29, v1, v19, 1.0
	s_delay_alu instid0(VALU_DEP_1) | instskip(NEXT) | instid1(VALU_DEP_1)
	v_fmac_f32_e32 v19, v29, v19
	v_mul_f32_e32 v29, v30, v19
	s_delay_alu instid0(VALU_DEP_1) | instskip(NEXT) | instid1(VALU_DEP_1)
	v_fma_f32 v31, v1, v29, v30
	v_fmac_f32_e32 v29, v31, v19
	s_delay_alu instid0(VALU_DEP_1) | instskip(NEXT) | instid1(VALU_DEP_1)
	v_fmac_f32_e32 v30, v1, v29
	v_div_fmas_f32 v1, v30, v19, v29
	v_pk_fma_f32 v[30:31], v[18:19], v[2:3], v[2:3] op_sel:[0,1,0] op_sel_hi:[0,0,1] neg_lo:[1,0,0] neg_hi:[1,0,0]
	v_pk_fma_f32 v[2:3], v[18:19], v[2:3], v[2:3] op_sel:[0,1,0] op_sel_hi:[1,0,1]
	s_delay_alu instid0(VALU_DEP_3) | instskip(NEXT) | instid1(VALU_DEP_3)
	v_div_fixup_f32 v0, v1, v0, 1.0
	v_mov_b32_e32 v3, v31
	s_delay_alu instid0(VALU_DEP_1)
	v_pk_mul_f32 v[18:19], v[2:3], v[0:1] op_sel_hi:[1,0]
.LBB152_137:                            ;   in Loop: Header=BB152_123 Depth=2
	s_lshl_b32 s30, s30, 3
	v_mov_b32_e32 v35, v21
	s_add_co_i32 s30, s30, s34
	v_dual_mov_b32 v36, v23 :: v_dual_mov_b32 v37, v23
	v_dual_mov_b32 v0, s30 :: v_dual_mov_b32 v34, v21
	v_mov_b32_e32 v21, v20
	s_mov_b32 s30, -1
	ds_load_b128 v[30:33], v0
	ds_load_b128 v[0:3], v0 offset:16
	ds_store_b64 v28, v[18:19]
	s_wait_dscnt 0x2
	v_pk_mul_f32 v[34:35], v[34:35], v[30:31]
	v_pk_mul_f32 v[36:37], v[36:37], v[32:33]
	s_wait_dscnt 0x1
	v_and_b32_e32 v29, 0x7fffffff, v3
	s_delay_alu instid0(VALU_DEP_3) | instskip(SKIP_3) | instid1(VALU_DEP_4)
	v_pk_fma_f32 v[38:39], v[20:21], v[30:31], v[34:35] op_sel:[0,0,1] op_sel_hi:[1,1,0]
	v_mov_b32_e32 v23, v22
	v_pk_fma_f32 v[20:21], v[20:21], v[30:31], v[34:35] op_sel:[0,0,1] op_sel_hi:[1,1,0] neg_lo:[0,0,1] neg_hi:[0,0,1]
	v_pk_mul_f32 v[34:35], v[18:19], v[0:1] op_sel:[1,1] op_sel_hi:[1,0]
	v_mov_b32_e32 v21, v39
	s_delay_alu instid0(VALU_DEP_4) | instskip(SKIP_1) | instid1(VALU_DEP_3)
	v_pk_fma_f32 v[30:31], v[22:23], v[32:33], v[36:37] op_sel:[0,0,1] op_sel_hi:[1,1,0]
	v_pk_fma_f32 v[22:23], v[22:23], v[32:33], v[36:37] op_sel:[0,0,1] op_sel_hi:[1,1,0] neg_lo:[0,0,1] neg_hi:[0,0,1]
	v_pk_add_f32 v[16:17], v[16:17], v[20:21] neg_lo:[0,1] neg_hi:[0,1]
	v_pk_fma_f32 v[20:21], v[18:19], v[0:1], v[34:35] op_sel_hi:[0,1,1]
	s_delay_alu instid0(VALU_DEP_4) | instskip(SKIP_2) | instid1(VALU_DEP_4)
	v_mov_b32_e32 v23, v31
	v_and_b32_e32 v20, 0x7fffffff, v2
	v_pk_fma_f32 v[0:1], v[18:19], v[0:1], v[34:35] neg_lo:[0,0,1] neg_hi:[0,0,1]
	v_mov_b32_e32 v1, v21
	s_delay_alu instid0(VALU_DEP_4) | instskip(NEXT) | instid1(VALU_DEP_4)
	v_pk_add_f32 v[16:17], v[16:17], v[22:23] neg_lo:[0,1] neg_hi:[0,1]
	v_cmp_ngt_f32_e32 vcc_lo, v20, v29
	s_delay_alu instid0(VALU_DEP_2)
	v_pk_add_f32 v[0:1], v[16:17], v[0:1] neg_lo:[0,1] neg_hi:[0,1]
                                        ; implicit-def: $vgpr16_vgpr17
	s_cbranch_vccz .LBB152_139
; %bb.138:                              ;   in Loop: Header=BB152_123 Depth=2
	v_div_scale_f32 v16, null, v3, v3, v2
	v_div_scale_f32 v19, vcc_lo, v2, v3, v2
	s_mov_b32 s30, 0
	v_rcp_f32_e32 v17, v16
	v_nop
	v_xor_b32_e32 v16, 0x80000000, v16
	s_delay_alu instid0(TRANS32_DEP_1) | instid1(VALU_DEP_1)
	v_fma_f32 v18, v16, v17, 1.0
	s_delay_alu instid0(VALU_DEP_1) | instskip(NEXT) | instid1(VALU_DEP_1)
	v_fmac_f32_e32 v17, v18, v17
	v_mul_f32_e32 v18, v19, v17
	s_delay_alu instid0(VALU_DEP_1) | instskip(NEXT) | instid1(VALU_DEP_1)
	v_fma_f32 v20, v16, v18, v19
	v_fmac_f32_e32 v18, v20, v17
	s_delay_alu instid0(VALU_DEP_1) | instskip(NEXT) | instid1(VALU_DEP_1)
	v_fmac_f32_e32 v19, v16, v18
	v_div_fmas_f32 v16, v19, v17, v18
	s_delay_alu instid0(VALU_DEP_1) | instskip(NEXT) | instid1(VALU_DEP_1)
	v_div_fixup_f32 v16, v16, v3, v2
	v_fma_f32 v17, v2, v16, v3
	s_delay_alu instid0(VALU_DEP_1) | instskip(NEXT) | instid1(VALU_DEP_1)
	v_div_scale_f32 v18, null, v17, v17, 1.0
	v_rcp_f32_e32 v19, v18
	v_nop
	v_xor_b32_e32 v18, 0x80000000, v18
	s_delay_alu instid0(TRANS32_DEP_1) | instid1(VALU_DEP_1)
	v_fma_f32 v20, v18, v19, 1.0
	s_delay_alu instid0(VALU_DEP_1) | instskip(SKIP_1) | instid1(VALU_DEP_1)
	v_fmac_f32_e32 v19, v20, v19
	v_div_scale_f32 v20, vcc_lo, 1.0, v17, 1.0
	v_mul_f32_e32 v21, v20, v19
	s_delay_alu instid0(VALU_DEP_1) | instskip(NEXT) | instid1(VALU_DEP_1)
	v_fma_f32 v22, v18, v21, v20
	v_fmac_f32_e32 v21, v22, v19
	s_delay_alu instid0(VALU_DEP_1) | instskip(NEXT) | instid1(VALU_DEP_1)
	v_dual_fmac_f32 v20, v18, v21 :: v_dual_mov_b32 v18, v1
	v_div_fmas_f32 v20, v20, v19, v21
	s_delay_alu instid0(VALU_DEP_2) | instskip(NEXT) | instid1(VALU_DEP_2)
	v_pk_fma_f32 v[18:19], v[16:17], v[0:1], v[18:19]
	v_div_fixup_f32 v19, v20, v17, 1.0
	s_delay_alu instid0(VALU_DEP_1) | instskip(NEXT) | instid1(VALU_DEP_1)
	v_dual_fma_f32 v17, v16, v1, -v0 :: v_dual_mov_b32 v16, v19
	v_pk_mul_f32 v[16:17], v[18:19], v[16:17]
.LBB152_139:                            ;   in Loop: Header=BB152_123 Depth=2
	s_and_not1_b32 vcc_lo, exec_lo, s30
	s_cbranch_vccnz .LBB152_141
; %bb.140:                              ;   in Loop: Header=BB152_123 Depth=2
	v_div_scale_f32 v16, null, v2, v2, v3
	v_div_scale_f32 v19, vcc_lo, v3, v2, v3
	s_delay_alu instid0(VALU_DEP_2)
	v_rcp_f32_e32 v17, v16
	v_nop
	v_xor_b32_e32 v16, 0x80000000, v16
	s_delay_alu instid0(TRANS32_DEP_1) | instid1(VALU_DEP_1)
	v_fma_f32 v18, v16, v17, 1.0
	s_delay_alu instid0(VALU_DEP_1) | instskip(NEXT) | instid1(VALU_DEP_1)
	v_fmac_f32_e32 v17, v18, v17
	v_mul_f32_e32 v18, v19, v17
	s_delay_alu instid0(VALU_DEP_1) | instskip(NEXT) | instid1(VALU_DEP_1)
	v_fma_f32 v20, v16, v18, v19
	v_fmac_f32_e32 v18, v20, v17
	s_delay_alu instid0(VALU_DEP_1) | instskip(NEXT) | instid1(VALU_DEP_1)
	v_fmac_f32_e32 v19, v16, v18
	v_div_fmas_f32 v16, v19, v17, v18
	s_delay_alu instid0(VALU_DEP_1) | instskip(NEXT) | instid1(VALU_DEP_1)
	v_div_fixup_f32 v16, v16, v2, v3
	v_fmac_f32_e32 v2, v3, v16
	s_delay_alu instid0(VALU_DEP_1) | instskip(SKIP_1) | instid1(VALU_DEP_2)
	v_div_scale_f32 v3, null, v2, v2, 1.0
	v_div_scale_f32 v19, vcc_lo, 1.0, v2, 1.0
	v_rcp_f32_e32 v17, v3
	v_nop
	v_xor_b32_e32 v3, 0x80000000, v3
	s_delay_alu instid0(TRANS32_DEP_1) | instid1(VALU_DEP_1)
	v_fma_f32 v18, v3, v17, 1.0
	s_delay_alu instid0(VALU_DEP_1) | instskip(NEXT) | instid1(VALU_DEP_1)
	v_fmac_f32_e32 v17, v18, v17
	v_mul_f32_e32 v18, v19, v17
	s_delay_alu instid0(VALU_DEP_1) | instskip(NEXT) | instid1(VALU_DEP_1)
	v_fma_f32 v20, v3, v18, v19
	v_fmac_f32_e32 v18, v20, v17
	s_delay_alu instid0(VALU_DEP_1) | instskip(NEXT) | instid1(VALU_DEP_1)
	v_fmac_f32_e32 v19, v3, v18
	v_div_fmas_f32 v3, v19, v17, v18
	v_pk_fma_f32 v[18:19], v[16:17], v[0:1], v[0:1] op_sel:[0,1,0] op_sel_hi:[0,0,1] neg_lo:[1,0,0] neg_hi:[1,0,0]
	v_pk_fma_f32 v[0:1], v[16:17], v[0:1], v[0:1] op_sel:[0,1,0] op_sel_hi:[1,0,1]
	s_delay_alu instid0(VALU_DEP_3) | instskip(NEXT) | instid1(VALU_DEP_3)
	v_div_fixup_f32 v2, v3, v2, 1.0
	v_mov_b32_e32 v1, v19
	s_delay_alu instid0(VALU_DEP_1)
	v_pk_mul_f32 v[16:17], v[0:1], v[2:3] op_sel_hi:[1,0]
.LBB152_141:                            ;   in Loop: Header=BB152_123 Depth=2
	s_add_co_i32 s30, s18, 4
	s_add_co_i32 s18, s18, 7
	s_addk_co_i32 s3, 0x200
	s_cmp_ge_i32 s18, s37
	ds_store_b64 v27, v[16:17]
	s_cbranch_scc1 .LBB152_143
; %bb.142:                              ;   in Loop: Header=BB152_123 Depth=2
	s_mov_b32 s18, s30
	s_branch .LBB152_123
.LBB152_143:                            ;   in Loop: Header=BB152_3 Depth=1
	s_cmp_ge_i32 s30, s37
	s_cbranch_scc1 .LBB152_152
; %bb.144:                              ;   in Loop: Header=BB152_3 Depth=1
	s_lshl_b32 s3, s30, 7
	s_branch .LBB152_146
.LBB152_145:                            ;   in Loop: Header=BB152_146 Depth=2
	s_add_co_i32 s30, s30, 1
	s_addk_co_i32 s3, 0x80
	s_cmp_ge_i32 s30, s37
	ds_store_b64 v18, v[16:17]
	s_cbranch_scc1 .LBB152_152
.LBB152_146:                            ;   Parent Loop BB152_3 Depth=1
                                        ; =>  This Loop Header: Depth=2
                                        ;       Child Loop BB152_147 Depth 3
	v_lshl_add_u32 v18, s30, 7, v24
	v_mov_b32_e32 v2, v24
	s_cmp_eq_u32 s30, 0
	s_mov_b32 s18, s3
	s_mov_b32 s31, s30
	ds_load_b64 v[0:1], v18
	s_cbranch_scc1 .LBB152_148
.LBB152_147:                            ;   Parent Loop BB152_3 Depth=1
                                        ;     Parent Loop BB152_146 Depth=2
                                        ; =>    This Inner Loop Header: Depth=3
	v_mov_b32_e32 v3, s18
	s_add_co_i32 s31, s31, -1
	s_add_co_i32 s18, s18, 8
	s_cmp_eq_u32 s31, 0
	ds_load_b64 v[16:17], v2
	ds_load_b64 v[20:21], v3
	v_add_nc_u32_e32 v2, 0x80, v2
	s_wait_dscnt 0x0
	v_pk_mul_f32 v[22:23], v[20:21], v[16:17] op_sel:[1,1] op_sel_hi:[0,1]
	s_delay_alu instid0(VALU_DEP_1) | instskip(SKIP_1) | instid1(VALU_DEP_2)
	v_pk_fma_f32 v[28:29], v[20:21], v[16:17], v[22:23] op_sel_hi:[1,0,1]
	v_pk_fma_f32 v[16:17], v[20:21], v[16:17], v[22:23] op_sel_hi:[1,0,1] neg_lo:[0,0,1] neg_hi:[0,0,1]
	v_mov_b32_e32 v17, v29
	s_delay_alu instid0(VALU_DEP_1)
	v_pk_add_f32 v[0:1], v[0:1], v[16:17] neg_lo:[0,1] neg_hi:[0,1]
	s_cbranch_scc0 .LBB152_147
.LBB152_148:                            ;   in Loop: Header=BB152_146 Depth=2
	s_mul_i32 s18, s30, 0x88
	s_delay_alu instid0(SALU_CYCLE_1)
	v_mov_b32_e32 v2, s18
	s_mov_b32 s18, -1
	ds_load_b64 v[2:3], v2
	s_wait_dscnt 0x0
	v_and_b32_e32 v16, 0x7fffffff, v2
	v_and_b32_e32 v17, 0x7fffffff, v3
	s_delay_alu instid0(VALU_DEP_1)
	v_cmp_ngt_f32_e32 vcc_lo, v16, v17
                                        ; implicit-def: $vgpr16_vgpr17
	s_cbranch_vccz .LBB152_150
; %bb.149:                              ;   in Loop: Header=BB152_146 Depth=2
	v_div_scale_f32 v16, null, v3, v3, v2
	v_div_scale_f32 v20, vcc_lo, v2, v3, v2
	s_mov_b32 s18, 0
	v_rcp_f32_e32 v17, v16
	v_nop
	v_xor_b32_e32 v16, 0x80000000, v16
	s_delay_alu instid0(TRANS32_DEP_1) | instid1(VALU_DEP_1)
	v_fma_f32 v19, v16, v17, 1.0
	s_delay_alu instid0(VALU_DEP_1) | instskip(NEXT) | instid1(VALU_DEP_1)
	v_fmac_f32_e32 v17, v19, v17
	v_mul_f32_e32 v19, v20, v17
	s_delay_alu instid0(VALU_DEP_1) | instskip(NEXT) | instid1(VALU_DEP_1)
	v_fma_f32 v21, v16, v19, v20
	v_fmac_f32_e32 v19, v21, v17
	s_delay_alu instid0(VALU_DEP_1) | instskip(NEXT) | instid1(VALU_DEP_1)
	v_fmac_f32_e32 v20, v16, v19
	v_div_fmas_f32 v16, v20, v17, v19
	s_delay_alu instid0(VALU_DEP_1) | instskip(NEXT) | instid1(VALU_DEP_1)
	v_div_fixup_f32 v16, v16, v3, v2
	v_fma_f32 v19, v2, v16, v3
	s_delay_alu instid0(VALU_DEP_1) | instskip(SKIP_1) | instid1(VALU_DEP_2)
	v_div_scale_f32 v17, null, v19, v19, 1.0
	v_div_scale_f32 v22, vcc_lo, 1.0, v19, 1.0
	v_rcp_f32_e32 v20, v17
	v_nop
	v_xor_b32_e32 v17, 0x80000000, v17
	s_delay_alu instid0(TRANS32_DEP_1) | instid1(VALU_DEP_1)
	v_fma_f32 v21, v17, v20, 1.0
	s_delay_alu instid0(VALU_DEP_1) | instskip(NEXT) | instid1(VALU_DEP_1)
	v_fmac_f32_e32 v20, v21, v20
	v_mul_f32_e32 v21, v22, v20
	s_delay_alu instid0(VALU_DEP_1) | instskip(NEXT) | instid1(VALU_DEP_1)
	v_fma_f32 v23, v17, v21, v22
	v_fmac_f32_e32 v21, v23, v20
	s_delay_alu instid0(VALU_DEP_1) | instskip(NEXT) | instid1(VALU_DEP_1)
	v_fmac_f32_e32 v22, v17, v21
	v_div_fmas_f32 v22, v22, v20, v21
	v_pk_fma_f32 v[20:21], v[0:1], v[16:17], v[0:1] op_sel:[0,0,1] op_sel_hi:[1,0,0] neg_lo:[0,0,1] neg_hi:[0,0,1]
	v_pk_fma_f32 v[16:17], v[0:1], v[16:17], v[0:1] op_sel:[0,0,1] op_sel_hi:[1,0,0]
	s_delay_alu instid0(VALU_DEP_3) | instskip(NEXT) | instid1(VALU_DEP_3)
	v_div_fixup_f32 v20, v22, v19, 1.0
	v_mov_b32_e32 v17, v21
	s_delay_alu instid0(VALU_DEP_1)
	v_pk_mul_f32 v[16:17], v[16:17], v[20:21] op_sel_hi:[1,0]
.LBB152_150:                            ;   in Loop: Header=BB152_146 Depth=2
	s_and_not1_b32 vcc_lo, exec_lo, s18
	s_cbranch_vccnz .LBB152_145
; %bb.151:                              ;   in Loop: Header=BB152_146 Depth=2
	v_div_scale_f32 v16, null, v2, v2, v3
	v_div_scale_f32 v20, vcc_lo, v3, v2, v3
	s_delay_alu instid0(VALU_DEP_2)
	v_rcp_f32_e32 v17, v16
	v_nop
	v_xor_b32_e32 v16, 0x80000000, v16
	s_delay_alu instid0(TRANS32_DEP_1) | instid1(VALU_DEP_1)
	v_fma_f32 v19, v16, v17, 1.0
	s_delay_alu instid0(VALU_DEP_1) | instskip(NEXT) | instid1(VALU_DEP_1)
	v_fmac_f32_e32 v17, v19, v17
	v_mul_f32_e32 v19, v20, v17
	s_delay_alu instid0(VALU_DEP_1) | instskip(NEXT) | instid1(VALU_DEP_1)
	v_fma_f32 v21, v16, v19, v20
	v_fmac_f32_e32 v19, v21, v17
	s_delay_alu instid0(VALU_DEP_1) | instskip(NEXT) | instid1(VALU_DEP_1)
	v_fmac_f32_e32 v20, v16, v19
	v_div_fmas_f32 v16, v20, v17, v19
	s_delay_alu instid0(VALU_DEP_1) | instskip(NEXT) | instid1(VALU_DEP_1)
	v_div_fixup_f32 v16, v16, v2, v3
	v_fmac_f32_e32 v2, v3, v16
	s_delay_alu instid0(VALU_DEP_1) | instskip(SKIP_1) | instid1(VALU_DEP_2)
	v_div_scale_f32 v3, null, v2, v2, 1.0
	v_div_scale_f32 v20, vcc_lo, 1.0, v2, 1.0
	v_rcp_f32_e32 v17, v3
	v_nop
	v_xor_b32_e32 v3, 0x80000000, v3
	s_delay_alu instid0(TRANS32_DEP_1) | instid1(VALU_DEP_1)
	v_fma_f32 v19, v3, v17, 1.0
	s_delay_alu instid0(VALU_DEP_1) | instskip(NEXT) | instid1(VALU_DEP_1)
	v_fmac_f32_e32 v17, v19, v17
	v_mul_f32_e32 v19, v20, v17
	s_delay_alu instid0(VALU_DEP_1) | instskip(NEXT) | instid1(VALU_DEP_1)
	v_fma_f32 v21, v3, v19, v20
	v_fmac_f32_e32 v19, v21, v17
	s_delay_alu instid0(VALU_DEP_1) | instskip(NEXT) | instid1(VALU_DEP_1)
	v_fmac_f32_e32 v20, v3, v19
	v_div_fmas_f32 v3, v20, v17, v19
	v_pk_fma_f32 v[20:21], v[0:1], v[16:17], v[0:1] op_sel:[1,0,0] op_sel_hi:[0,0,1] neg_lo:[1,0,0] neg_hi:[1,0,0]
	v_pk_fma_f32 v[0:1], v[0:1], v[16:17], v[0:1] op_sel:[1,0,0] op_sel_hi:[0,0,1]
	s_delay_alu instid0(VALU_DEP_3) | instskip(NEXT) | instid1(VALU_DEP_3)
	v_div_fixup_f32 v2, v3, v2, 1.0
	v_mov_b32_e32 v1, v21
	s_delay_alu instid0(VALU_DEP_1)
	v_pk_mul_f32 v[16:17], v[0:1], v[2:3] op_sel_hi:[1,0]
	s_branch .LBB152_145
.LBB152_152:                            ;   in Loop: Header=BB152_3 Depth=1
	s_and_saveexec_b32 s3, s43
	s_cbranch_execz .LBB152_2
; %bb.153:                              ;   in Loop: Header=BB152_3 Depth=1
	v_add_nc_u64_e32 v[0:1], s[28:29], v[8:9]
	v_mov_b32_e32 v2, v24
	s_mov_b32 s18, s16
.LBB152_154:                            ;   Parent Loop BB152_3 Depth=1
                                        ; =>  This Inner Loop Header: Depth=2
	ds_load_b64 v[16:17], v2
	v_add_nc_u32_e32 v2, 0x80, v2
	s_add_co_i32 s18, s18, -1
	s_delay_alu instid0(SALU_CYCLE_1)
	s_cmp_lg_u32 s18, 0
	s_wait_dscnt 0x0
	global_store_b64 v[0:1], v[16:17], off
	s_wait_xcnt 0x0
	v_add_nc_u64_e32 v[0:1], s[10:11], v[0:1]
	s_cbranch_scc1 .LBB152_154
	s_branch .LBB152_2
.LBB152_155:
	s_endpgm
	.section	.rodata,"a",@progbits
	.p2align	6, 0x0
	.amdhsa_kernel _ZL31rocblas_trsm_small_right_deviceI19rocblas_complex_numIfES1_PKS1_PS1_Li16EEv13rocblas_fill_18rocblas_operation_17rocblas_diagonal_iiT0_T1_lilT2_lili
		.amdhsa_group_segment_fixed_size 4096
		.amdhsa_private_segment_fixed_size 0
		.amdhsa_kernarg_size 360
		.amdhsa_user_sgpr_count 2
		.amdhsa_user_sgpr_dispatch_ptr 0
		.amdhsa_user_sgpr_queue_ptr 0
		.amdhsa_user_sgpr_kernarg_segment_ptr 1
		.amdhsa_user_sgpr_dispatch_id 0
		.amdhsa_user_sgpr_kernarg_preload_length 0
		.amdhsa_user_sgpr_kernarg_preload_offset 0
		.amdhsa_user_sgpr_private_segment_size 0
		.amdhsa_wavefront_size32 1
		.amdhsa_uses_dynamic_stack 0
		.amdhsa_enable_private_segment 0
		.amdhsa_system_sgpr_workgroup_id_x 1
		.amdhsa_system_sgpr_workgroup_id_y 0
		.amdhsa_system_sgpr_workgroup_id_z 1
		.amdhsa_system_sgpr_workgroup_info 0
		.amdhsa_system_vgpr_workitem_id 0
		.amdhsa_next_free_vgpr 46
		.amdhsa_next_free_sgpr 53
		.amdhsa_named_barrier_count 0
		.amdhsa_reserve_vcc 1
		.amdhsa_float_round_mode_32 0
		.amdhsa_float_round_mode_16_64 0
		.amdhsa_float_denorm_mode_32 3
		.amdhsa_float_denorm_mode_16_64 3
		.amdhsa_fp16_overflow 0
		.amdhsa_memory_ordered 1
		.amdhsa_forward_progress 1
		.amdhsa_inst_pref_size 127
		.amdhsa_round_robin_scheduling 0
		.amdhsa_exception_fp_ieee_invalid_op 0
		.amdhsa_exception_fp_denorm_src 0
		.amdhsa_exception_fp_ieee_div_zero 0
		.amdhsa_exception_fp_ieee_overflow 0
		.amdhsa_exception_fp_ieee_underflow 0
		.amdhsa_exception_fp_ieee_inexact 0
		.amdhsa_exception_int_div_zero 0
	.end_amdhsa_kernel
	.section	.text._ZL31rocblas_trsm_small_right_deviceI19rocblas_complex_numIfES1_PKS1_PS1_Li16EEv13rocblas_fill_18rocblas_operation_17rocblas_diagonal_iiT0_T1_lilT2_lili,"axG",@progbits,_ZL31rocblas_trsm_small_right_deviceI19rocblas_complex_numIfES1_PKS1_PS1_Li16EEv13rocblas_fill_18rocblas_operation_17rocblas_diagonal_iiT0_T1_lilT2_lili,comdat
.Lfunc_end152:
	.size	_ZL31rocblas_trsm_small_right_deviceI19rocblas_complex_numIfES1_PKS1_PS1_Li16EEv13rocblas_fill_18rocblas_operation_17rocblas_diagonal_iiT0_T1_lilT2_lili, .Lfunc_end152-_ZL31rocblas_trsm_small_right_deviceI19rocblas_complex_numIfES1_PKS1_PS1_Li16EEv13rocblas_fill_18rocblas_operation_17rocblas_diagonal_iiT0_T1_lilT2_lili
                                        ; -- End function
	.set _ZL31rocblas_trsm_small_right_deviceI19rocblas_complex_numIfES1_PKS1_PS1_Li16EEv13rocblas_fill_18rocblas_operation_17rocblas_diagonal_iiT0_T1_lilT2_lili.num_vgpr, 46
	.set _ZL31rocblas_trsm_small_right_deviceI19rocblas_complex_numIfES1_PKS1_PS1_Li16EEv13rocblas_fill_18rocblas_operation_17rocblas_diagonal_iiT0_T1_lilT2_lili.num_agpr, 0
	.set _ZL31rocblas_trsm_small_right_deviceI19rocblas_complex_numIfES1_PKS1_PS1_Li16EEv13rocblas_fill_18rocblas_operation_17rocblas_diagonal_iiT0_T1_lilT2_lili.numbered_sgpr, 53
	.set _ZL31rocblas_trsm_small_right_deviceI19rocblas_complex_numIfES1_PKS1_PS1_Li16EEv13rocblas_fill_18rocblas_operation_17rocblas_diagonal_iiT0_T1_lilT2_lili.num_named_barrier, 0
	.set _ZL31rocblas_trsm_small_right_deviceI19rocblas_complex_numIfES1_PKS1_PS1_Li16EEv13rocblas_fill_18rocblas_operation_17rocblas_diagonal_iiT0_T1_lilT2_lili.private_seg_size, 0
	.set _ZL31rocblas_trsm_small_right_deviceI19rocblas_complex_numIfES1_PKS1_PS1_Li16EEv13rocblas_fill_18rocblas_operation_17rocblas_diagonal_iiT0_T1_lilT2_lili.uses_vcc, 1
	.set _ZL31rocblas_trsm_small_right_deviceI19rocblas_complex_numIfES1_PKS1_PS1_Li16EEv13rocblas_fill_18rocblas_operation_17rocblas_diagonal_iiT0_T1_lilT2_lili.uses_flat_scratch, 0
	.set _ZL31rocblas_trsm_small_right_deviceI19rocblas_complex_numIfES1_PKS1_PS1_Li16EEv13rocblas_fill_18rocblas_operation_17rocblas_diagonal_iiT0_T1_lilT2_lili.has_dyn_sized_stack, 0
	.set _ZL31rocblas_trsm_small_right_deviceI19rocblas_complex_numIfES1_PKS1_PS1_Li16EEv13rocblas_fill_18rocblas_operation_17rocblas_diagonal_iiT0_T1_lilT2_lili.has_recursion, 0
	.set _ZL31rocblas_trsm_small_right_deviceI19rocblas_complex_numIfES1_PKS1_PS1_Li16EEv13rocblas_fill_18rocblas_operation_17rocblas_diagonal_iiT0_T1_lilT2_lili.has_indirect_call, 0
	.section	.AMDGPU.csdata,"",@progbits
; Kernel info:
; codeLenInByte = 16180
; TotalNumSgprs: 55
; NumVgprs: 46
; ScratchSize: 0
; MemoryBound: 0
; FloatMode: 240
; IeeeMode: 1
; LDSByteSize: 4096 bytes/workgroup (compile time only)
; SGPRBlocks: 0
; VGPRBlocks: 2
; NumSGPRsForWavesPerEU: 55
; NumVGPRsForWavesPerEU: 46
; NamedBarCnt: 0
; Occupancy: 16
; WaveLimiterHint : 0
; COMPUTE_PGM_RSRC2:SCRATCH_EN: 0
; COMPUTE_PGM_RSRC2:USER_SGPR: 2
; COMPUTE_PGM_RSRC2:TRAP_HANDLER: 0
; COMPUTE_PGM_RSRC2:TGID_X_EN: 1
; COMPUTE_PGM_RSRC2:TGID_Y_EN: 0
; COMPUTE_PGM_RSRC2:TGID_Z_EN: 1
; COMPUTE_PGM_RSRC2:TIDIG_COMP_CNT: 0
	.section	.text._ZL38rocblas_trsm_small_left_device_sharedBILi20ELi20ELb0E19rocblas_complex_numIfES1_PKS1_PS1_Ev13rocblas_fill_18rocblas_operation_17rocblas_diagonal_iiT3_T4_lilT5_lili,"axG",@progbits,_ZL38rocblas_trsm_small_left_device_sharedBILi20ELi20ELb0E19rocblas_complex_numIfES1_PKS1_PS1_Ev13rocblas_fill_18rocblas_operation_17rocblas_diagonal_iiT3_T4_lilT5_lili,comdat
	.globl	_ZL38rocblas_trsm_small_left_device_sharedBILi20ELi20ELb0E19rocblas_complex_numIfES1_PKS1_PS1_Ev13rocblas_fill_18rocblas_operation_17rocblas_diagonal_iiT3_T4_lilT5_lili ; -- Begin function _ZL38rocblas_trsm_small_left_device_sharedBILi20ELi20ELb0E19rocblas_complex_numIfES1_PKS1_PS1_Ev13rocblas_fill_18rocblas_operation_17rocblas_diagonal_iiT3_T4_lilT5_lili
	.p2align	8
	.type	_ZL38rocblas_trsm_small_left_device_sharedBILi20ELi20ELb0E19rocblas_complex_numIfES1_PKS1_PS1_Ev13rocblas_fill_18rocblas_operation_17rocblas_diagonal_iiT3_T4_lilT5_lili,@function
_ZL38rocblas_trsm_small_left_device_sharedBILi20ELi20ELb0E19rocblas_complex_numIfES1_PKS1_PS1_Ev13rocblas_fill_18rocblas_operation_17rocblas_diagonal_iiT3_T4_lilT5_lili: ; @_ZL38rocblas_trsm_small_left_device_sharedBILi20ELi20ELb0E19rocblas_complex_numIfES1_PKS1_PS1_Ev13rocblas_fill_18rocblas_operation_17rocblas_diagonal_iiT3_T4_lilT5_lili
; %bb.0:
	s_load_b32 s30, s[0:1], 0x60
	s_bfe_u32 s2, ttmp6, 0x40014
	s_lshr_b32 s4, ttmp7, 16
	s_add_co_i32 s2, s2, 1
	s_bfe_u32 s5, ttmp6, 0x40008
	s_mul_i32 s2, s4, s2
	s_getreg_b32 s3, hwreg(HW_REG_IB_STS2, 6, 4)
	s_add_co_i32 s5, s5, s2
	s_cmp_eq_u32 s3, 0
	s_mov_b32 s19, 0
	s_cselect_b32 s2, s4, s5
	s_wait_kmcnt 0x0
	s_cmp_ge_u32 s2, s30
	s_cbranch_scc1 .LBB153_86
; %bb.1:
	s_clause 0x7
	s_load_b32 s24, s[0:1], 0x30
	s_load_b96 s[16:18], s[0:1], 0x48
	s_load_b128 s[4:7], s[0:1], 0x4
	s_load_b32 s26, s[0:1], 0x68
	s_load_b128 s[12:15], s[0:1], 0x20
	s_load_b128 s[8:11], s[0:1], 0x38
	s_load_b64 s[20:21], s[0:1], 0x58
	s_load_b64 s[22:23], s[0:1], 0x14
	v_dual_mov_b32 v1, 0 :: v_dual_lshlrev_b32 v2, 3, v0
	v_mul_u32_u24_e32 v6, 0xa0, v0
	v_mov_b64_e32 v[4:5], 0xbf80000000000000
	v_mov_b64_e32 v[12:13], 0x3f800000
	s_delay_alu instid0(VALU_DEP_4) | instskip(NEXT) | instid1(VALU_DEP_4)
	v_dual_mov_b32 v3, v1 :: v_dual_add_nc_u32 v22, 0xc80, v2
	v_add_nc_u32_e32 v23, v2, v6
	s_wait_kmcnt 0x0
	s_ashr_i32 s25, s24, 31
	s_ashr_i32 s27, s18, 31
	s_cmp_lg_u32 s4, 0x71
	s_cselect_b32 s1, -1, 0
	s_bfe_u32 s0, ttmp6, 0x4000c
	s_min_i32 s31, s6, 20
	s_add_co_i32 s0, s0, 1
	s_and_b32 s28, ttmp6, 15
	s_mul_i32 s0, ttmp9, s0
	s_lshl_b64 s[16:17], s[16:17], 3
	s_add_co_i32 s26, s26, -1
	s_add_co_i32 s33, s31, -1
	s_add_co_i32 s28, s28, s0
	s_cmp_eq_u32 s3, 0
	s_add_nc_u64 s[16:17], s[10:11], s[16:17]
	s_cselect_b32 s0, ttmp9, s28
	s_mul_i32 s41, s31, 0xa0
	s_mul_i32 s3, s0, 0xffffffec
	;; [unrolled: 1-line block ×3, first 2 shown]
	s_add_co_i32 s3, s7, s3
	s_cmp_ge_u32 s0, s26
	s_mov_b32 s26, s18
	s_cselect_b32 s0, s3, 20
	s_ashr_i32 s29, s28, 31
	v_mul_u64_e32 v[8:9], s[26:27], v[0:1]
	v_lshl_add_u64 v[10:11], s[28:29], 3, v[2:3]
	s_mul_u64 s[10:11], s[26:27], s[28:29]
	v_cmp_gt_i32_e32 vcc_lo, s0, v0
	s_lshl_b64 s[28:29], s[10:11], 3
	s_cmp_lg_u32 s5, 0x84
	v_mad_nc_u64_u32 v[6:7], v10, s18, s[16:17]
	s_cselect_b32 s34, -1, 0
	s_cmp_gt_i32 s6, 0
	s_mov_b32 s10, s22
	s_cselect_b32 s0, -1, 0
	s_cmp_lg_u32 s4, 0x6f
	s_mov_b32 s11, s22
	s_cselect_b32 s35, -1, 0
	s_and_b32 s36, vcc_lo, s0
	s_cmp_gt_i32 s6, 1
	v_cmp_gt_i32_e64 s0, s31, v0
	v_mad_u32 v1, v11, s18, v7
	s_cselect_b32 s37, -1, 0
	s_and_b32 s38, s31, 30
	s_mov_b32 s4, s23
	s_cmp_lg_u32 s31, s38
	s_mov_b32 s5, s23
	s_cselect_b32 s39, -1, 0
	s_lshl_b64 s[6:7], s[14:15], 3
	s_lshl_b64 s[8:9], s[8:9], 3
	s_add_nc_u64 s[12:13], s[12:13], s[6:7]
	s_mov_b32 s6, s23
	v_mad_u32 v7, v10, s27, v1
	v_add_nc_u64_e32 v[10:11], s[12:13], v[2:3]
	s_mov_b32 s7, s22
	s_add_nc_u64 s[12:13], s[16:17], s[28:29]
	s_lshl_b64 s[14:15], s[24:25], 3
	s_lshl_b64 s[16:17], s[20:21], 3
	s_or_b32 s40, 0, 8
	s_addk_co_i32 s41, 0xff60
	v_add_nc_u64_e32 v[0:1], 4, v[10:11]
	s_get_pc_i64 s[24:25]
	s_add_nc_u64 s[24:25], s[24:25], __const._ZL38rocblas_trsm_small_left_device_sharedBILi20ELi20ELb0E19rocblas_complex_numIfES1_PKS1_PS1_Ev13rocblas_fill_18rocblas_operation_17rocblas_diagonal_iiT3_T4_lilT5_lili.step_sizes@rel64+4
	v_add_nc_u64_e32 v[10:11], 4, v[6:7]
	s_branch .LBB153_3
.LBB153_2:                              ;   in Loop: Header=BB153_3 Depth=1
	s_or_b32 exec_lo, exec_lo, s3
	s_add_co_i32 s2, s2, 0x10000
	s_delay_alu instid0(SALU_CYCLE_1)
	s_cmp_lt_u32 s2, s30
	s_cbranch_scc0 .LBB153_86
.LBB153_3:                              ; =>This Loop Header: Depth=1
                                        ;     Child Loop BB153_6 Depth 2
                                        ;     Child Loop BB153_21 Depth 2
	;; [unrolled: 1-line block ×4, first 2 shown]
                                        ;       Child Loop BB153_32 Depth 3
                                        ;         Child Loop BB153_33 Depth 4
                                        ;         Child Loop BB153_37 Depth 4
                                        ;           Child Loop BB153_39 Depth 5
                                        ;           Child Loop BB153_45 Depth 5
                                        ;         Child Loop BB153_48 Depth 4
                                        ;           Child Loop BB153_50 Depth 5
                                        ;     Child Loop BB153_58 Depth 2
                                        ;       Child Loop BB153_61 Depth 3
                                        ;         Child Loop BB153_62 Depth 4
                                        ;         Child Loop BB153_66 Depth 4
                                        ;           Child Loop BB153_68 Depth 5
                                        ;           Child Loop BB153_74 Depth 5
                                        ;         Child Loop BB153_77 Depth 4
                                        ;           Child Loop BB153_79 Depth 5
                                        ;     Child Loop BB153_85 Depth 2
	s_mov_b32 s3, s19
	s_and_saveexec_b32 s18, s0
	s_cbranch_execz .LBB153_18
; %bb.4:                                ;   in Loop: Header=BB153_3 Depth=1
	v_mad_nc_u64_u32 v[14:15], s8, s2, v[0:1]
	v_mov_b32_e32 v3, v2
	s_mov_b32 s26, s31
	s_delay_alu instid0(VALU_DEP_2)
	v_mad_u32 v15, s9, s2, v15
	s_branch .LBB153_6
.LBB153_5:                              ;   in Loop: Header=BB153_6 Depth=2
	global_load_b32 v16, v[14:15], off offset:-4
	s_wait_xcnt 0x0
	v_add_nc_u64_e32 v[14:15], s[14:15], v[14:15]
	s_add_co_i32 s26, s26, -1
	s_delay_alu instid0(SALU_CYCLE_1)
	s_cmp_eq_u32 s26, 0
	s_wait_loadcnt 0x0
	ds_store_b64 v3, v[16:17]
	v_add_nc_u32_e32 v3, 0xa0, v3
	s_cbranch_scc1 .LBB153_10
.LBB153_6:                              ;   Parent Loop BB153_3 Depth=1
                                        ; =>  This Inner Loop Header: Depth=2
	s_and_b32 vcc_lo, exec_lo, s1
	s_mov_b32 s27, -1
                                        ; implicit-def: $vgpr17
	s_cbranch_vccz .LBB153_8
; %bb.7:                                ;   in Loop: Header=BB153_6 Depth=2
	global_load_b32 v17, v[14:15], off
	s_mov_b32 s27, 0
.LBB153_8:                              ;   in Loop: Header=BB153_6 Depth=2
	s_delay_alu instid0(SALU_CYCLE_1)
	s_and_not1_b32 vcc_lo, exec_lo, s27
	s_cbranch_vccnz .LBB153_5
; %bb.9:                                ;   in Loop: Header=BB153_6 Depth=2
	global_load_b32 v16, v[14:15], off
	s_wait_loadcnt 0x0
	v_xor_b32_e32 v17, 0x80000000, v16
	s_branch .LBB153_5
.LBB153_10:                             ;   in Loop: Header=BB153_3 Depth=1
	s_and_b32 vcc_lo, exec_lo, s34
	s_mov_b32 s26, -1
	s_cbranch_vccz .LBB153_16
; %bb.11:                               ;   in Loop: Header=BB153_3 Depth=1
	ds_load_b64 v[14:15], v23
                                        ; implicit-def: $vgpr16_vgpr17
	s_wait_dscnt 0x0
	v_cmp_ngt_f32_e64 s26, |v14|, |v15|
	s_and_saveexec_b32 s27, s26
	s_delay_alu instid0(SALU_CYCLE_1)
	s_xor_b32 s26, exec_lo, s27
	s_cbranch_execz .LBB153_13
; %bb.12:                               ;   in Loop: Header=BB153_3 Depth=1
	v_div_scale_f32 v3, null, v15, v15, v14
	v_div_scale_f32 v18, vcc_lo, v14, v15, v14
	s_delay_alu instid0(VALU_DEP_2) | instskip(SKIP_1) | instid1(TRANS32_DEP_1)
	v_rcp_f32_e32 v16, v3
	v_nop
	v_fma_f32 v17, -v3, v16, 1.0
	s_delay_alu instid0(VALU_DEP_1) | instskip(NEXT) | instid1(VALU_DEP_1)
	v_fmac_f32_e32 v16, v17, v16
	v_mul_f32_e32 v17, v18, v16
	s_delay_alu instid0(VALU_DEP_1) | instskip(NEXT) | instid1(VALU_DEP_1)
	v_fma_f32 v19, -v3, v17, v18
	v_fmac_f32_e32 v17, v19, v16
	s_delay_alu instid0(VALU_DEP_1) | instskip(NEXT) | instid1(VALU_DEP_1)
	v_fma_f32 v3, -v3, v17, v18
	v_div_fmas_f32 v3, v3, v16, v17
	s_delay_alu instid0(VALU_DEP_1) | instskip(NEXT) | instid1(VALU_DEP_1)
	v_div_fixup_f32 v16, v3, v15, v14
	v_fmac_f32_e32 v15, v14, v16
	s_delay_alu instid0(VALU_DEP_1) | instskip(SKIP_1) | instid1(VALU_DEP_2)
	v_div_scale_f32 v3, null, v15, v15, 1.0
	v_div_scale_f32 v18, vcc_lo, 1.0, v15, 1.0
	v_rcp_f32_e32 v14, v3
	v_nop
	s_delay_alu instid0(TRANS32_DEP_1) | instskip(NEXT) | instid1(VALU_DEP_1)
	v_fma_f32 v17, -v3, v14, 1.0
	v_fmac_f32_e32 v14, v17, v14
	s_delay_alu instid0(VALU_DEP_1) | instskip(NEXT) | instid1(VALU_DEP_1)
	v_mul_f32_e32 v17, v18, v14
	v_fma_f32 v19, -v3, v17, v18
	s_delay_alu instid0(VALU_DEP_1) | instskip(NEXT) | instid1(VALU_DEP_1)
	v_fmac_f32_e32 v17, v19, v14
	v_fma_f32 v3, -v3, v17, v18
	s_delay_alu instid0(VALU_DEP_1) | instskip(SKIP_1) | instid1(VALU_DEP_2)
	v_div_fmas_f32 v3, v3, v14, v17
	v_mul_f32_e32 v17, 0, v16
	v_div_fixup_f32 v14, v3, v15, 1.0
	s_delay_alu instid0(VALU_DEP_2) | instskip(NEXT) | instid1(VALU_DEP_1)
	v_pk_add_f32 v[16:17], v[16:17], v[4:5]
	v_pk_mul_f32 v[16:17], v[16:17], v[14:15] op_sel_hi:[1,0]
                                        ; implicit-def: $vgpr14_vgpr15
.LBB153_13:                             ;   in Loop: Header=BB153_3 Depth=1
	s_and_not1_saveexec_b32 s26, s26
	s_cbranch_execz .LBB153_15
; %bb.14:                               ;   in Loop: Header=BB153_3 Depth=1
	v_div_scale_f32 v3, null, v14, v14, v15
	v_div_scale_f32 v18, vcc_lo, v15, v14, v15
	s_delay_alu instid0(VALU_DEP_2) | instskip(SKIP_1) | instid1(TRANS32_DEP_1)
	v_rcp_f32_e32 v16, v3
	v_nop
	v_fma_f32 v17, -v3, v16, 1.0
	s_delay_alu instid0(VALU_DEP_1) | instskip(NEXT) | instid1(VALU_DEP_1)
	v_fmac_f32_e32 v16, v17, v16
	v_mul_f32_e32 v17, v18, v16
	s_delay_alu instid0(VALU_DEP_1) | instskip(NEXT) | instid1(VALU_DEP_1)
	v_fma_f32 v19, -v3, v17, v18
	v_fmac_f32_e32 v17, v19, v16
	s_delay_alu instid0(VALU_DEP_1) | instskip(NEXT) | instid1(VALU_DEP_1)
	v_fma_f32 v3, -v3, v17, v18
	v_div_fmas_f32 v3, v3, v16, v17
	s_delay_alu instid0(VALU_DEP_1) | instskip(NEXT) | instid1(VALU_DEP_1)
	v_div_fixup_f32 v3, v3, v14, v15
	v_fmac_f32_e32 v14, v15, v3
	s_delay_alu instid0(VALU_DEP_1) | instskip(SKIP_1) | instid1(VALU_DEP_2)
	v_div_scale_f32 v15, null, v14, v14, 1.0
	v_div_scale_f32 v18, vcc_lo, 1.0, v14, 1.0
	v_rcp_f32_e32 v16, v15
	v_nop
	s_delay_alu instid0(TRANS32_DEP_1) | instskip(NEXT) | instid1(VALU_DEP_1)
	v_fma_f32 v17, -v15, v16, 1.0
	v_fmac_f32_e32 v16, v17, v16
	s_delay_alu instid0(VALU_DEP_1) | instskip(NEXT) | instid1(VALU_DEP_1)
	v_mul_f32_e32 v17, v18, v16
	v_fma_f32 v19, -v15, v17, v18
	s_delay_alu instid0(VALU_DEP_1) | instskip(NEXT) | instid1(VALU_DEP_1)
	v_fmac_f32_e32 v17, v19, v16
	v_dual_fma_f32 v15, -v15, v17, v18 :: v_dual_mul_f32 v18, 0, v3
	s_delay_alu instid0(VALU_DEP_1) | instskip(NEXT) | instid1(VALU_DEP_2)
	v_div_fmas_f32 v15, v15, v16, v17
	v_dual_add_f32 v16, 1.0, v18 :: v_dual_sub_f32 v17, 0, v3
	s_delay_alu instid0(VALU_DEP_2) | instskip(NEXT) | instid1(VALU_DEP_1)
	v_div_fixup_f32 v14, v15, v14, 1.0
	v_pk_mul_f32 v[16:17], v[16:17], v[14:15] op_sel_hi:[1,0]
.LBB153_15:                             ;   in Loop: Header=BB153_3 Depth=1
	s_or_b32 exec_lo, exec_lo, s26
	s_mov_b32 s26, 0
	ds_store_b64 v23, v[16:17]
.LBB153_16:                             ;   in Loop: Header=BB153_3 Depth=1
	s_and_b32 vcc_lo, exec_lo, s26
	s_cbranch_vccz .LBB153_18
; %bb.17:                               ;   in Loop: Header=BB153_3 Depth=1
	ds_store_b64 v23, v[12:13]
.LBB153_18:                             ;   in Loop: Header=BB153_3 Depth=1
	s_or_b32 exec_lo, exec_lo, s18
	s_mul_u64 s[26:27], s[16:17], s[2:3]
	s_and_saveexec_b32 s42, s36
	s_cbranch_execz .LBB153_26
; %bb.19:                               ;   in Loop: Header=BB153_3 Depth=1
	s_and_not1_b32 vcc_lo, exec_lo, s37
	s_cbranch_vccnz .LBB153_23
; %bb.20:                               ;   in Loop: Header=BB153_3 Depth=1
	s_mul_u64 s[28:29], s[20:21], s[2:3]
	s_mov_b32 s18, 0
	s_lshl_b64 s[28:29], s[28:29], 3
	s_mov_b32 s3, s38
	s_add_nc_u64 s[28:29], s[12:13], s[28:29]
	s_delay_alu instid0(SALU_CYCLE_1)
	v_lshl_add_u64 v[14:15], v[8:9], 3, s[28:29]
	s_mov_b32 s28, 1
.LBB153_21:                             ;   Parent Loop BB153_3 Depth=1
                                        ; =>  This Inner Loop Header: Depth=2
	s_mov_b32 s29, s19
	s_delay_alu instid0(VALU_DEP_1)
	v_lshl_add_u64 v[16:17], s[18:19], 3, v[14:15]
	v_lshl_add_u64 v[18:19], s[28:29], 3, v[14:15]
	v_mad_u32 v3, 0xa0, s18, v22
	v_mad_u32 v28, 0xa0, s28, v22
	s_add_co_i32 s3, s3, -2
	s_clause 0x1
	global_load_b64 v[20:21], v[16:17], off
	global_load_b64 v[24:25], v[18:19], off
	s_wait_xcnt 0x1
	v_mov_b64_e32 v[16:17], s[4:5]
	s_wait_xcnt 0x0
	v_mov_b64_e32 v[18:19], s[10:11]
	s_add_co_i32 s18, s18, 2
	s_add_co_i32 s28, s28, 2
	s_mov_b32 s29, s38
	s_mov_b32 s43, s39
	s_cmp_lg_u32 s3, 0
	s_wait_loadcnt 0x0
	v_dual_mov_b32 v26, v20 :: v_dual_mov_b32 v27, v24
	v_mov_b32_e32 v24, v21
	s_delay_alu instid0(VALU_DEP_1) | instskip(SKIP_1) | instid1(VALU_DEP_2)
	v_pk_mul_f32 v[20:21], v[16:17], v[24:25]
	v_pk_mul_f32 v[24:25], v[18:19], v[24:25]
	v_pk_fma_f32 v[18:19], v[18:19], v[26:27], v[20:21] neg_lo:[0,0,1] neg_hi:[0,0,1]
	s_delay_alu instid0(VALU_DEP_2)
	v_pk_fma_f32 v[16:17], v[16:17], v[26:27], v[24:25]
	ds_store_b32 v3, v18
	ds_store_b32 v28, v19
	ds_store_b32 v3, v16 offset:4
	ds_store_b32 v28, v17 offset:4
	s_cbranch_scc1 .LBB153_21
; %bb.22:                               ;   in Loop: Header=BB153_3 Depth=1
	s_and_b32 vcc_lo, exec_lo, s43
	s_cbranch_vccnz .LBB153_24
	s_branch .LBB153_26
.LBB153_23:                             ;   in Loop: Header=BB153_3 Depth=1
	s_mov_b32 s29, 0
	s_cbranch_execz .LBB153_26
.LBB153_24:                             ;   in Loop: Header=BB153_3 Depth=1
	s_lshl_b32 s18, s29, 3
	v_mad_u32 v3, 0xa0, s29, v22
	s_add_nc_u64 s[44:45], s[26:27], s[18:19]
	s_sub_co_i32 s3, s31, s29
	v_add_nc_u64_e32 v[14:15], s[44:45], v[10:11]
.LBB153_25:                             ;   Parent Loop BB153_3 Depth=1
                                        ; =>  This Inner Loop Header: Depth=2
	global_load_b64 v[16:17], v[14:15], off offset:-4
	v_mov_b64_e32 v[18:19], s[6:7]
	v_mov_b64_e32 v[20:21], s[22:23]
	s_wait_xcnt 0x0
	v_add_nc_u64_e32 v[14:15], 8, v[14:15]
	s_add_co_i32 s3, s3, -1
	s_delay_alu instid0(SALU_CYCLE_1) | instskip(SKIP_2) | instid1(VALU_DEP_1)
	s_cmp_lg_u32 s3, 0
	s_wait_loadcnt 0x0
	v_pk_mul_f32 v[18:19], v[18:19], v[16:17] op_sel:[0,1]
	v_pk_fma_f32 v[24:25], v[20:21], v[16:17], v[18:19] op_sel_hi:[1,0,1]
	v_pk_fma_f32 v[16:17], v[20:21], v[16:17], v[18:19] neg_lo:[0,0,1] neg_hi:[0,0,1]
	s_delay_alu instid0(VALU_DEP_2)
	v_mov_b32_e32 v17, v25
	ds_store_b64 v3, v[16:17]
	v_add_nc_u32_e32 v3, 0xa0, v3
	s_cbranch_scc1 .LBB153_25
.LBB153_26:                             ;   in Loop: Header=BB153_3 Depth=1
	s_or_b32 exec_lo, exec_lo, s42
	s_delay_alu instid0(SALU_CYCLE_1)
	s_and_not1_b32 vcc_lo, exec_lo, s35
	s_mov_b32 s3, -1
	s_wait_dscnt 0x0
	; wave barrier
	s_cbranch_vccnz .LBB153_55
; %bb.27:                               ;   in Loop: Header=BB153_3 Depth=1
	s_mov_b32 s18, 0
	s_mov_b32 s3, 0
	s_branch .LBB153_29
.LBB153_28:                             ;   in Loop: Header=BB153_29 Depth=2
	s_cmp_lt_i32 s3, s31
	s_cselect_b32 s28, -1, 0
	s_add_co_i32 s29, s18, 1
	s_cmp_lt_u32 s18, 2
	s_wait_xcnt 0x0
	s_cselect_b32 s18, -1, 0
	s_delay_alu instid0(SALU_CYCLE_1) | instskip(NEXT) | instid1(SALU_CYCLE_1)
	s_and_b32 s18, s28, s18
	s_and_b32 vcc_lo, exec_lo, s18
	s_mov_b32 s18, s29
	s_cbranch_vccz .LBB153_54
.LBB153_29:                             ;   Parent Loop BB153_3 Depth=1
                                        ; =>  This Loop Header: Depth=2
                                        ;       Child Loop BB153_32 Depth 3
                                        ;         Child Loop BB153_33 Depth 4
                                        ;         Child Loop BB153_37 Depth 4
                                        ;           Child Loop BB153_39 Depth 5
                                        ;           Child Loop BB153_45 Depth 5
                                        ;         Child Loop BB153_48 Depth 4
                                        ;           Child Loop BB153_50 Depth 5
	s_load_b32 s28, s[24:25], s18 offset:0x0 scale_offset
	s_wait_kmcnt 0x0
	s_add_co_i32 s29, s28, -1
	s_delay_alu instid0(SALU_CYCLE_1) | instskip(NEXT) | instid1(SALU_CYCLE_1)
	s_add_co_i32 s42, s29, s3
	s_cmp_ge_i32 s42, s31
	s_cbranch_scc1 .LBB153_28
; %bb.30:                               ;   in Loop: Header=BB153_29 Depth=2
	v_mad_u32 v3, 0xa0, s3, v22
	s_max_i32 s42, s28, 1
	s_cmp_lg_u32 s18, 2
	s_mul_i32 s46, s28, 0xa0
	s_cselect_b32 s43, -1, 0
	s_and_b32 s44, s42, 0x7ffffffe
	s_mul_i32 s47, s3, 0xa8
	s_cmp_lg_u32 s42, s44
	s_mul_i32 s48, s28, 0xa8
	s_cselect_b32 s45, -1, 0
	s_branch .LBB153_32
.LBB153_31:                             ;   in Loop: Header=BB153_32 Depth=3
	s_add_co_i32 s3, s3, s28
	v_add_nc_u32_e32 v3, s46, v3
	s_add_co_i32 s49, s29, s3
	s_add_co_i32 s47, s47, s48
	s_cmp_ge_i32 s49, s31
	s_cbranch_scc1 .LBB153_28
.LBB153_32:                             ;   Parent Loop BB153_3 Depth=1
                                        ;     Parent Loop BB153_29 Depth=2
                                        ; =>    This Loop Header: Depth=3
                                        ;         Child Loop BB153_33 Depth 4
                                        ;         Child Loop BB153_37 Depth 4
                                        ;           Child Loop BB153_39 Depth 5
                                        ;           Child Loop BB153_45 Depth 5
                                        ;         Child Loop BB153_48 Depth 4
                                        ;           Child Loop BB153_50 Depth 5
	s_wait_xcnt 0x0
	v_mov_b32_e32 v14, v3
	s_mov_b32 s49, 0
	s_mov_b32 s50, s42
.LBB153_33:                             ;   Parent Loop BB153_3 Depth=1
                                        ;     Parent Loop BB153_29 Depth=2
                                        ;       Parent Loop BB153_32 Depth=3
                                        ; =>      This Inner Loop Header: Depth=4
	ds_load_b64 v[16:17], v14
	v_add_nc_u32_e32 v14, 0xa0, v14
	s_add_co_i32 s50, s50, -1
	s_wait_dscnt 0x0
	scratch_store_b64 off, v[16:17], s49
	s_wait_xcnt 0x0
	s_add_co_i32 s49, s49, 8
	s_cmp_eq_u32 s50, 0
	s_cbranch_scc0 .LBB153_33
; %bb.34:                               ;   in Loop: Header=BB153_32 Depth=3
	s_cmp_lt_i32 s3, 1
	s_cbranch_scc1 .LBB153_46
; %bb.35:                               ;   in Loop: Header=BB153_32 Depth=3
	s_mov_b32 s49, s3
	s_mov_b32 s50, 0
	;; [unrolled: 1-line block ×3, first 2 shown]
	s_branch .LBB153_37
.LBB153_36:                             ;   in Loop: Header=BB153_37 Depth=4
	s_add_co_i32 s51, s51, 1
	s_add_co_i32 s50, s50, 8
	s_cmp_eq_u32 s51, s3
	s_cbranch_scc1 .LBB153_46
.LBB153_37:                             ;   Parent Loop BB153_3 Depth=1
                                        ;     Parent Loop BB153_29 Depth=2
                                        ;       Parent Loop BB153_32 Depth=3
                                        ; =>      This Loop Header: Depth=4
                                        ;           Child Loop BB153_39 Depth 5
                                        ;           Child Loop BB153_45 Depth 5
	v_mad_u32 v14, 0xa0, s51, v22
	s_and_b32 vcc_lo, exec_lo, s43
	ds_load_b64 v[14:15], v14
	s_cbranch_vccz .LBB153_41
; %bb.38:                               ;   in Loop: Header=BB153_37 Depth=4
	s_wait_dscnt 0x0
	v_dual_mov_b32 v18, v14 :: v_dual_mov_b32 v19, v14
	v_dual_mov_b32 v16, v15 :: v_dual_mov_b32 v20, v15
	v_mov_b32_e32 v21, v15
	s_lshl_b32 s52, s51, 3
	s_mov_b32 s53, 1
	s_mov_b32 s54, 0
	;; [unrolled: 1-line block ×4, first 2 shown]
.LBB153_39:                             ;   Parent Loop BB153_3 Depth=1
                                        ;     Parent Loop BB153_29 Depth=2
                                        ;       Parent Loop BB153_32 Depth=3
                                        ;         Parent Loop BB153_37 Depth=4
                                        ; =>        This Inner Loop Header: Depth=5
	scratch_load_b128 v[24:27], off, s56 offset:-8
	s_add_co_i32 s57, s53, s49
	s_add_co_i32 s58, s54, s3
	s_mulk_i32 s57, 0xa0
	s_mulk_i32 s58, 0xa0
	s_add_co_i32 s57, s52, s57
	s_add_co_i32 s58, s52, s58
	s_delay_alu instid0(SALU_CYCLE_1)
	v_dual_mov_b32 v17, s57 :: v_dual_mov_b32 v30, s58
	s_add_co_i32 s55, s55, -2
	s_add_co_i32 s54, s54, 2
	ds_load_b64 v[28:29], v17
	ds_load_b64 v[30:31], v30
	s_add_co_i32 s53, s53, 2
	s_wait_dscnt 0x0
	v_dual_mov_b32 v33, v28 :: v_dual_mov_b32 v28, v31
	v_mov_b32_e32 v32, v30
	s_delay_alu instid0(VALU_DEP_2) | instskip(SKIP_1) | instid1(VALU_DEP_2)
	v_pk_mul_f32 v[30:31], v[28:29], v[20:21]
	v_pk_mul_f32 v[28:29], v[28:29], v[18:19]
	v_pk_fma_f32 v[30:31], v[32:33], v[18:19], v[30:31] neg_lo:[0,0,1] neg_hi:[0,0,1]
	s_delay_alu instid0(VALU_DEP_2) | instskip(SKIP_3) | instid1(VALU_DEP_2)
	v_pk_fma_f32 v[28:29], v[32:33], v[20:21], v[28:29]
	s_wait_loadcnt 0x0
	v_dual_mov_b32 v32, v24 :: v_dual_mov_b32 v33, v26
	v_mov_b32_e32 v26, v25
	v_pk_add_f32 v[30:31], v[32:33], v[30:31] neg_lo:[0,1] neg_hi:[0,1]
	s_delay_alu instid0(VALU_DEP_2) | instskip(NEXT) | instid1(VALU_DEP_1)
	v_pk_add_f32 v[26:27], v[26:27], v[28:29] neg_lo:[0,1] neg_hi:[0,1]
	v_dual_mov_b32 v24, v30 :: v_dual_mov_b32 v25, v26
	s_delay_alu instid0(VALU_DEP_3)
	v_mov_b32_e32 v26, v31
	scratch_store_b128 off, v[24:27], s56 offset:-8
	s_wait_xcnt 0x0
	s_add_co_i32 s56, s56, 16
	s_cmp_lg_u32 s55, 0
	s_cbranch_scc1 .LBB153_39
; %bb.40:                               ;   in Loop: Header=BB153_37 Depth=4
	s_mov_b32 s52, s45
	s_mov_b32 s53, s44
	s_branch .LBB153_43
.LBB153_41:                             ;   in Loop: Header=BB153_37 Depth=4
	s_wait_dscnt 0x0
	v_mov_b32_e32 v16, v15
	s_mov_b32 s52, 0
	s_mov_b32 s53, s44
	s_cbranch_execz .LBB153_43
; %bb.42:                               ;   in Loop: Header=BB153_37 Depth=4
	s_mov_b32 s52, -1
	s_mov_b32 s53, 0
.LBB153_43:                             ;   in Loop: Header=BB153_37 Depth=4
	s_and_not1_b32 vcc_lo, exec_lo, s52
	s_cbranch_vccnz .LBB153_36
; %bb.44:                               ;   in Loop: Header=BB153_37 Depth=4
	s_add_co_i32 s54, s3, s53
	v_dual_mov_b32 v17, v15 :: v_dual_mov_b32 v15, v14
	s_mulk_i32 s54, 0xa0
	s_lshl_b32 s55, s53, 3
	s_sub_co_i32 s52, s42, s53
	s_add_co_i32 s53, s50, s54
	s_mov_b32 s54, s55
.LBB153_45:                             ;   Parent Loop BB153_3 Depth=1
                                        ;     Parent Loop BB153_29 Depth=2
                                        ;       Parent Loop BB153_32 Depth=3
                                        ;         Parent Loop BB153_37 Depth=4
                                        ; =>        This Inner Loop Header: Depth=5
	scratch_load_b64 v[18:19], off, s54
	v_mov_b32_e32 v20, s53
	s_add_co_i32 s52, s52, -1
	s_addk_co_i32 s53, 0xa0
	ds_load_b64 v[20:21], v20
	s_wait_dscnt 0x0
	v_pk_mul_f32 v[24:25], v[20:21], v[16:17] op_sel:[1,0] op_sel_hi:[0,1]
	s_delay_alu instid0(VALU_DEP_1) | instskip(SKIP_1) | instid1(VALU_DEP_2)
	v_pk_fma_f32 v[26:27], v[20:21], v[14:15], v[24:25]
	v_pk_fma_f32 v[20:21], v[20:21], v[14:15], v[24:25] neg_lo:[0,0,1] neg_hi:[0,0,1]
	v_mov_b32_e32 v21, v27
	s_wait_loadcnt 0x0
	s_delay_alu instid0(VALU_DEP_1)
	v_pk_add_f32 v[18:19], v[18:19], v[20:21] neg_lo:[0,1] neg_hi:[0,1]
	scratch_store_b64 off, v[18:19], s54
	s_wait_xcnt 0x0
	s_add_co_i32 s54, s54, 8
	s_cmp_eq_u32 s52, 0
	s_cbranch_scc0 .LBB153_45
	s_branch .LBB153_36
.LBB153_46:                             ;   in Loop: Header=BB153_32 Depth=3
	s_mul_i32 s49, s3, 0xa0
	s_mov_b32 s50, 0
	s_mov_b32 s51, s47
	s_branch .LBB153_48
.LBB153_47:                             ;   in Loop: Header=BB153_48 Depth=4
	s_wait_xcnt 0x0
	s_mulk_i32 s53, 0xa8
	s_addk_co_i32 s51, 0xa0
	v_mov_b32_e32 v15, s53
	s_lshl_b32 s53, s50, 3
	s_add_co_i32 s50, s50, 1
	s_delay_alu instid0(SALU_CYCLE_1) | instskip(SKIP_3) | instid1(VALU_DEP_1)
	s_cmp_eq_u32 s50, s42
	ds_load_b64 v[18:19], v15
	s_wait_dscnt 0x0
	v_pk_mul_f32 v[16:17], v[18:19], v[16:17] op_sel:[1,0] op_sel_hi:[0,0]
	v_pk_fma_f32 v[20:21], v[18:19], v[14:15], v[16:17] op_sel_hi:[1,0,1]
	v_add_nc_u32_e32 v20, s52, v22
	v_pk_fma_f32 v[14:15], v[18:19], v[14:15], v[16:17] neg_lo:[0,0,1] neg_hi:[0,0,1]
	s_delay_alu instid0(VALU_DEP_3)
	v_mov_b32_e32 v15, v21
	scratch_store_b64 off, v[14:15], s53
	ds_store_b64 v20, v[14:15]
	s_cbranch_scc1 .LBB153_31
.LBB153_48:                             ;   Parent Loop BB153_3 Depth=1
                                        ;     Parent Loop BB153_29 Depth=2
                                        ;       Parent Loop BB153_32 Depth=3
                                        ; =>      This Loop Header: Depth=4
                                        ;           Child Loop BB153_50 Depth 5
	s_cmp_lg_u32 s50, 0
	s_cbranch_scc0 .LBB153_52
; %bb.49:                               ;   in Loop: Header=BB153_48 Depth=4
	s_lshl_b32 s52, s50, 3
	s_wait_xcnt 0x0
	s_mov_b32 s53, 0
	scratch_load_b64 v[14:15], off, s52
	s_mov_b32 s54, s51
	s_mov_b32 s55, s50
.LBB153_50:                             ;   Parent Loop BB153_3 Depth=1
                                        ;     Parent Loop BB153_29 Depth=2
                                        ;       Parent Loop BB153_32 Depth=3
                                        ;         Parent Loop BB153_48 Depth=4
                                        ; =>        This Inner Loop Header: Depth=5
	scratch_load_b64 v[16:17], off, s53
	v_mov_b32_e32 v18, s54
	s_add_co_i32 s55, s55, -1
	s_wait_xcnt 0x0
	s_add_co_i32 s53, s53, 8
	s_add_co_i32 s54, s54, 8
	s_cmp_eq_u32 s55, 0
	ds_load_b64 v[18:19], v18
	s_wait_loadcnt_dscnt 0x0
	v_pk_mul_f32 v[20:21], v[18:19], v[16:17] op_sel:[1,1] op_sel_hi:[0,1]
	s_delay_alu instid0(VALU_DEP_1) | instskip(SKIP_1) | instid1(VALU_DEP_2)
	v_pk_fma_f32 v[24:25], v[18:19], v[16:17], v[20:21] op_sel_hi:[1,0,1]
	v_pk_fma_f32 v[16:17], v[18:19], v[16:17], v[20:21] neg_lo:[0,0,1] neg_hi:[0,0,1]
	v_mov_b32_e32 v17, v25
	s_delay_alu instid0(VALU_DEP_1)
	v_pk_add_f32 v[14:15], v[14:15], v[16:17] neg_lo:[0,1] neg_hi:[0,1]
	scratch_store_b64 off, v[14:15], s52
	s_cbranch_scc0 .LBB153_50
; %bb.51:                               ;   in Loop: Header=BB153_48 Depth=4
	v_mov_b32_e32 v16, v15
	s_add_co_i32 s53, s50, s3
	s_wait_xcnt 0x0
	s_mul_i32 s52, s53, 0xa0
	s_branch .LBB153_47
.LBB153_52:                             ;   in Loop: Header=BB153_48 Depth=4
                                        ; implicit-def: $vgpr14
                                        ; implicit-def: $vgpr16
                                        ; implicit-def: $sgpr53
                                        ; implicit-def: $sgpr52
	s_cbranch_execz .LBB153_47
; %bb.53:                               ;   in Loop: Header=BB153_48 Depth=4
	scratch_load_b64 v[14:15], off, off
	s_mov_b32 s52, s49
	s_mov_b32 s53, s3
	s_wait_loadcnt 0x0
	v_mov_b32_e32 v16, v15
	s_branch .LBB153_47
.LBB153_54:                             ;   in Loop: Header=BB153_3 Depth=1
	s_mov_b32 s3, 0
.LBB153_55:                             ;   in Loop: Header=BB153_3 Depth=1
	s_delay_alu instid0(SALU_CYCLE_1)
	s_and_b32 vcc_lo, exec_lo, s3
	s_cbranch_vccz .LBB153_83
; %bb.56:                               ;   in Loop: Header=BB153_3 Depth=1
	s_mov_b32 s18, 0
	s_mov_b32 s3, s33
	s_branch .LBB153_58
.LBB153_57:                             ;   in Loop: Header=BB153_58 Depth=2
	s_cmp_gt_i32 s3, -1
	s_cselect_b32 s28, -1, 0
	s_add_co_i32 s29, s18, 1
	s_cmp_lt_u32 s18, 2
	s_cselect_b32 s18, -1, 0
	s_delay_alu instid0(SALU_CYCLE_1) | instskip(NEXT) | instid1(SALU_CYCLE_1)
	s_and_b32 s18, s28, s18
	s_and_not1_b32 vcc_lo, exec_lo, s18
	s_mov_b32 s18, s29
	s_cbranch_vccnz .LBB153_83
.LBB153_58:                             ;   Parent Loop BB153_3 Depth=1
                                        ; =>  This Loop Header: Depth=2
                                        ;       Child Loop BB153_61 Depth 3
                                        ;         Child Loop BB153_62 Depth 4
                                        ;         Child Loop BB153_66 Depth 4
                                        ;           Child Loop BB153_68 Depth 5
                                        ;           Child Loop BB153_74 Depth 5
                                        ;         Child Loop BB153_77 Depth 4
                                        ;           Child Loop BB153_79 Depth 5
	s_load_b32 s28, s[24:25], s18 offset:0x0 scale_offset
	s_wait_kmcnt 0x0
	s_add_co_i32 s29, s28, -1
	s_delay_alu instid0(SALU_CYCLE_1)
	s_cmp_lt_i32 s3, s29
	s_cbranch_scc1 .LBB153_57
; %bb.59:                               ;   in Loop: Header=BB153_58 Depth=2
	s_max_i32 s42, s28, 1
	v_mad_u32 v3, 0xa0, s3, v22
	s_cmp_lg_u32 s18, 2
	s_mul_i32 s45, s28, 0xffffff60
	s_cselect_b32 s43, -1, 0
	s_and_b32 s44, s42, 0x7ffffffe
	s_mul_i32 s49, s3, 0xa8
	s_cmp_lg_u32 s42, s44
	s_mul_i32 s50, s28, 0xffffff58
	s_cselect_b32 s46, -1, 0
	s_lshl_b32 s47, s3, 3
	s_lshl_b32 s48, s28, 3
	s_add_co_i32 s47, s41, s47
	s_sub_co_i32 s48, 0, s48
	s_branch .LBB153_61
.LBB153_60:                             ;   in Loop: Header=BB153_61 Depth=3
	v_add_nc_u32_e32 v3, s45, v3
	s_sub_co_i32 s3, s3, s28
	s_add_co_i32 s47, s47, s48
	s_add_co_i32 s49, s49, s50
	s_cmp_lt_i32 s3, s29
	s_cbranch_scc1 .LBB153_57
.LBB153_61:                             ;   Parent Loop BB153_3 Depth=1
                                        ;     Parent Loop BB153_58 Depth=2
                                        ; =>    This Loop Header: Depth=3
                                        ;         Child Loop BB153_62 Depth 4
                                        ;         Child Loop BB153_66 Depth 4
                                        ;           Child Loop BB153_68 Depth 5
                                        ;           Child Loop BB153_74 Depth 5
                                        ;         Child Loop BB153_77 Depth 4
                                        ;           Child Loop BB153_79 Depth 5
	s_wait_xcnt 0x0
	v_mov_b32_e32 v14, v3
	s_mov_b32 s51, 0
	s_mov_b32 s52, s42
.LBB153_62:                             ;   Parent Loop BB153_3 Depth=1
                                        ;     Parent Loop BB153_58 Depth=2
                                        ;       Parent Loop BB153_61 Depth=3
                                        ; =>      This Inner Loop Header: Depth=4
	ds_load_b64 v[16:17], v14
	v_add_nc_u32_e32 v14, 0xffffff60, v14
	s_add_co_i32 s52, s52, -1
	s_wait_dscnt 0x0
	scratch_store_b64 off, v[16:17], s51
	s_wait_xcnt 0x0
	s_add_co_i32 s51, s51, 8
	s_cmp_eq_u32 s52, 0
	s_cbranch_scc0 .LBB153_62
; %bb.63:                               ;   in Loop: Header=BB153_61 Depth=3
	s_cmp_le_i32 s33, s3
	s_cbranch_scc1 .LBB153_75
; %bb.64:                               ;   in Loop: Header=BB153_61 Depth=3
	s_mov_b32 s51, s3
	s_mov_b32 s52, s47
	;; [unrolled: 1-line block ×3, first 2 shown]
	s_branch .LBB153_66
.LBB153_65:                             ;   in Loop: Header=BB153_66 Depth=4
	s_add_co_i32 s53, s53, -1
	s_addk_co_i32 s52, 0xff60
	s_cmp_le_i32 s53, s3
	s_cbranch_scc1 .LBB153_75
.LBB153_66:                             ;   Parent Loop BB153_3 Depth=1
                                        ;     Parent Loop BB153_58 Depth=2
                                        ;       Parent Loop BB153_61 Depth=3
                                        ; =>      This Loop Header: Depth=4
                                        ;           Child Loop BB153_68 Depth 5
                                        ;           Child Loop BB153_74 Depth 5
	s_mul_i32 s54, s53, 20
	s_and_b32 vcc_lo, exec_lo, s43
	v_lshl_add_u32 v14, s54, 3, v22
	ds_load_b64 v[14:15], v14
	s_cbranch_vccz .LBB153_70
; %bb.67:                               ;   in Loop: Header=BB153_66 Depth=4
	s_wait_dscnt 0x0
	v_dual_mov_b32 v18, v14 :: v_dual_mov_b32 v19, v14
	v_dual_mov_b32 v16, v15 :: v_dual_mov_b32 v20, v15
	v_mov_b32_e32 v21, v15
	s_lshl_b32 s54, s54, 3
	s_mov_b32 s55, 1
	s_mov_b32 s56, 0
	;; [unrolled: 1-line block ×4, first 2 shown]
.LBB153_68:                             ;   Parent Loop BB153_3 Depth=1
                                        ;     Parent Loop BB153_58 Depth=2
                                        ;       Parent Loop BB153_61 Depth=3
                                        ;         Parent Loop BB153_66 Depth=4
                                        ; =>        This Inner Loop Header: Depth=5
	scratch_load_b128 v[24:27], off, s58 offset:-8
	s_sub_co_i32 s59, s51, s55
	s_sub_co_i32 s60, s3, s56
	s_lshl_b32 s59, s59, 3
	s_lshl_b32 s60, s60, 3
	s_add_co_i32 s59, s54, s59
	s_add_co_i32 s60, s54, s60
	s_delay_alu instid0(SALU_CYCLE_1)
	v_dual_mov_b32 v17, s59 :: v_dual_mov_b32 v30, s60
	s_add_co_i32 s57, s57, -2
	s_add_co_i32 s56, s56, 2
	ds_load_b64 v[28:29], v17
	ds_load_b64 v[30:31], v30
	s_add_co_i32 s55, s55, 2
	s_wait_dscnt 0x0
	v_dual_mov_b32 v33, v28 :: v_dual_mov_b32 v28, v31
	v_mov_b32_e32 v32, v30
	s_delay_alu instid0(VALU_DEP_2) | instskip(SKIP_1) | instid1(VALU_DEP_2)
	v_pk_mul_f32 v[30:31], v[28:29], v[20:21]
	v_pk_mul_f32 v[28:29], v[28:29], v[18:19]
	v_pk_fma_f32 v[30:31], v[32:33], v[18:19], v[30:31] neg_lo:[0,0,1] neg_hi:[0,0,1]
	s_delay_alu instid0(VALU_DEP_2) | instskip(SKIP_3) | instid1(VALU_DEP_2)
	v_pk_fma_f32 v[28:29], v[32:33], v[20:21], v[28:29]
	s_wait_loadcnt 0x0
	v_dual_mov_b32 v32, v24 :: v_dual_mov_b32 v33, v26
	v_mov_b32_e32 v26, v25
	v_pk_add_f32 v[30:31], v[32:33], v[30:31] neg_lo:[0,1] neg_hi:[0,1]
	s_delay_alu instid0(VALU_DEP_2) | instskip(NEXT) | instid1(VALU_DEP_1)
	v_pk_add_f32 v[26:27], v[26:27], v[28:29] neg_lo:[0,1] neg_hi:[0,1]
	v_dual_mov_b32 v24, v30 :: v_dual_mov_b32 v25, v26
	s_delay_alu instid0(VALU_DEP_3)
	v_mov_b32_e32 v26, v31
	scratch_store_b128 off, v[24:27], s58 offset:-8
	s_wait_xcnt 0x0
	s_add_co_i32 s58, s58, 16
	s_cmp_lg_u32 s57, 0
	s_cbranch_scc1 .LBB153_68
; %bb.69:                               ;   in Loop: Header=BB153_66 Depth=4
	s_mov_b32 s54, s46
	s_mov_b32 s55, s44
	s_branch .LBB153_72
.LBB153_70:                             ;   in Loop: Header=BB153_66 Depth=4
	s_wait_dscnt 0x0
	v_mov_b32_e32 v16, v15
	s_mov_b32 s54, 0
	s_mov_b32 s55, s44
	s_cbranch_execz .LBB153_72
; %bb.71:                               ;   in Loop: Header=BB153_66 Depth=4
	s_mov_b32 s54, -1
	s_mov_b32 s55, 0
.LBB153_72:                             ;   in Loop: Header=BB153_66 Depth=4
	s_and_not1_b32 vcc_lo, exec_lo, s54
	s_cbranch_vccnz .LBB153_65
; %bb.73:                               ;   in Loop: Header=BB153_66 Depth=4
	v_dual_mov_b32 v17, v15 :: v_dual_mov_b32 v15, v14
	s_lshl_b32 s56, s55, 3
	s_sub_co_i32 s54, s42, s55
	s_sub_co_i32 s55, s52, s56
.LBB153_74:                             ;   Parent Loop BB153_3 Depth=1
                                        ;     Parent Loop BB153_58 Depth=2
                                        ;       Parent Loop BB153_61 Depth=3
                                        ;         Parent Loop BB153_66 Depth=4
                                        ; =>        This Inner Loop Header: Depth=5
	scratch_load_b64 v[18:19], off, s56
	v_mov_b32_e32 v20, s55
	s_add_co_i32 s54, s54, -1
	s_add_co_i32 s55, s55, -8
	ds_load_b64 v[20:21], v20
	s_wait_dscnt 0x0
	v_pk_mul_f32 v[24:25], v[20:21], v[16:17] op_sel:[1,0] op_sel_hi:[0,1]
	s_delay_alu instid0(VALU_DEP_1) | instskip(SKIP_1) | instid1(VALU_DEP_2)
	v_pk_fma_f32 v[26:27], v[20:21], v[14:15], v[24:25]
	v_pk_fma_f32 v[20:21], v[20:21], v[14:15], v[24:25] neg_lo:[0,0,1] neg_hi:[0,0,1]
	v_mov_b32_e32 v21, v27
	s_wait_loadcnt 0x0
	s_delay_alu instid0(VALU_DEP_1)
	v_pk_add_f32 v[18:19], v[18:19], v[20:21] neg_lo:[0,1] neg_hi:[0,1]
	scratch_store_b64 off, v[18:19], s56
	s_wait_xcnt 0x0
	s_add_co_i32 s56, s56, 8
	s_cmp_eq_u32 s54, 0
	s_cbranch_scc0 .LBB153_74
	s_branch .LBB153_65
.LBB153_75:                             ;   in Loop: Header=BB153_61 Depth=3
	s_mov_b32 s51, 0
	s_mov_b32 s52, s49
	s_branch .LBB153_77
.LBB153_76:                             ;   in Loop: Header=BB153_77 Depth=4
	s_mul_i32 s54, s53, 0xa8
	v_mad_u32 v24, 0xa0, s53, v22
	s_wait_xcnt 0x0
	v_mov_b32_e32 v15, s54
	s_lshl_b32 s53, s51, 3
	s_add_co_i32 s51, s51, 1
	s_add_co_i32 s52, s52, -8
	s_cmp_eq_u32 s51, s42
	ds_load_b64 v[18:19], v15
	s_wait_dscnt 0x0
	v_pk_mul_f32 v[16:17], v[18:19], v[16:17] op_sel:[1,0] op_sel_hi:[0,0]
	s_delay_alu instid0(VALU_DEP_1) | instskip(SKIP_1) | instid1(VALU_DEP_2)
	v_pk_fma_f32 v[20:21], v[18:19], v[14:15], v[16:17] op_sel_hi:[1,0,1]
	v_pk_fma_f32 v[14:15], v[18:19], v[14:15], v[16:17] neg_lo:[0,0,1] neg_hi:[0,0,1]
	v_mov_b32_e32 v15, v21
	scratch_store_b64 off, v[14:15], s53
	ds_store_b64 v24, v[14:15]
	s_cbranch_scc1 .LBB153_60
.LBB153_77:                             ;   Parent Loop BB153_3 Depth=1
                                        ;     Parent Loop BB153_58 Depth=2
                                        ;       Parent Loop BB153_61 Depth=3
                                        ; =>      This Loop Header: Depth=4
                                        ;           Child Loop BB153_79 Depth 5
	s_cmp_lg_u32 s51, 0
	s_cbranch_scc0 .LBB153_81
; %bb.78:                               ;   in Loop: Header=BB153_77 Depth=4
	s_wait_xcnt 0x0
	s_lshl_b32 s53, s51, 3
	s_mov_b32 s54, 0
	scratch_load_b64 v[14:15], off, s53
	s_mov_b32 s55, s52
	s_mov_b32 s56, s51
.LBB153_79:                             ;   Parent Loop BB153_3 Depth=1
                                        ;     Parent Loop BB153_58 Depth=2
                                        ;       Parent Loop BB153_61 Depth=3
                                        ;         Parent Loop BB153_77 Depth=4
                                        ; =>        This Inner Loop Header: Depth=5
	scratch_load_b64 v[16:17], off, s54
	v_mov_b32_e32 v18, s55
	s_add_co_i32 s56, s56, -1
	s_addk_co_i32 s55, 0xff60
	s_wait_xcnt 0x0
	s_add_co_i32 s54, s54, 8
	s_cmp_eq_u32 s56, 0
	ds_load_b64 v[18:19], v18
	s_wait_loadcnt_dscnt 0x0
	v_pk_mul_f32 v[20:21], v[18:19], v[16:17] op_sel:[1,1] op_sel_hi:[0,1]
	s_delay_alu instid0(VALU_DEP_1) | instskip(SKIP_1) | instid1(VALU_DEP_2)
	v_pk_fma_f32 v[24:25], v[18:19], v[16:17], v[20:21] op_sel_hi:[1,0,1]
	v_pk_fma_f32 v[16:17], v[18:19], v[16:17], v[20:21] neg_lo:[0,0,1] neg_hi:[0,0,1]
	v_mov_b32_e32 v17, v25
	s_delay_alu instid0(VALU_DEP_1)
	v_pk_add_f32 v[14:15], v[14:15], v[16:17] neg_lo:[0,1] neg_hi:[0,1]
	scratch_store_b64 off, v[14:15], s53
	s_cbranch_scc0 .LBB153_79
; %bb.80:                               ;   in Loop: Header=BB153_77 Depth=4
	v_mov_b32_e32 v16, v15
	s_wait_xcnt 0x0
	s_sub_co_i32 s53, s3, s51
	s_branch .LBB153_76
.LBB153_81:                             ;   in Loop: Header=BB153_77 Depth=4
                                        ; implicit-def: $vgpr14
                                        ; implicit-def: $vgpr16
                                        ; implicit-def: $sgpr53
	s_cbranch_execz .LBB153_76
; %bb.82:                               ;   in Loop: Header=BB153_77 Depth=4
	scratch_load_b64 v[14:15], off, off
	s_mov_b32 s53, s3
	s_wait_loadcnt 0x0
	v_mov_b32_e32 v16, v15
	s_branch .LBB153_76
.LBB153_83:                             ;   in Loop: Header=BB153_3 Depth=1
	; wave barrier
	s_wait_storecnt_dscnt 0x0
	s_wait_xcnt 0x0
	s_and_saveexec_b32 s3, s36
	s_cbranch_execz .LBB153_2
; %bb.84:                               ;   in Loop: Header=BB153_3 Depth=1
	v_add_nc_u64_e32 v[14:15], s[26:27], v[6:7]
	v_mov_b32_e32 v3, v22
	s_mov_b32 s18, s31
.LBB153_85:                             ;   Parent Loop BB153_3 Depth=1
                                        ; =>  This Inner Loop Header: Depth=2
	ds_load_b64 v[16:17], v3
	v_add_nc_u32_e32 v3, 0xa0, v3
	s_add_co_i32 s18, s18, -1
	s_delay_alu instid0(SALU_CYCLE_1)
	s_cmp_lg_u32 s18, 0
	s_wait_dscnt 0x0
	global_store_b64 v[14:15], v[16:17], off
	s_wait_xcnt 0x0
	v_add_nc_u64_e32 v[14:15], 8, v[14:15]
	s_cbranch_scc1 .LBB153_85
	s_branch .LBB153_2
.LBB153_86:
	s_endpgm
	.section	.rodata,"a",@progbits
	.p2align	6, 0x0
	.amdhsa_kernel _ZL38rocblas_trsm_small_left_device_sharedBILi20ELi20ELb0E19rocblas_complex_numIfES1_PKS1_PS1_Ev13rocblas_fill_18rocblas_operation_17rocblas_diagonal_iiT3_T4_lilT5_lili
		.amdhsa_group_segment_fixed_size 6400
		.amdhsa_private_segment_fixed_size 176
		.amdhsa_kernarg_size 360
		.amdhsa_user_sgpr_count 2
		.amdhsa_user_sgpr_dispatch_ptr 0
		.amdhsa_user_sgpr_queue_ptr 0
		.amdhsa_user_sgpr_kernarg_segment_ptr 1
		.amdhsa_user_sgpr_dispatch_id 0
		.amdhsa_user_sgpr_kernarg_preload_length 0
		.amdhsa_user_sgpr_kernarg_preload_offset 0
		.amdhsa_user_sgpr_private_segment_size 0
		.amdhsa_wavefront_size32 1
		.amdhsa_uses_dynamic_stack 0
		.amdhsa_enable_private_segment 1
		.amdhsa_system_sgpr_workgroup_id_x 1
		.amdhsa_system_sgpr_workgroup_id_y 0
		.amdhsa_system_sgpr_workgroup_id_z 1
		.amdhsa_system_sgpr_workgroup_info 0
		.amdhsa_system_vgpr_workitem_id 0
		.amdhsa_next_free_vgpr 34
		.amdhsa_next_free_sgpr 61
		.amdhsa_named_barrier_count 0
		.amdhsa_reserve_vcc 1
		.amdhsa_float_round_mode_32 0
		.amdhsa_float_round_mode_16_64 0
		.amdhsa_float_denorm_mode_32 3
		.amdhsa_float_denorm_mode_16_64 3
		.amdhsa_fp16_overflow 0
		.amdhsa_memory_ordered 1
		.amdhsa_forward_progress 1
		.amdhsa_inst_pref_size 32
		.amdhsa_round_robin_scheduling 0
		.amdhsa_exception_fp_ieee_invalid_op 0
		.amdhsa_exception_fp_denorm_src 0
		.amdhsa_exception_fp_ieee_div_zero 0
		.amdhsa_exception_fp_ieee_overflow 0
		.amdhsa_exception_fp_ieee_underflow 0
		.amdhsa_exception_fp_ieee_inexact 0
		.amdhsa_exception_int_div_zero 0
	.end_amdhsa_kernel
	.section	.text._ZL38rocblas_trsm_small_left_device_sharedBILi20ELi20ELb0E19rocblas_complex_numIfES1_PKS1_PS1_Ev13rocblas_fill_18rocblas_operation_17rocblas_diagonal_iiT3_T4_lilT5_lili,"axG",@progbits,_ZL38rocblas_trsm_small_left_device_sharedBILi20ELi20ELb0E19rocblas_complex_numIfES1_PKS1_PS1_Ev13rocblas_fill_18rocblas_operation_17rocblas_diagonal_iiT3_T4_lilT5_lili,comdat
.Lfunc_end153:
	.size	_ZL38rocblas_trsm_small_left_device_sharedBILi20ELi20ELb0E19rocblas_complex_numIfES1_PKS1_PS1_Ev13rocblas_fill_18rocblas_operation_17rocblas_diagonal_iiT3_T4_lilT5_lili, .Lfunc_end153-_ZL38rocblas_trsm_small_left_device_sharedBILi20ELi20ELb0E19rocblas_complex_numIfES1_PKS1_PS1_Ev13rocblas_fill_18rocblas_operation_17rocblas_diagonal_iiT3_T4_lilT5_lili
                                        ; -- End function
	.set _ZL38rocblas_trsm_small_left_device_sharedBILi20ELi20ELb0E19rocblas_complex_numIfES1_PKS1_PS1_Ev13rocblas_fill_18rocblas_operation_17rocblas_diagonal_iiT3_T4_lilT5_lili.num_vgpr, 34
	.set _ZL38rocblas_trsm_small_left_device_sharedBILi20ELi20ELb0E19rocblas_complex_numIfES1_PKS1_PS1_Ev13rocblas_fill_18rocblas_operation_17rocblas_diagonal_iiT3_T4_lilT5_lili.num_agpr, 0
	.set _ZL38rocblas_trsm_small_left_device_sharedBILi20ELi20ELb0E19rocblas_complex_numIfES1_PKS1_PS1_Ev13rocblas_fill_18rocblas_operation_17rocblas_diagonal_iiT3_T4_lilT5_lili.numbered_sgpr, 61
	.set _ZL38rocblas_trsm_small_left_device_sharedBILi20ELi20ELb0E19rocblas_complex_numIfES1_PKS1_PS1_Ev13rocblas_fill_18rocblas_operation_17rocblas_diagonal_iiT3_T4_lilT5_lili.num_named_barrier, 0
	.set _ZL38rocblas_trsm_small_left_device_sharedBILi20ELi20ELb0E19rocblas_complex_numIfES1_PKS1_PS1_Ev13rocblas_fill_18rocblas_operation_17rocblas_diagonal_iiT3_T4_lilT5_lili.private_seg_size, 176
	.set _ZL38rocblas_trsm_small_left_device_sharedBILi20ELi20ELb0E19rocblas_complex_numIfES1_PKS1_PS1_Ev13rocblas_fill_18rocblas_operation_17rocblas_diagonal_iiT3_T4_lilT5_lili.uses_vcc, 1
	.set _ZL38rocblas_trsm_small_left_device_sharedBILi20ELi20ELb0E19rocblas_complex_numIfES1_PKS1_PS1_Ev13rocblas_fill_18rocblas_operation_17rocblas_diagonal_iiT3_T4_lilT5_lili.uses_flat_scratch, 0
	.set _ZL38rocblas_trsm_small_left_device_sharedBILi20ELi20ELb0E19rocblas_complex_numIfES1_PKS1_PS1_Ev13rocblas_fill_18rocblas_operation_17rocblas_diagonal_iiT3_T4_lilT5_lili.has_dyn_sized_stack, 0
	.set _ZL38rocblas_trsm_small_left_device_sharedBILi20ELi20ELb0E19rocblas_complex_numIfES1_PKS1_PS1_Ev13rocblas_fill_18rocblas_operation_17rocblas_diagonal_iiT3_T4_lilT5_lili.has_recursion, 0
	.set _ZL38rocblas_trsm_small_left_device_sharedBILi20ELi20ELb0E19rocblas_complex_numIfES1_PKS1_PS1_Ev13rocblas_fill_18rocblas_operation_17rocblas_diagonal_iiT3_T4_lilT5_lili.has_indirect_call, 0
	.section	.AMDGPU.csdata,"",@progbits
; Kernel info:
; codeLenInByte = 3972
; TotalNumSgprs: 63
; NumVgprs: 34
; ScratchSize: 176
; MemoryBound: 0
; FloatMode: 240
; IeeeMode: 1
; LDSByteSize: 6400 bytes/workgroup (compile time only)
; SGPRBlocks: 0
; VGPRBlocks: 2
; NumSGPRsForWavesPerEU: 63
; NumVGPRsForWavesPerEU: 34
; NamedBarCnt: 0
; Occupancy: 13
; WaveLimiterHint : 0
; COMPUTE_PGM_RSRC2:SCRATCH_EN: 1
; COMPUTE_PGM_RSRC2:USER_SGPR: 2
; COMPUTE_PGM_RSRC2:TRAP_HANDLER: 0
; COMPUTE_PGM_RSRC2:TGID_X_EN: 1
; COMPUTE_PGM_RSRC2:TGID_Y_EN: 0
; COMPUTE_PGM_RSRC2:TGID_Z_EN: 1
; COMPUTE_PGM_RSRC2:TIDIG_COMP_CNT: 0
	.section	.text._ZL30rocblas_trsm_small_left_deviceILi20ELi20ELb0E19rocblas_complex_numIfES1_PKS1_PS1_Ev13rocblas_fill_18rocblas_operation_17rocblas_diagonal_iiT3_T4_lilT5_lili,"axG",@progbits,_ZL30rocblas_trsm_small_left_deviceILi20ELi20ELb0E19rocblas_complex_numIfES1_PKS1_PS1_Ev13rocblas_fill_18rocblas_operation_17rocblas_diagonal_iiT3_T4_lilT5_lili,comdat
	.globl	_ZL30rocblas_trsm_small_left_deviceILi20ELi20ELb0E19rocblas_complex_numIfES1_PKS1_PS1_Ev13rocblas_fill_18rocblas_operation_17rocblas_diagonal_iiT3_T4_lilT5_lili ; -- Begin function _ZL30rocblas_trsm_small_left_deviceILi20ELi20ELb0E19rocblas_complex_numIfES1_PKS1_PS1_Ev13rocblas_fill_18rocblas_operation_17rocblas_diagonal_iiT3_T4_lilT5_lili
	.p2align	8
	.type	_ZL30rocblas_trsm_small_left_deviceILi20ELi20ELb0E19rocblas_complex_numIfES1_PKS1_PS1_Ev13rocblas_fill_18rocblas_operation_17rocblas_diagonal_iiT3_T4_lilT5_lili,@function
_ZL30rocblas_trsm_small_left_deviceILi20ELi20ELb0E19rocblas_complex_numIfES1_PKS1_PS1_Ev13rocblas_fill_18rocblas_operation_17rocblas_diagonal_iiT3_T4_lilT5_lili: ; @_ZL30rocblas_trsm_small_left_deviceILi20ELi20ELb0E19rocblas_complex_numIfES1_PKS1_PS1_Ev13rocblas_fill_18rocblas_operation_17rocblas_diagonal_iiT3_T4_lilT5_lili
; %bb.0:
	s_load_b32 s33, s[0:1], 0x60
	s_bfe_u32 s2, ttmp6, 0x40014
	s_lshr_b32 s4, ttmp7, 16
	s_add_co_i32 s2, s2, 1
	s_bfe_u32 s5, ttmp6, 0x40008
	s_mul_i32 s2, s4, s2
	s_getreg_b32 s3, hwreg(HW_REG_IB_STS2, 6, 4)
	s_add_co_i32 s5, s5, s2
	s_cmp_eq_u32 s3, 0
	s_mov_b32 s17, 0
	s_cselect_b32 s2, s4, s5
	s_wait_kmcnt 0x0
	s_cmp_ge_u32 s2, s33
	s_cbranch_scc1 .LBB154_88
; %bb.1:
	s_clause 0x4
	s_load_b32 s26, s[0:1], 0x30
	s_load_b96 s[8:10], s[0:1], 0x48
	s_load_b128 s[4:7], s[0:1], 0x4
	s_load_b32 s12, s[0:1], 0x68
	s_load_b64 s[18:19], s[0:1], 0x14
	v_mul_u32_u24_e32 v12, 0xa0, v0
	v_mov_b64_e32 v[4:5], 0xbf80000000000000
	v_mov_b64_e32 v[10:11], 0x3f800000
	s_mov_b32 s41, 0
                                        ; implicit-def: $sgpr42
                                        ; implicit-def: $sgpr43
	s_wait_kmcnt 0x0
	s_ashr_i32 s27, s26, 31
	s_ashr_i32 s11, s10, 31
	s_cmp_lg_u32 s4, 0x71
	s_cselect_b32 s34, -1, 0
	s_min_i32 s35, s6, 20
	s_bfe_u32 s6, ttmp6, 0x4000c
	s_lshl_b64 s[28:29], s[8:9], 3
	s_add_co_i32 s6, s6, 1
	s_and_b32 s8, ttmp6, 15
	s_mul_i32 s6, ttmp9, s6
	s_add_co_i32 s16, s12, -1
	s_add_co_i32 s36, s35, -1
	s_add_co_i32 s8, s8, s6
	s_cmp_eq_u32 s3, 0
	s_mul_i32 s40, s35, 0xa0
	s_cselect_b32 s3, ttmp9, s8
	s_mov_b32 s22, s18
	v_mad_u32 v2, s3, 20, v0
	s_mov_b32 s23, s18
	s_mov_b32 s6, s19
	;; [unrolled: 1-line block ×4, first 2 shown]
	s_delay_alu instid0(VALU_DEP_1) | instskip(NEXT) | instid1(VALU_DEP_1)
	v_ashrrev_i32_e32 v3, 31, v2
	v_mul_u64_e32 v[6:7], s[10:11], v[2:3]
	s_clause 0x2
	s_load_b128 s[12:15], s[0:1], 0x20
	s_load_b128 s[8:11], s[0:1], 0x38
	s_load_b64 s[20:21], s[0:1], 0x58
	s_wait_xcnt 0x0
	s_mul_i32 s0, s3, 0xffffffec
	v_lshlrev_b32_e32 v2, 3, v0
	s_add_co_i32 s0, s7, s0
	s_cmp_ge_u32 s3, s16
	v_mov_b32_e32 v3, 0
	s_cselect_b32 s3, s0, 20
	s_cmp_lg_u32 s5, 0x84
	s_mov_b32 s7, s19
	s_cselect_b32 s37, -1, 0
	s_cmp_lg_u32 s4, 0x6f
	s_cselect_b32 s38, -1, 0
	s_or_b32 s39, 0, 8
	s_addk_co_i32 s40, 0xff60
	s_wait_kmcnt 0x0
	s_lshl_b64 s[0:1], s[14:15], 3
	s_add_nc_u64 s[4:5], s[10:11], s[28:29]
	s_add_nc_u64 s[10:11], s[12:13], s[0:1]
	v_cmp_gt_i32_e64 s0, s35, v0
	v_add_nc_u64_e32 v[8:9], s[10:11], v[2:3]
	v_cmp_gt_i32_e64 s1, s3, v0
	v_add_nc_u32_e32 v3, v2, v12
	s_lshl_b64 s[12:13], s[20:21], 3
	s_get_pc_i64 s[10:11]
	s_add_nc_u64 s[10:11], s[10:11], __const._ZL30rocblas_trsm_small_left_deviceILi20ELi20ELb0E19rocblas_complex_numIfES1_PKS1_PS1_Ev13rocblas_fill_18rocblas_operation_17rocblas_diagonal_iiT3_T4_lilT5_lili.step_sizes@rel64+4
	v_lshl_add_u64 v[0:1], v[6:7], 3, s[4:5]
	v_add_nc_u64_e32 v[6:7], 4, v[8:9]
	s_lshl_b64 s[4:5], s[8:9], 3
	s_lshl_b64 s[8:9], s[26:27], 3
	s_delay_alu instid0(VALU_DEP_2)
	v_add_nc_u64_e32 v[8:9], 4, v[0:1]
	s_branch .LBB154_4
.LBB154_2:                              ;   in Loop: Header=BB154_4 Depth=1
	s_add_co_i32 s2, s2, 0x10000
	s_delay_alu instid0(SALU_CYCLE_1)
	s_cmp_ge_u32 s2, s33
	s_cselect_b32 s3, -1, 0
	s_and_not1_b32 s43, s43, exec_lo
	s_or_not1_b32 s14, s3, exec_lo
.LBB154_3:                              ;   in Loop: Header=BB154_4 Depth=1
	s_wait_xcnt 0x0
	s_or_b32 exec_lo, exec_lo, s44
	s_delay_alu instid0(SALU_CYCLE_1) | instskip(NEXT) | instid1(SALU_CYCLE_1)
	s_and_b32 s3, exec_lo, s14
	s_or_b32 s41, s3, s41
	s_and_not1_b32 s3, s42, exec_lo
	s_and_b32 s14, s43, exec_lo
	s_delay_alu instid0(SALU_CYCLE_1)
	s_or_b32 s42, s3, s14
	s_and_not1_b32 exec_lo, exec_lo, s41
	s_cbranch_execz .LBB154_87
.LBB154_4:                              ; =>This Loop Header: Depth=1
                                        ;     Child Loop BB154_7 Depth 2
                                        ;     Child Loop BB154_23 Depth 2
                                        ;       Child Loop BB154_26 Depth 3
                                        ;         Child Loop BB154_28 Depth 4
                                        ;         Child Loop BB154_32 Depth 4
	;; [unrolled: 1-line block ×3, first 2 shown]
                                        ;           Child Loop BB154_38 Depth 5
                                        ;           Child Loop BB154_44 Depth 5
                                        ;         Child Loop BB154_47 Depth 4
                                        ;           Child Loop BB154_49 Depth 5
                                        ;     Child Loop BB154_57 Depth 2
                                        ;       Child Loop BB154_60 Depth 3
                                        ;         Child Loop BB154_62 Depth 4
                                        ;         Child Loop BB154_66 Depth 4
	;; [unrolled: 1-line block ×3, first 2 shown]
                                        ;           Child Loop BB154_72 Depth 5
                                        ;           Child Loop BB154_78 Depth 5
                                        ;         Child Loop BB154_81 Depth 4
                                        ;           Child Loop BB154_83 Depth 5
	s_mov_b32 s3, s17
	s_and_saveexec_b32 s14, s0
	s_cbranch_execz .LBB154_19
; %bb.5:                                ;   in Loop: Header=BB154_4 Depth=1
	v_mad_nc_u64_u32 v[12:13], s4, s2, v[6:7]
	v_mov_b32_e32 v16, v2
	s_mov_b32 s15, s35
	s_delay_alu instid0(VALU_DEP_2)
	v_mad_u32 v13, s5, s2, v13
	s_branch .LBB154_7
.LBB154_6:                              ;   in Loop: Header=BB154_7 Depth=2
	global_load_b32 v14, v[12:13], off offset:-4
	s_wait_xcnt 0x0
	v_add_nc_u64_e32 v[12:13], s[8:9], v[12:13]
	s_add_co_i32 s15, s15, -1
	s_delay_alu instid0(SALU_CYCLE_1)
	s_cmp_eq_u32 s15, 0
	s_wait_loadcnt 0x0
	ds_store_b64 v16, v[14:15]
	v_add_nc_u32_e32 v16, 0xa0, v16
	s_cbranch_scc1 .LBB154_11
.LBB154_7:                              ;   Parent Loop BB154_4 Depth=1
                                        ; =>  This Inner Loop Header: Depth=2
	s_and_b32 vcc_lo, exec_lo, s34
	s_mov_b32 s16, -1
                                        ; implicit-def: $vgpr15
	s_cbranch_vccz .LBB154_9
; %bb.8:                                ;   in Loop: Header=BB154_7 Depth=2
	global_load_b32 v15, v[12:13], off
	s_mov_b32 s16, 0
.LBB154_9:                              ;   in Loop: Header=BB154_7 Depth=2
	s_delay_alu instid0(SALU_CYCLE_1)
	s_and_not1_b32 vcc_lo, exec_lo, s16
	s_cbranch_vccnz .LBB154_6
; %bb.10:                               ;   in Loop: Header=BB154_7 Depth=2
	global_load_b32 v14, v[12:13], off
	s_wait_loadcnt 0x0
	v_xor_b32_e32 v15, 0x80000000, v14
	s_branch .LBB154_6
.LBB154_11:                             ;   in Loop: Header=BB154_4 Depth=1
	s_and_b32 vcc_lo, exec_lo, s37
	s_mov_b32 s15, -1
	s_cbranch_vccz .LBB154_17
; %bb.12:                               ;   in Loop: Header=BB154_4 Depth=1
	ds_load_b64 v[12:13], v3
                                        ; implicit-def: $vgpr14_vgpr15
	s_wait_dscnt 0x0
	v_cmp_ngt_f32_e64 s15, |v12|, |v13|
	s_and_saveexec_b32 s16, s15
	s_delay_alu instid0(SALU_CYCLE_1)
	s_xor_b32 s15, exec_lo, s16
	s_cbranch_execz .LBB154_14
; %bb.13:                               ;   in Loop: Header=BB154_4 Depth=1
	v_div_scale_f32 v14, null, v13, v13, v12
	v_div_scale_f32 v17, vcc_lo, v12, v13, v12
	s_delay_alu instid0(VALU_DEP_2) | instskip(SKIP_1) | instid1(TRANS32_DEP_1)
	v_rcp_f32_e32 v15, v14
	v_nop
	v_fma_f32 v16, -v14, v15, 1.0
	s_delay_alu instid0(VALU_DEP_1) | instskip(NEXT) | instid1(VALU_DEP_1)
	v_fmac_f32_e32 v15, v16, v15
	v_mul_f32_e32 v16, v17, v15
	s_delay_alu instid0(VALU_DEP_1) | instskip(NEXT) | instid1(VALU_DEP_1)
	v_fma_f32 v18, -v14, v16, v17
	v_fmac_f32_e32 v16, v18, v15
	s_delay_alu instid0(VALU_DEP_1) | instskip(NEXT) | instid1(VALU_DEP_1)
	v_fma_f32 v14, -v14, v16, v17
	v_div_fmas_f32 v14, v14, v15, v16
	s_delay_alu instid0(VALU_DEP_1) | instskip(NEXT) | instid1(VALU_DEP_1)
	v_div_fixup_f32 v14, v14, v13, v12
	v_fmac_f32_e32 v13, v12, v14
	s_delay_alu instid0(VALU_DEP_1) | instskip(SKIP_1) | instid1(VALU_DEP_2)
	v_div_scale_f32 v12, null, v13, v13, 1.0
	v_div_scale_f32 v17, vcc_lo, 1.0, v13, 1.0
	v_rcp_f32_e32 v15, v12
	v_nop
	s_delay_alu instid0(TRANS32_DEP_1) | instskip(NEXT) | instid1(VALU_DEP_1)
	v_fma_f32 v16, -v12, v15, 1.0
	v_fmac_f32_e32 v15, v16, v15
	s_delay_alu instid0(VALU_DEP_1) | instskip(NEXT) | instid1(VALU_DEP_1)
	v_mul_f32_e32 v16, v17, v15
	v_fma_f32 v18, -v12, v16, v17
	s_delay_alu instid0(VALU_DEP_1) | instskip(NEXT) | instid1(VALU_DEP_1)
	v_fmac_f32_e32 v16, v18, v15
	v_fma_f32 v12, -v12, v16, v17
	s_delay_alu instid0(VALU_DEP_1) | instskip(SKIP_1) | instid1(VALU_DEP_2)
	v_div_fmas_f32 v12, v12, v15, v16
	v_mul_f32_e32 v15, 0, v14
	v_div_fixup_f32 v12, v12, v13, 1.0
	s_delay_alu instid0(VALU_DEP_2) | instskip(NEXT) | instid1(VALU_DEP_1)
	v_pk_add_f32 v[14:15], v[14:15], v[4:5]
	v_pk_mul_f32 v[14:15], v[14:15], v[12:13] op_sel_hi:[1,0]
                                        ; implicit-def: $vgpr12_vgpr13
.LBB154_14:                             ;   in Loop: Header=BB154_4 Depth=1
	s_and_not1_saveexec_b32 s15, s15
	s_cbranch_execz .LBB154_16
; %bb.15:                               ;   in Loop: Header=BB154_4 Depth=1
	v_div_scale_f32 v14, null, v12, v12, v13
	v_div_scale_f32 v17, vcc_lo, v13, v12, v13
	s_delay_alu instid0(VALU_DEP_2) | instskip(SKIP_1) | instid1(TRANS32_DEP_1)
	v_rcp_f32_e32 v15, v14
	v_nop
	v_fma_f32 v16, -v14, v15, 1.0
	s_delay_alu instid0(VALU_DEP_1) | instskip(NEXT) | instid1(VALU_DEP_1)
	v_fmac_f32_e32 v15, v16, v15
	v_mul_f32_e32 v16, v17, v15
	s_delay_alu instid0(VALU_DEP_1) | instskip(NEXT) | instid1(VALU_DEP_1)
	v_fma_f32 v18, -v14, v16, v17
	v_fmac_f32_e32 v16, v18, v15
	s_delay_alu instid0(VALU_DEP_1) | instskip(NEXT) | instid1(VALU_DEP_1)
	v_fma_f32 v14, -v14, v16, v17
	v_div_fmas_f32 v14, v14, v15, v16
	s_delay_alu instid0(VALU_DEP_1) | instskip(NEXT) | instid1(VALU_DEP_1)
	v_div_fixup_f32 v15, v14, v12, v13
	v_fmac_f32_e32 v12, v13, v15
	s_delay_alu instid0(VALU_DEP_1) | instskip(SKIP_1) | instid1(VALU_DEP_2)
	v_div_scale_f32 v13, null, v12, v12, 1.0
	v_div_scale_f32 v17, vcc_lo, 1.0, v12, 1.0
	v_rcp_f32_e32 v14, v13
	v_nop
	s_delay_alu instid0(TRANS32_DEP_1) | instskip(NEXT) | instid1(VALU_DEP_1)
	v_fma_f32 v16, -v13, v14, 1.0
	v_fmac_f32_e32 v14, v16, v14
	s_delay_alu instid0(VALU_DEP_1) | instskip(NEXT) | instid1(VALU_DEP_1)
	v_mul_f32_e32 v16, v17, v14
	v_fma_f32 v18, -v13, v16, v17
	s_delay_alu instid0(VALU_DEP_1) | instskip(NEXT) | instid1(VALU_DEP_1)
	v_fmac_f32_e32 v16, v18, v14
	v_dual_fma_f32 v13, -v13, v16, v17 :: v_dual_mul_f32 v17, 0, v15
	v_sub_f32_e32 v15, 0, v15
	s_delay_alu instid0(VALU_DEP_2) | instskip(NEXT) | instid1(VALU_DEP_3)
	v_div_fmas_f32 v13, v13, v14, v16
	v_add_f32_e32 v14, 1.0, v17
	s_delay_alu instid0(VALU_DEP_2) | instskip(NEXT) | instid1(VALU_DEP_1)
	v_div_fixup_f32 v12, v13, v12, 1.0
	v_pk_mul_f32 v[14:15], v[14:15], v[12:13] op_sel_hi:[1,0]
.LBB154_16:                             ;   in Loop: Header=BB154_4 Depth=1
	s_or_b32 exec_lo, exec_lo, s15
	s_mov_b32 s15, 0
	ds_store_b64 v3, v[14:15]
.LBB154_17:                             ;   in Loop: Header=BB154_4 Depth=1
	s_and_b32 vcc_lo, exec_lo, s15
	s_cbranch_vccz .LBB154_19
; %bb.18:                               ;   in Loop: Header=BB154_4 Depth=1
	ds_store_b64 v3, v[10:11]
.LBB154_19:                             ;   in Loop: Header=BB154_4 Depth=1
	s_or_b32 exec_lo, exec_lo, s14
	s_mov_b32 s14, -1
	s_or_b32 s43, s43, exec_lo
	s_wait_dscnt 0x0
	; wave barrier
	s_and_saveexec_b32 s44, s1
	s_cbranch_execz .LBB154_3
; %bb.20:                               ;   in Loop: Header=BB154_4 Depth=1
	s_mul_u64 s[14:15], s[20:21], s[2:3]
	s_and_not1_b32 vcc_lo, exec_lo, s38
	v_lshl_add_u64 v[12:13], s[14:15], 3, v[0:1]
	s_mul_u64 s[14:15], s[12:13], s[2:3]
	s_mov_b32 s3, -1
	s_cbranch_vccnz .LBB154_54
; %bb.21:                               ;   in Loop: Header=BB154_4 Depth=1
	v_add_nc_u64_e32 v[14:15], s[14:15], v[8:9]
	s_mov_b32 s3, 0
	s_mov_b32 s26, 0
	s_branch .LBB154_23
.LBB154_22:                             ;   in Loop: Header=BB154_23 Depth=2
	s_cmp_lt_i32 s26, s35
	s_cselect_b32 s16, -1, 0
	s_add_co_i32 s27, s3, 1
	s_cmp_lt_u32 s3, 2
	s_wait_xcnt 0x0
	s_cselect_b32 s3, -1, 0
	s_delay_alu instid0(SALU_CYCLE_1) | instskip(NEXT) | instid1(SALU_CYCLE_1)
	s_and_b32 s3, s16, s3
	s_and_b32 vcc_lo, exec_lo, s3
	s_mov_b32 s3, s27
	s_cbranch_vccz .LBB154_53
.LBB154_23:                             ;   Parent Loop BB154_4 Depth=1
                                        ; =>  This Loop Header: Depth=2
                                        ;       Child Loop BB154_26 Depth 3
                                        ;         Child Loop BB154_28 Depth 4
                                        ;         Child Loop BB154_32 Depth 4
	;; [unrolled: 1-line block ×3, first 2 shown]
                                        ;           Child Loop BB154_38 Depth 5
                                        ;           Child Loop BB154_44 Depth 5
                                        ;         Child Loop BB154_47 Depth 4
                                        ;           Child Loop BB154_49 Depth 5
	s_load_b32 s28, s[10:11], s3 offset:0x0 scale_offset
	s_wait_kmcnt 0x0
	s_add_co_i32 s45, s28, -1
	s_delay_alu instid0(SALU_CYCLE_1) | instskip(NEXT) | instid1(SALU_CYCLE_1)
	s_add_co_i32 s16, s45, s26
	s_cmp_ge_i32 s16, s35
	s_cbranch_scc1 .LBB154_22
; %bb.24:                               ;   in Loop: Header=BB154_23 Depth=2
	s_max_i32 s46, s28, 1
	s_cmp_lg_u32 s3, 2
	s_mul_i32 s50, s26, 0xa8
	s_cselect_b32 s47, -1, 0
	s_and_b32 s48, s46, 0x7ffffffe
	s_mul_i32 s51, s28, 0xa8
	s_cmp_lg_u32 s46, s48
	s_cselect_b32 s49, -1, 0
	s_ashr_i32 s27, s26, 31
	s_ashr_i32 s29, s28, 31
	s_branch .LBB154_26
.LBB154_25:                             ;   in Loop: Header=BB154_26 Depth=3
	s_add_nc_u64 s[26:27], s[26:27], s[28:29]
	s_add_co_i32 s50, s50, s51
	s_add_co_i32 s16, s45, s26
	s_delay_alu instid0(SALU_CYCLE_1)
	s_cmp_ge_i32 s16, s35
	s_cbranch_scc1 .LBB154_22
.LBB154_26:                             ;   Parent Loop BB154_4 Depth=1
                                        ;     Parent Loop BB154_23 Depth=2
                                        ; =>    This Loop Header: Depth=3
                                        ;         Child Loop BB154_28 Depth 4
                                        ;         Child Loop BB154_32 Depth 4
	;; [unrolled: 1-line block ×3, first 2 shown]
                                        ;           Child Loop BB154_38 Depth 5
                                        ;           Child Loop BB154_44 Depth 5
                                        ;         Child Loop BB154_47 Depth 4
                                        ;           Child Loop BB154_49 Depth 5
	s_and_not1_b32 vcc_lo, exec_lo, s47
	s_cbranch_vccnz .LBB154_30
; %bb.27:                               ;   in Loop: Header=BB154_26 Depth=3
	s_mov_b32 s30, s26
	s_mov_b32 s31, s26
	;; [unrolled: 1-line block ×3, first 2 shown]
	s_wait_xcnt 0x0
	s_mov_b32 s53, 0
	s_mov_b32 s54, s48
	;; [unrolled: 1-line block ×3, first 2 shown]
.LBB154_28:                             ;   Parent Loop BB154_4 Depth=1
                                        ;     Parent Loop BB154_23 Depth=2
                                        ;       Parent Loop BB154_26 Depth=3
                                        ; =>      This Inner Loop Header: Depth=4
	s_add_co_i32 s56, s52, s31
	s_add_co_i32 s58, s53, s30
	s_ashr_i32 s57, s56, 31
	s_ashr_i32 s59, s58, 31
	v_lshl_add_u64 v[16:17], s[56:57], 3, v[12:13]
	v_lshl_add_u64 v[18:19], s[58:59], 3, v[12:13]
	v_mov_b64_e32 v[20:21], s[6:7]
	v_mov_b64_e32 v[22:23], s[22:23]
	s_add_co_i32 s54, s54, -2
	s_clause 0x1
	global_load_b64 v[16:17], v[16:17], off
	global_load_b64 v[18:19], v[18:19], off
	s_add_co_i32 s53, s53, 2
	s_add_co_i32 s52, s52, 2
	s_mov_b32 s16, s48
	s_mov_b32 s56, s49
	s_wait_loadcnt 0x0
	s_wait_xcnt 0x1
	v_dual_mov_b32 v25, v16 :: v_dual_mov_b32 v16, v19
	v_mov_b32_e32 v24, v18
	s_wait_xcnt 0x0
	s_delay_alu instid0(VALU_DEP_2) | instskip(SKIP_1) | instid1(VALU_DEP_2)
	v_pk_mul_f32 v[18:19], v[16:17], v[20:21]
	v_pk_mul_f32 v[16:17], v[16:17], v[22:23]
	v_pk_fma_f32 v[22:23], v[24:25], v[22:23], v[18:19] neg_lo:[0,0,1] neg_hi:[0,0,1]
	s_delay_alu instid0(VALU_DEP_2) | instskip(NEXT) | instid1(VALU_DEP_1)
	v_pk_fma_f32 v[18:19], v[24:25], v[20:21], v[16:17]
	v_dual_mov_b32 v16, v22 :: v_dual_mov_b32 v17, v18
	s_delay_alu instid0(VALU_DEP_3)
	v_mov_b32_e32 v18, v23
	scratch_store_b128 off, v[16:19], s55 offset:-8
	s_wait_xcnt 0x0
	s_add_co_i32 s55, s55, 16
	s_cmp_lg_u32 s54, 0
	s_cbranch_scc1 .LBB154_28
; %bb.29:                               ;   in Loop: Header=BB154_26 Depth=3
	s_and_b32 vcc_lo, exec_lo, s56
	s_cbranch_vccnz .LBB154_31
	s_branch .LBB154_33
.LBB154_30:                             ;   in Loop: Header=BB154_26 Depth=3
	s_mov_b32 s16, 0
	s_cbranch_execz .LBB154_33
.LBB154_31:                             ;   in Loop: Header=BB154_26 Depth=3
	s_add_nc_u64 s[30:31], s[26:27], s[16:17]
	s_wait_xcnt 0x0
	v_lshl_add_u64 v[16:17], s[30:31], 3, v[14:15]
	s_lshl_b32 s30, s16, 3
	s_sub_co_i32 s16, s46, s16
.LBB154_32:                             ;   Parent Loop BB154_4 Depth=1
                                        ;     Parent Loop BB154_23 Depth=2
                                        ;       Parent Loop BB154_26 Depth=3
                                        ; =>      This Inner Loop Header: Depth=4
	global_load_b64 v[18:19], v[16:17], off offset:-4
	v_mov_b64_e32 v[20:21], s[24:25]
	v_mov_b64_e32 v[22:23], s[18:19]
	s_wait_xcnt 0x0
	v_add_nc_u64_e32 v[16:17], 8, v[16:17]
	s_add_co_i32 s16, s16, -1
	s_wait_loadcnt 0x0
	s_delay_alu instid0(VALU_DEP_3) | instskip(NEXT) | instid1(VALU_DEP_1)
	v_pk_mul_f32 v[20:21], v[18:19], v[20:21] op_sel:[1,0]
	v_pk_fma_f32 v[24:25], v[18:19], v[22:23], v[20:21] op_sel_hi:[0,1,1]
	v_pk_fma_f32 v[18:19], v[18:19], v[22:23], v[20:21] neg_lo:[0,0,1] neg_hi:[0,0,1]
	s_delay_alu instid0(VALU_DEP_2)
	v_mov_b32_e32 v19, v25
	scratch_store_b64 off, v[18:19], s30
	s_wait_xcnt 0x0
	s_add_co_i32 s30, s30, 8
	s_cmp_eq_u32 s16, 0
	s_cbranch_scc0 .LBB154_32
.LBB154_33:                             ;   in Loop: Header=BB154_26 Depth=3
	s_cmp_lt_i32 s26, 1
	s_cbranch_scc1 .LBB154_45
; %bb.34:                               ;   in Loop: Header=BB154_26 Depth=3
	s_mov_b32 s31, 0
	s_mov_b32 s30, s26
	s_mov_b32 s52, s26
	s_mov_b32 s16, s31
	s_branch .LBB154_36
.LBB154_35:                             ;   in Loop: Header=BB154_36 Depth=4
	s_add_co_i32 s16, s16, 1
	s_add_co_i32 s31, s31, 8
	s_cmp_eq_u32 s16, s26
	s_cbranch_scc1 .LBB154_45
.LBB154_36:                             ;   Parent Loop BB154_4 Depth=1
                                        ;     Parent Loop BB154_23 Depth=2
                                        ;       Parent Loop BB154_26 Depth=3
                                        ; =>      This Loop Header: Depth=4
                                        ;           Child Loop BB154_38 Depth 5
                                        ;           Child Loop BB154_44 Depth 5
	s_wait_xcnt 0x0
	v_lshl_add_u64 v[16:17], s[16:17], 3, v[12:13]
	s_and_b32 vcc_lo, exec_lo, s47
	global_load_b64 v[16:17], v[16:17], off
	s_cbranch_vccz .LBB154_40
; %bb.37:                               ;   in Loop: Header=BB154_36 Depth=4
	s_wait_loadcnt 0x0
	v_dual_mov_b32 v20, v16 :: v_dual_mov_b32 v21, v16
	v_dual_mov_b32 v18, v17 :: v_dual_mov_b32 v22, v17
	v_mov_b32_e32 v23, v17
	s_lshl_b32 s53, s16, 3
	s_mov_b32 s54, 1
	s_mov_b32 s55, 0
	;; [unrolled: 1-line block ×4, first 2 shown]
.LBB154_38:                             ;   Parent Loop BB154_4 Depth=1
                                        ;     Parent Loop BB154_23 Depth=2
                                        ;       Parent Loop BB154_26 Depth=3
                                        ;         Parent Loop BB154_36 Depth=4
                                        ; =>        This Inner Loop Header: Depth=5
	scratch_load_b128 v[24:27], off, s57 offset:-8
	s_add_co_i32 s58, s54, s52
	s_add_co_i32 s59, s55, s30
	s_mulk_i32 s58, 0xa0
	s_mulk_i32 s59, 0xa0
	s_add_co_i32 s58, s53, s58
	s_add_co_i32 s59, s53, s59
	s_delay_alu instid0(SALU_CYCLE_1)
	v_dual_mov_b32 v19, s58 :: v_dual_mov_b32 v30, s59
	s_add_co_i32 s56, s56, -2
	s_add_co_i32 s55, s55, 2
	ds_load_b64 v[28:29], v19
	ds_load_b64 v[30:31], v30
	s_add_co_i32 s54, s54, 2
	s_wait_dscnt 0x0
	v_dual_mov_b32 v33, v28 :: v_dual_mov_b32 v28, v31
	v_mov_b32_e32 v32, v30
	s_delay_alu instid0(VALU_DEP_2) | instskip(SKIP_1) | instid1(VALU_DEP_2)
	v_pk_mul_f32 v[30:31], v[28:29], v[22:23]
	v_pk_mul_f32 v[28:29], v[28:29], v[20:21]
	v_pk_fma_f32 v[30:31], v[32:33], v[20:21], v[30:31] neg_lo:[0,0,1] neg_hi:[0,0,1]
	s_delay_alu instid0(VALU_DEP_2) | instskip(SKIP_3) | instid1(VALU_DEP_2)
	v_pk_fma_f32 v[28:29], v[32:33], v[22:23], v[28:29]
	s_wait_loadcnt 0x0
	v_dual_mov_b32 v32, v24 :: v_dual_mov_b32 v33, v26
	v_mov_b32_e32 v26, v25
	v_pk_add_f32 v[30:31], v[32:33], v[30:31] neg_lo:[0,1] neg_hi:[0,1]
	s_delay_alu instid0(VALU_DEP_2) | instskip(NEXT) | instid1(VALU_DEP_1)
	v_pk_add_f32 v[26:27], v[26:27], v[28:29] neg_lo:[0,1] neg_hi:[0,1]
	v_dual_mov_b32 v24, v30 :: v_dual_mov_b32 v25, v26
	s_delay_alu instid0(VALU_DEP_3)
	v_mov_b32_e32 v26, v31
	scratch_store_b128 off, v[24:27], s57 offset:-8
	s_wait_xcnt 0x0
	s_add_co_i32 s57, s57, 16
	s_cmp_lg_u32 s56, 0
	s_cbranch_scc1 .LBB154_38
; %bb.39:                               ;   in Loop: Header=BB154_36 Depth=4
	s_mov_b32 s53, s49
	s_mov_b32 s54, s48
	s_branch .LBB154_42
.LBB154_40:                             ;   in Loop: Header=BB154_36 Depth=4
	s_wait_loadcnt 0x0
	v_mov_b32_e32 v18, v17
	s_mov_b32 s53, 0
	s_mov_b32 s54, s48
	s_cbranch_execz .LBB154_42
; %bb.41:                               ;   in Loop: Header=BB154_36 Depth=4
	s_mov_b32 s53, -1
	s_mov_b32 s54, 0
.LBB154_42:                             ;   in Loop: Header=BB154_36 Depth=4
	s_and_not1_b32 vcc_lo, exec_lo, s53
	s_cbranch_vccnz .LBB154_35
; %bb.43:                               ;   in Loop: Header=BB154_36 Depth=4
	s_add_co_i32 s55, s26, s54
	s_wait_xcnt 0x0
	v_dual_mov_b32 v19, v17 :: v_dual_mov_b32 v17, v16
	s_mulk_i32 s55, 0xa0
	s_lshl_b32 s56, s54, 3
	s_sub_co_i32 s53, s46, s54
	s_add_co_i32 s54, s31, s55
	s_mov_b32 s55, s56
.LBB154_44:                             ;   Parent Loop BB154_4 Depth=1
                                        ;     Parent Loop BB154_23 Depth=2
                                        ;       Parent Loop BB154_26 Depth=3
                                        ;         Parent Loop BB154_36 Depth=4
                                        ; =>        This Inner Loop Header: Depth=5
	scratch_load_b64 v[20:21], off, s55
	v_mov_b32_e32 v22, s54
	s_add_co_i32 s53, s53, -1
	s_addk_co_i32 s54, 0xa0
	ds_load_b64 v[22:23], v22
	s_wait_dscnt 0x0
	v_pk_mul_f32 v[24:25], v[22:23], v[18:19] op_sel:[1,0] op_sel_hi:[0,1]
	s_delay_alu instid0(VALU_DEP_1) | instskip(SKIP_1) | instid1(VALU_DEP_2)
	v_pk_fma_f32 v[26:27], v[22:23], v[16:17], v[24:25]
	v_pk_fma_f32 v[22:23], v[22:23], v[16:17], v[24:25] neg_lo:[0,0,1] neg_hi:[0,0,1]
	v_mov_b32_e32 v23, v27
	s_wait_loadcnt 0x0
	s_delay_alu instid0(VALU_DEP_1)
	v_pk_add_f32 v[20:21], v[20:21], v[22:23] neg_lo:[0,1] neg_hi:[0,1]
	scratch_store_b64 off, v[20:21], s55
	s_wait_xcnt 0x0
	s_add_co_i32 s55, s55, 8
	s_cmp_eq_u32 s53, 0
	s_cbranch_scc0 .LBB154_44
	s_branch .LBB154_35
.LBB154_45:                             ;   in Loop: Header=BB154_26 Depth=3
	s_mov_b32 s16, 0
	s_mov_b32 s52, s50
	s_branch .LBB154_47
.LBB154_46:                             ;   in Loop: Header=BB154_47 Depth=4
	s_mul_i32 s31, s30, 0xa8
	s_wait_xcnt 0x0
	s_lshl_b32 s53, s16, 3
	s_wait_xcnt 0x0
	v_mov_b32_e32 v17, s31
	s_ashr_i32 s31, s30, 31
	s_add_co_i32 s16, s16, 1
	s_addk_co_i32 s52, 0xa0
	s_cmp_eq_u32 s16, s46
	ds_load_b64 v[20:21], v17
	s_wait_dscnt 0x0
	v_pk_mul_f32 v[18:19], v[20:21], v[18:19] op_sel:[1,0] op_sel_hi:[0,0]
	s_delay_alu instid0(VALU_DEP_1) | instskip(SKIP_2) | instid1(VALU_DEP_3)
	v_pk_fma_f32 v[22:23], v[20:21], v[16:17], v[18:19] op_sel_hi:[1,0,1]
	v_pk_fma_f32 v[16:17], v[20:21], v[16:17], v[18:19] neg_lo:[0,0,1] neg_hi:[0,0,1]
	v_lshl_add_u64 v[18:19], s[30:31], 3, v[12:13]
	v_mov_b32_e32 v17, v23
	scratch_store_b64 off, v[16:17], s53
	global_store_b64 v[18:19], v[16:17], off
	s_cbranch_scc1 .LBB154_25
.LBB154_47:                             ;   Parent Loop BB154_4 Depth=1
                                        ;     Parent Loop BB154_23 Depth=2
                                        ;       Parent Loop BB154_26 Depth=3
                                        ; =>      This Loop Header: Depth=4
                                        ;           Child Loop BB154_49 Depth 5
	s_cmp_lg_u32 s16, 0
	s_cbranch_scc0 .LBB154_51
; %bb.48:                               ;   in Loop: Header=BB154_47 Depth=4
	s_lshl_b32 s30, s16, 3
	s_mov_b32 s31, 0
	scratch_load_b64 v[16:17], off, s30
	s_mov_b32 s53, s52
	s_mov_b32 s54, s16
.LBB154_49:                             ;   Parent Loop BB154_4 Depth=1
                                        ;     Parent Loop BB154_23 Depth=2
                                        ;       Parent Loop BB154_26 Depth=3
                                        ;         Parent Loop BB154_47 Depth=4
                                        ; =>        This Inner Loop Header: Depth=5
	scratch_load_b64 v[18:19], off, s31
	v_mov_b32_e32 v20, s53
	s_add_co_i32 s54, s54, -1
	s_wait_xcnt 0x0
	s_add_co_i32 s31, s31, 8
	s_add_co_i32 s53, s53, 8
	s_cmp_eq_u32 s54, 0
	ds_load_b64 v[20:21], v20
	s_wait_loadcnt_dscnt 0x0
	v_pk_mul_f32 v[22:23], v[20:21], v[18:19] op_sel:[1,1] op_sel_hi:[0,1]
	s_delay_alu instid0(VALU_DEP_1) | instskip(SKIP_1) | instid1(VALU_DEP_2)
	v_pk_fma_f32 v[24:25], v[20:21], v[18:19], v[22:23] op_sel_hi:[1,0,1]
	v_pk_fma_f32 v[18:19], v[20:21], v[18:19], v[22:23] neg_lo:[0,0,1] neg_hi:[0,0,1]
	v_mov_b32_e32 v19, v25
	s_delay_alu instid0(VALU_DEP_1)
	v_pk_add_f32 v[16:17], v[16:17], v[18:19] neg_lo:[0,1] neg_hi:[0,1]
	scratch_store_b64 off, v[16:17], s30
	s_cbranch_scc0 .LBB154_49
; %bb.50:                               ;   in Loop: Header=BB154_47 Depth=4
	v_mov_b32_e32 v18, v17
	s_wait_xcnt 0x0
	s_add_co_i32 s30, s16, s26
	s_branch .LBB154_46
.LBB154_51:                             ;   in Loop: Header=BB154_47 Depth=4
                                        ; implicit-def: $vgpr16
                                        ; implicit-def: $vgpr18
                                        ; implicit-def: $sgpr30
	s_cbranch_execz .LBB154_46
; %bb.52:                               ;   in Loop: Header=BB154_47 Depth=4
	scratch_load_b64 v[16:17], off, off
	s_mov_b32 s30, s26
	s_wait_loadcnt 0x0
	v_mov_b32_e32 v18, v17
	s_branch .LBB154_46
.LBB154_53:                             ;   in Loop: Header=BB154_4 Depth=1
	s_mov_b32 s3, 0
.LBB154_54:                             ;   in Loop: Header=BB154_4 Depth=1
	s_delay_alu instid0(SALU_CYCLE_1)
	s_and_b32 vcc_lo, exec_lo, s3
	s_cbranch_vccz .LBB154_2
; %bb.55:                               ;   in Loop: Header=BB154_4 Depth=1
	v_add_nc_u64_e32 v[14:15], s[14:15], v[8:9]
	s_mov_b32 s3, 0
	s_mov_b32 s14, s36
	s_branch .LBB154_57
.LBB154_56:                             ;   in Loop: Header=BB154_57 Depth=2
	s_cmp_gt_i32 s14, -1
	s_cselect_b32 s15, -1, 0
	s_add_co_i32 s16, s3, 1
	s_cmp_lt_u32 s3, 2
	s_wait_xcnt 0x0
	s_cselect_b32 s3, -1, 0
	s_delay_alu instid0(SALU_CYCLE_1) | instskip(NEXT) | instid1(SALU_CYCLE_1)
	s_and_b32 s3, s15, s3
	s_and_not1_b32 vcc_lo, exec_lo, s3
	s_mov_b32 s3, s16
	s_cbranch_vccnz .LBB154_2
.LBB154_57:                             ;   Parent Loop BB154_4 Depth=1
                                        ; =>  This Loop Header: Depth=2
                                        ;       Child Loop BB154_60 Depth 3
                                        ;         Child Loop BB154_62 Depth 4
                                        ;         Child Loop BB154_66 Depth 4
	;; [unrolled: 1-line block ×3, first 2 shown]
                                        ;           Child Loop BB154_72 Depth 5
                                        ;           Child Loop BB154_78 Depth 5
                                        ;         Child Loop BB154_81 Depth 4
                                        ;           Child Loop BB154_83 Depth 5
	s_load_b32 s30, s[10:11], s3 offset:0x0 scale_offset
	s_wait_kmcnt 0x0
	s_add_co_i32 s31, s30, -1
	s_delay_alu instid0(SALU_CYCLE_1)
	s_cmp_lt_i32 s14, s31
	s_cbranch_scc1 .LBB154_56
; %bb.58:                               ;   in Loop: Header=BB154_57 Depth=2
	s_max_i32 s45, s30, 1
	s_cmp_lg_u32 s3, 2
	s_mul_i32 s51, s14, 0xa8
	s_cselect_b32 s46, -1, 0
	s_and_b32 s47, s45, 0x7ffffffe
	s_mul_i32 s52, s30, 0xffffff58
	s_cmp_lg_u32 s45, s47
	s_cselect_b32 s48, -1, 0
	s_lshl_b32 s15, s14, 3
	s_lshl_b32 s16, s30, 3
	s_add_co_i32 s49, s40, s15
	s_sub_co_i32 s50, 0, s16
	s_branch .LBB154_60
.LBB154_59:                             ;   in Loop: Header=BB154_60 Depth=3
	s_sub_co_i32 s14, s14, s30
	s_add_co_i32 s49, s49, s50
	s_add_co_i32 s51, s51, s52
	s_cmp_lt_i32 s14, s31
	s_cbranch_scc1 .LBB154_56
.LBB154_60:                             ;   Parent Loop BB154_4 Depth=1
                                        ;     Parent Loop BB154_57 Depth=2
                                        ; =>    This Loop Header: Depth=3
                                        ;         Child Loop BB154_62 Depth 4
                                        ;         Child Loop BB154_66 Depth 4
	;; [unrolled: 1-line block ×3, first 2 shown]
                                        ;           Child Loop BB154_72 Depth 5
                                        ;           Child Loop BB154_78 Depth 5
                                        ;         Child Loop BB154_81 Depth 4
                                        ;           Child Loop BB154_83 Depth 5
	s_and_not1_b32 vcc_lo, exec_lo, s46
	s_cbranch_vccnz .LBB154_64
; %bb.61:                               ;   in Loop: Header=BB154_60 Depth=3
	s_mov_b32 s15, s14
	s_mov_b32 s26, 1
	;; [unrolled: 1-line block ×3, first 2 shown]
	s_wait_xcnt 0x0
	s_mov_b32 s28, s47
	s_mov_b32 s29, s39
.LBB154_62:                             ;   Parent Loop BB154_4 Depth=1
                                        ;     Parent Loop BB154_57 Depth=2
                                        ;       Parent Loop BB154_60 Depth=3
                                        ; =>      This Inner Loop Header: Depth=4
	s_sub_co_i32 s54, s15, s26
	s_sub_co_i32 s56, s14, s27
	s_ashr_i32 s55, s54, 31
	s_ashr_i32 s57, s56, 31
	v_lshl_add_u64 v[16:17], s[54:55], 3, v[12:13]
	v_lshl_add_u64 v[18:19], s[56:57], 3, v[12:13]
	s_add_co_i32 s28, s28, -2
	s_add_co_i32 s27, s27, 2
	s_add_co_i32 s26, s26, 2
	s_clause 0x1
	global_load_b64 v[20:21], v[16:17], off
	global_load_b64 v[22:23], v[18:19], off
	s_wait_xcnt 0x1
	v_mov_b64_e32 v[16:17], s[6:7]
	s_wait_xcnt 0x0
	v_mov_b64_e32 v[18:19], s[22:23]
	s_mov_b32 s16, s47
	s_mov_b32 s53, s48
	s_wait_loadcnt 0x0
	v_dual_mov_b32 v25, v20 :: v_dual_mov_b32 v20, v23
	v_mov_b32_e32 v24, v22
	s_delay_alu instid0(VALU_DEP_2) | instskip(SKIP_1) | instid1(VALU_DEP_2)
	v_pk_mul_f32 v[22:23], v[20:21], v[16:17]
	v_pk_mul_f32 v[20:21], v[20:21], v[18:19]
	v_pk_fma_f32 v[22:23], v[24:25], v[18:19], v[22:23] neg_lo:[0,0,1] neg_hi:[0,0,1]
	s_delay_alu instid0(VALU_DEP_2) | instskip(NEXT) | instid1(VALU_DEP_1)
	v_pk_fma_f32 v[18:19], v[24:25], v[16:17], v[20:21]
	v_dual_mov_b32 v16, v22 :: v_dual_mov_b32 v17, v18
	s_delay_alu instid0(VALU_DEP_3)
	v_mov_b32_e32 v18, v23
	scratch_store_b128 off, v[16:19], s29 offset:-8
	s_wait_xcnt 0x0
	s_add_co_i32 s29, s29, 16
	s_cmp_lg_u32 s28, 0
	s_cbranch_scc1 .LBB154_62
; %bb.63:                               ;   in Loop: Header=BB154_60 Depth=3
	s_and_b32 vcc_lo, exec_lo, s53
	s_ashr_i32 s15, s14, 31
	s_cbranch_vccnz .LBB154_65
	s_branch .LBB154_67
.LBB154_64:                             ;   in Loop: Header=BB154_60 Depth=3
	s_mov_b32 s16, 0
	s_ashr_i32 s15, s14, 31
	s_cbranch_execz .LBB154_67
.LBB154_65:                             ;   in Loop: Header=BB154_60 Depth=3
	s_lshl_b64 s[26:27], s[14:15], 3
	s_wait_xcnt 0x0
	s_lshl_b64 s[28:29], s[16:17], 3
	s_delay_alu instid0(SALU_CYCLE_1) | instskip(NEXT) | instid1(SALU_CYCLE_1)
	s_sub_nc_u64 s[26:27], s[26:27], s[28:29]
	v_add_nc_u64_e32 v[16:17], s[26:27], v[14:15]
	s_lshl_b32 s26, s16, 3
	s_sub_co_i32 s16, s45, s16
.LBB154_66:                             ;   Parent Loop BB154_4 Depth=1
                                        ;     Parent Loop BB154_57 Depth=2
                                        ;       Parent Loop BB154_60 Depth=3
                                        ; =>      This Inner Loop Header: Depth=4
	global_load_b64 v[18:19], v[16:17], off offset:-4
	v_mov_b64_e32 v[20:21], s[24:25]
	v_mov_b64_e32 v[22:23], s[18:19]
	s_wait_xcnt 0x0
	v_add_nc_u64_e32 v[16:17], -8, v[16:17]
	s_add_co_i32 s16, s16, -1
	s_wait_loadcnt 0x0
	s_delay_alu instid0(VALU_DEP_3) | instskip(NEXT) | instid1(VALU_DEP_1)
	v_pk_mul_f32 v[20:21], v[18:19], v[20:21] op_sel:[1,0]
	v_pk_fma_f32 v[24:25], v[18:19], v[22:23], v[20:21] op_sel_hi:[0,1,1]
	v_pk_fma_f32 v[18:19], v[18:19], v[22:23], v[20:21] neg_lo:[0,0,1] neg_hi:[0,0,1]
	s_delay_alu instid0(VALU_DEP_2)
	v_mov_b32_e32 v19, v25
	scratch_store_b64 off, v[18:19], s26
	s_wait_xcnt 0x0
	s_add_co_i32 s26, s26, 8
	s_cmp_eq_u32 s16, 0
	s_cbranch_scc0 .LBB154_66
.LBB154_67:                             ;   in Loop: Header=BB154_60 Depth=3
	s_cmp_le_i32 s36, s14
	s_cbranch_scc1 .LBB154_79
; %bb.68:                               ;   in Loop: Header=BB154_60 Depth=3
	s_mov_b32 s16, s14
	s_wait_xcnt 0x0
	s_mov_b32 s28, s14
	s_mov_b32 s29, s49
	;; [unrolled: 1-line block ×3, first 2 shown]
	s_branch .LBB154_70
.LBB154_69:                             ;   in Loop: Header=BB154_70 Depth=4
	s_add_co_i32 s26, s26, -1
	s_addk_co_i32 s29, 0xff60
	s_cmp_le_i32 s26, s14
	s_cbranch_scc1 .LBB154_79
.LBB154_70:                             ;   Parent Loop BB154_4 Depth=1
                                        ;     Parent Loop BB154_57 Depth=2
                                        ;       Parent Loop BB154_60 Depth=3
                                        ; =>      This Loop Header: Depth=4
                                        ;           Child Loop BB154_72 Depth 5
                                        ;           Child Loop BB154_78 Depth 5
	s_ashr_i32 s27, s26, 31
	s_and_b32 vcc_lo, exec_lo, s46
	s_wait_xcnt 0x0
	v_lshl_add_u64 v[16:17], s[26:27], 3, v[12:13]
	global_load_b64 v[16:17], v[16:17], off
	s_cbranch_vccz .LBB154_74
; %bb.71:                               ;   in Loop: Header=BB154_70 Depth=4
	s_wait_loadcnt 0x0
	v_dual_mov_b32 v20, v16 :: v_dual_mov_b32 v21, v16
	v_dual_mov_b32 v18, v17 :: v_dual_mov_b32 v22, v17
	v_mov_b32_e32 v23, v17
	s_mul_i32 s27, s26, 0xa0
	s_mov_b32 s53, 1
	s_mov_b32 s54, 0
	;; [unrolled: 1-line block ×4, first 2 shown]
.LBB154_72:                             ;   Parent Loop BB154_4 Depth=1
                                        ;     Parent Loop BB154_57 Depth=2
                                        ;       Parent Loop BB154_60 Depth=3
                                        ;         Parent Loop BB154_70 Depth=4
                                        ; =>        This Inner Loop Header: Depth=5
	scratch_load_b128 v[24:27], off, s56 offset:-8
	s_sub_co_i32 s57, s28, s53
	s_sub_co_i32 s58, s16, s54
	s_lshl_b32 s57, s57, 3
	s_lshl_b32 s58, s58, 3
	s_add_co_i32 s57, s27, s57
	s_add_co_i32 s58, s27, s58
	s_delay_alu instid0(SALU_CYCLE_1)
	v_dual_mov_b32 v19, s57 :: v_dual_mov_b32 v30, s58
	s_add_co_i32 s55, s55, -2
	s_add_co_i32 s54, s54, 2
	ds_load_b64 v[28:29], v19
	ds_load_b64 v[30:31], v30
	s_add_co_i32 s53, s53, 2
	s_wait_dscnt 0x0
	v_dual_mov_b32 v33, v28 :: v_dual_mov_b32 v28, v31
	v_mov_b32_e32 v32, v30
	s_delay_alu instid0(VALU_DEP_2) | instskip(SKIP_1) | instid1(VALU_DEP_2)
	v_pk_mul_f32 v[30:31], v[28:29], v[22:23]
	v_pk_mul_f32 v[28:29], v[28:29], v[20:21]
	v_pk_fma_f32 v[30:31], v[32:33], v[20:21], v[30:31] neg_lo:[0,0,1] neg_hi:[0,0,1]
	s_delay_alu instid0(VALU_DEP_2) | instskip(SKIP_3) | instid1(VALU_DEP_2)
	v_pk_fma_f32 v[28:29], v[32:33], v[22:23], v[28:29]
	s_wait_loadcnt 0x0
	v_dual_mov_b32 v32, v24 :: v_dual_mov_b32 v33, v26
	v_mov_b32_e32 v26, v25
	v_pk_add_f32 v[30:31], v[32:33], v[30:31] neg_lo:[0,1] neg_hi:[0,1]
	s_delay_alu instid0(VALU_DEP_2) | instskip(NEXT) | instid1(VALU_DEP_1)
	v_pk_add_f32 v[26:27], v[26:27], v[28:29] neg_lo:[0,1] neg_hi:[0,1]
	v_dual_mov_b32 v24, v30 :: v_dual_mov_b32 v25, v26
	s_delay_alu instid0(VALU_DEP_3)
	v_mov_b32_e32 v26, v31
	scratch_store_b128 off, v[24:27], s56 offset:-8
	s_wait_xcnt 0x0
	s_add_co_i32 s56, s56, 16
	s_cmp_lg_u32 s55, 0
	s_cbranch_scc1 .LBB154_72
; %bb.73:                               ;   in Loop: Header=BB154_70 Depth=4
	s_mov_b32 s27, s48
	s_mov_b32 s53, s47
	s_branch .LBB154_76
.LBB154_74:                             ;   in Loop: Header=BB154_70 Depth=4
	s_wait_loadcnt 0x0
	v_mov_b32_e32 v18, v17
	s_mov_b32 s27, 0
	s_mov_b32 s53, s47
	s_cbranch_execz .LBB154_76
; %bb.75:                               ;   in Loop: Header=BB154_70 Depth=4
	s_mov_b32 s27, -1
	s_mov_b32 s53, 0
.LBB154_76:                             ;   in Loop: Header=BB154_70 Depth=4
	s_and_not1_b32 vcc_lo, exec_lo, s27
	s_cbranch_vccnz .LBB154_69
; %bb.77:                               ;   in Loop: Header=BB154_70 Depth=4
	s_wait_xcnt 0x0
	v_dual_mov_b32 v19, v17 :: v_dual_mov_b32 v17, v16
	s_lshl_b32 s54, s53, 3
	s_sub_co_i32 s27, s45, s53
	s_sub_co_i32 s53, s29, s54
.LBB154_78:                             ;   Parent Loop BB154_4 Depth=1
                                        ;     Parent Loop BB154_57 Depth=2
                                        ;       Parent Loop BB154_60 Depth=3
                                        ;         Parent Loop BB154_70 Depth=4
                                        ; =>        This Inner Loop Header: Depth=5
	scratch_load_b64 v[20:21], off, s54
	v_mov_b32_e32 v22, s53
	s_add_co_i32 s27, s27, -1
	s_add_co_i32 s53, s53, -8
	ds_load_b64 v[22:23], v22
	s_wait_dscnt 0x0
	v_pk_mul_f32 v[24:25], v[22:23], v[18:19] op_sel:[1,0] op_sel_hi:[0,1]
	s_delay_alu instid0(VALU_DEP_1) | instskip(SKIP_1) | instid1(VALU_DEP_2)
	v_pk_fma_f32 v[26:27], v[22:23], v[16:17], v[24:25]
	v_pk_fma_f32 v[22:23], v[22:23], v[16:17], v[24:25] neg_lo:[0,0,1] neg_hi:[0,0,1]
	v_mov_b32_e32 v23, v27
	s_wait_loadcnt 0x0
	s_delay_alu instid0(VALU_DEP_1)
	v_pk_add_f32 v[20:21], v[20:21], v[22:23] neg_lo:[0,1] neg_hi:[0,1]
	scratch_store_b64 off, v[20:21], s54
	s_wait_xcnt 0x0
	s_add_co_i32 s54, s54, 8
	s_cmp_eq_u32 s27, 0
	s_cbranch_scc0 .LBB154_78
	s_branch .LBB154_69
.LBB154_79:                             ;   in Loop: Header=BB154_60 Depth=3
	s_mov_b32 s16, 0
	s_mov_b32 s53, s51
	s_branch .LBB154_81
.LBB154_80:                             ;   in Loop: Header=BB154_81 Depth=4
	s_wait_xcnt 0x0
	s_mulk_i32 s28, 0xa8
	v_lshl_add_u64 v[24:25], s[26:27], 3, v[12:13]
	s_wait_xcnt 0x0
	v_mov_b32_e32 v17, s28
	s_lshl_b32 s28, s16, 3
	s_add_co_i32 s16, s16, 1
	s_add_co_i32 s53, s53, -8
	s_cmp_eq_u32 s16, s45
	ds_load_b64 v[20:21], v17
	s_wait_dscnt 0x0
	v_pk_mul_f32 v[18:19], v[20:21], v[18:19] op_sel:[1,0] op_sel_hi:[0,0]
	s_delay_alu instid0(VALU_DEP_1) | instskip(SKIP_1) | instid1(VALU_DEP_2)
	v_pk_fma_f32 v[22:23], v[20:21], v[16:17], v[18:19] op_sel_hi:[1,0,1]
	v_pk_fma_f32 v[16:17], v[20:21], v[16:17], v[18:19] neg_lo:[0,0,1] neg_hi:[0,0,1]
	v_mov_b32_e32 v17, v23
	scratch_store_b64 off, v[16:17], s28
	global_store_b64 v[24:25], v[16:17], off
	s_cbranch_scc1 .LBB154_59
.LBB154_81:                             ;   Parent Loop BB154_4 Depth=1
                                        ;     Parent Loop BB154_57 Depth=2
                                        ;       Parent Loop BB154_60 Depth=3
                                        ; =>      This Loop Header: Depth=4
                                        ;           Child Loop BB154_83 Depth 5
	s_cmp_lg_u32 s16, 0
	s_cbranch_scc0 .LBB154_85
; %bb.82:                               ;   in Loop: Header=BB154_81 Depth=4
	s_lshl_b32 s26, s16, 3
	s_mov_b32 s27, 0
	scratch_load_b64 v[16:17], off, s26
	s_mov_b32 s28, s53
	s_mov_b32 s29, s16
.LBB154_83:                             ;   Parent Loop BB154_4 Depth=1
                                        ;     Parent Loop BB154_57 Depth=2
                                        ;       Parent Loop BB154_60 Depth=3
                                        ;         Parent Loop BB154_81 Depth=4
                                        ; =>        This Inner Loop Header: Depth=5
	scratch_load_b64 v[18:19], off, s27
	v_mov_b32_e32 v20, s28
	s_add_co_i32 s29, s29, -1
	s_addk_co_i32 s28, 0xff60
	s_wait_xcnt 0x0
	s_add_co_i32 s27, s27, 8
	s_cmp_eq_u32 s29, 0
	ds_load_b64 v[20:21], v20
	s_wait_loadcnt_dscnt 0x0
	v_pk_mul_f32 v[22:23], v[20:21], v[18:19] op_sel:[1,1] op_sel_hi:[0,1]
	s_delay_alu instid0(VALU_DEP_1) | instskip(SKIP_1) | instid1(VALU_DEP_2)
	v_pk_fma_f32 v[24:25], v[20:21], v[18:19], v[22:23] op_sel_hi:[1,0,1]
	v_pk_fma_f32 v[18:19], v[20:21], v[18:19], v[22:23] neg_lo:[0,0,1] neg_hi:[0,0,1]
	v_mov_b32_e32 v19, v25
	s_delay_alu instid0(VALU_DEP_1)
	v_pk_add_f32 v[16:17], v[16:17], v[18:19] neg_lo:[0,1] neg_hi:[0,1]
	scratch_store_b64 off, v[16:17], s26
	s_cbranch_scc0 .LBB154_83
; %bb.84:                               ;   in Loop: Header=BB154_81 Depth=4
	s_sub_co_i32 s28, s14, s16
	v_mov_b32_e32 v18, v17
	s_ashr_i32 s29, s28, 31
	s_wait_xcnt 0x0
	s_mov_b64 s[26:27], s[28:29]
	s_branch .LBB154_80
.LBB154_85:                             ;   in Loop: Header=BB154_81 Depth=4
                                        ; implicit-def: $vgpr16
                                        ; implicit-def: $vgpr18
                                        ; implicit-def: $sgpr28
                                        ; implicit-def: $sgpr26_sgpr27
	s_cbranch_execz .LBB154_80
; %bb.86:                               ;   in Loop: Header=BB154_81 Depth=4
	scratch_load_b64 v[16:17], off, off
	s_mov_b64 s[26:27], s[14:15]
	s_mov_b32 s28, s14
	s_wait_loadcnt 0x0
	v_mov_b32_e32 v18, v17
	s_branch .LBB154_80
.LBB154_87:
	s_or_b32 exec_lo, exec_lo, s41
	s_and_saveexec_b32 s0, s42
	s_delay_alu instid0(SALU_CYCLE_1)
	s_xor_b32 s0, exec_lo, s0
.LBB154_88:
	s_endpgm
	.section	.rodata,"a",@progbits
	.p2align	6, 0x0
	.amdhsa_kernel _ZL30rocblas_trsm_small_left_deviceILi20ELi20ELb0E19rocblas_complex_numIfES1_PKS1_PS1_Ev13rocblas_fill_18rocblas_operation_17rocblas_diagonal_iiT3_T4_lilT5_lili
		.amdhsa_group_segment_fixed_size 3200
		.amdhsa_private_segment_fixed_size 176
		.amdhsa_kernarg_size 360
		.amdhsa_user_sgpr_count 2
		.amdhsa_user_sgpr_dispatch_ptr 0
		.amdhsa_user_sgpr_queue_ptr 0
		.amdhsa_user_sgpr_kernarg_segment_ptr 1
		.amdhsa_user_sgpr_dispatch_id 0
		.amdhsa_user_sgpr_kernarg_preload_length 0
		.amdhsa_user_sgpr_kernarg_preload_offset 0
		.amdhsa_user_sgpr_private_segment_size 0
		.amdhsa_wavefront_size32 1
		.amdhsa_uses_dynamic_stack 0
		.amdhsa_enable_private_segment 1
		.amdhsa_system_sgpr_workgroup_id_x 1
		.amdhsa_system_sgpr_workgroup_id_y 0
		.amdhsa_system_sgpr_workgroup_id_z 1
		.amdhsa_system_sgpr_workgroup_info 0
		.amdhsa_system_vgpr_workitem_id 0
		.amdhsa_next_free_vgpr 34
		.amdhsa_next_free_sgpr 60
		.amdhsa_named_barrier_count 0
		.amdhsa_reserve_vcc 1
		.amdhsa_float_round_mode_32 0
		.amdhsa_float_round_mode_16_64 0
		.amdhsa_float_denorm_mode_32 3
		.amdhsa_float_denorm_mode_16_64 3
		.amdhsa_fp16_overflow 0
		.amdhsa_memory_ordered 1
		.amdhsa_forward_progress 1
		.amdhsa_inst_pref_size 33
		.amdhsa_round_robin_scheduling 0
		.amdhsa_exception_fp_ieee_invalid_op 0
		.amdhsa_exception_fp_denorm_src 0
		.amdhsa_exception_fp_ieee_div_zero 0
		.amdhsa_exception_fp_ieee_overflow 0
		.amdhsa_exception_fp_ieee_underflow 0
		.amdhsa_exception_fp_ieee_inexact 0
		.amdhsa_exception_int_div_zero 0
	.end_amdhsa_kernel
	.section	.text._ZL30rocblas_trsm_small_left_deviceILi20ELi20ELb0E19rocblas_complex_numIfES1_PKS1_PS1_Ev13rocblas_fill_18rocblas_operation_17rocblas_diagonal_iiT3_T4_lilT5_lili,"axG",@progbits,_ZL30rocblas_trsm_small_left_deviceILi20ELi20ELb0E19rocblas_complex_numIfES1_PKS1_PS1_Ev13rocblas_fill_18rocblas_operation_17rocblas_diagonal_iiT3_T4_lilT5_lili,comdat
.Lfunc_end154:
	.size	_ZL30rocblas_trsm_small_left_deviceILi20ELi20ELb0E19rocblas_complex_numIfES1_PKS1_PS1_Ev13rocblas_fill_18rocblas_operation_17rocblas_diagonal_iiT3_T4_lilT5_lili, .Lfunc_end154-_ZL30rocblas_trsm_small_left_deviceILi20ELi20ELb0E19rocblas_complex_numIfES1_PKS1_PS1_Ev13rocblas_fill_18rocblas_operation_17rocblas_diagonal_iiT3_T4_lilT5_lili
                                        ; -- End function
	.set _ZL30rocblas_trsm_small_left_deviceILi20ELi20ELb0E19rocblas_complex_numIfES1_PKS1_PS1_Ev13rocblas_fill_18rocblas_operation_17rocblas_diagonal_iiT3_T4_lilT5_lili.num_vgpr, 34
	.set _ZL30rocblas_trsm_small_left_deviceILi20ELi20ELb0E19rocblas_complex_numIfES1_PKS1_PS1_Ev13rocblas_fill_18rocblas_operation_17rocblas_diagonal_iiT3_T4_lilT5_lili.num_agpr, 0
	.set _ZL30rocblas_trsm_small_left_deviceILi20ELi20ELb0E19rocblas_complex_numIfES1_PKS1_PS1_Ev13rocblas_fill_18rocblas_operation_17rocblas_diagonal_iiT3_T4_lilT5_lili.numbered_sgpr, 60
	.set _ZL30rocblas_trsm_small_left_deviceILi20ELi20ELb0E19rocblas_complex_numIfES1_PKS1_PS1_Ev13rocblas_fill_18rocblas_operation_17rocblas_diagonal_iiT3_T4_lilT5_lili.num_named_barrier, 0
	.set _ZL30rocblas_trsm_small_left_deviceILi20ELi20ELb0E19rocblas_complex_numIfES1_PKS1_PS1_Ev13rocblas_fill_18rocblas_operation_17rocblas_diagonal_iiT3_T4_lilT5_lili.private_seg_size, 176
	.set _ZL30rocblas_trsm_small_left_deviceILi20ELi20ELb0E19rocblas_complex_numIfES1_PKS1_PS1_Ev13rocblas_fill_18rocblas_operation_17rocblas_diagonal_iiT3_T4_lilT5_lili.uses_vcc, 1
	.set _ZL30rocblas_trsm_small_left_deviceILi20ELi20ELb0E19rocblas_complex_numIfES1_PKS1_PS1_Ev13rocblas_fill_18rocblas_operation_17rocblas_diagonal_iiT3_T4_lilT5_lili.uses_flat_scratch, 0
	.set _ZL30rocblas_trsm_small_left_deviceILi20ELi20ELb0E19rocblas_complex_numIfES1_PKS1_PS1_Ev13rocblas_fill_18rocblas_operation_17rocblas_diagonal_iiT3_T4_lilT5_lili.has_dyn_sized_stack, 0
	.set _ZL30rocblas_trsm_small_left_deviceILi20ELi20ELb0E19rocblas_complex_numIfES1_PKS1_PS1_Ev13rocblas_fill_18rocblas_operation_17rocblas_diagonal_iiT3_T4_lilT5_lili.has_recursion, 0
	.set _ZL30rocblas_trsm_small_left_deviceILi20ELi20ELb0E19rocblas_complex_numIfES1_PKS1_PS1_Ev13rocblas_fill_18rocblas_operation_17rocblas_diagonal_iiT3_T4_lilT5_lili.has_indirect_call, 0
	.section	.AMDGPU.csdata,"",@progbits
; Kernel info:
; codeLenInByte = 4148
; TotalNumSgprs: 62
; NumVgprs: 34
; ScratchSize: 176
; MemoryBound: 0
; FloatMode: 240
; IeeeMode: 1
; LDSByteSize: 3200 bytes/workgroup (compile time only)
; SGPRBlocks: 0
; VGPRBlocks: 2
; NumSGPRsForWavesPerEU: 62
; NumVGPRsForWavesPerEU: 34
; NamedBarCnt: 0
; Occupancy: 16
; WaveLimiterHint : 1
; COMPUTE_PGM_RSRC2:SCRATCH_EN: 1
; COMPUTE_PGM_RSRC2:USER_SGPR: 2
; COMPUTE_PGM_RSRC2:TRAP_HANDLER: 0
; COMPUTE_PGM_RSRC2:TGID_X_EN: 1
; COMPUTE_PGM_RSRC2:TGID_Y_EN: 0
; COMPUTE_PGM_RSRC2:TGID_Z_EN: 1
; COMPUTE_PGM_RSRC2:TIDIG_COMP_CNT: 0
	.section	.text._ZL38rocblas_trsm_small_left_device_sharedBILi20ELi20ELb1E19rocblas_complex_numIfES1_PKS1_PS1_Ev13rocblas_fill_18rocblas_operation_17rocblas_diagonal_iiT3_T4_lilT5_lili,"axG",@progbits,_ZL38rocblas_trsm_small_left_device_sharedBILi20ELi20ELb1E19rocblas_complex_numIfES1_PKS1_PS1_Ev13rocblas_fill_18rocblas_operation_17rocblas_diagonal_iiT3_T4_lilT5_lili,comdat
	.globl	_ZL38rocblas_trsm_small_left_device_sharedBILi20ELi20ELb1E19rocblas_complex_numIfES1_PKS1_PS1_Ev13rocblas_fill_18rocblas_operation_17rocblas_diagonal_iiT3_T4_lilT5_lili ; -- Begin function _ZL38rocblas_trsm_small_left_device_sharedBILi20ELi20ELb1E19rocblas_complex_numIfES1_PKS1_PS1_Ev13rocblas_fill_18rocblas_operation_17rocblas_diagonal_iiT3_T4_lilT5_lili
	.p2align	8
	.type	_ZL38rocblas_trsm_small_left_device_sharedBILi20ELi20ELb1E19rocblas_complex_numIfES1_PKS1_PS1_Ev13rocblas_fill_18rocblas_operation_17rocblas_diagonal_iiT3_T4_lilT5_lili,@function
_ZL38rocblas_trsm_small_left_device_sharedBILi20ELi20ELb1E19rocblas_complex_numIfES1_PKS1_PS1_Ev13rocblas_fill_18rocblas_operation_17rocblas_diagonal_iiT3_T4_lilT5_lili: ; @_ZL38rocblas_trsm_small_left_device_sharedBILi20ELi20ELb1E19rocblas_complex_numIfES1_PKS1_PS1_Ev13rocblas_fill_18rocblas_operation_17rocblas_diagonal_iiT3_T4_lilT5_lili
; %bb.0:
	s_load_b32 s30, s[0:1], 0x60
	s_bfe_u32 s2, ttmp6, 0x40014
	s_lshr_b32 s4, ttmp7, 16
	s_add_co_i32 s2, s2, 1
	s_bfe_u32 s5, ttmp6, 0x40008
	s_mul_i32 s2, s4, s2
	s_getreg_b32 s3, hwreg(HW_REG_IB_STS2, 6, 4)
	s_add_co_i32 s5, s5, s2
	s_cmp_eq_u32 s3, 0
	s_mov_b32 s19, 0
	s_cselect_b32 s2, s4, s5
	s_wait_kmcnt 0x0
	s_cmp_ge_u32 s2, s30
	s_cbranch_scc1 .LBB155_86
; %bb.1:
	s_clause 0x7
	s_load_b32 s24, s[0:1], 0x30
	s_load_b96 s[16:18], s[0:1], 0x48
	s_load_b128 s[4:7], s[0:1], 0x4
	s_load_b32 s26, s[0:1], 0x68
	s_load_b128 s[12:15], s[0:1], 0x20
	s_load_b128 s[8:11], s[0:1], 0x38
	s_load_b64 s[20:21], s[0:1], 0x58
	s_load_b64 s[22:23], s[0:1], 0x14
	v_dual_mov_b32 v1, 0 :: v_dual_lshlrev_b32 v2, 3, v0
	v_mul_u32_u24_e32 v6, 0xa0, v0
	v_mov_b64_e32 v[4:5], 0xbf80000000000000
	v_mov_b64_e32 v[12:13], 0x3f800000
	s_delay_alu instid0(VALU_DEP_4) | instskip(NEXT) | instid1(VALU_DEP_4)
	v_dual_mov_b32 v3, v1 :: v_dual_add_nc_u32 v22, 0xc80, v2
	v_add_nc_u32_e32 v23, v2, v6
	s_wait_kmcnt 0x0
	s_ashr_i32 s25, s24, 31
	s_ashr_i32 s27, s18, 31
	s_cmp_lg_u32 s4, 0x71
	s_cselect_b32 s1, -1, 0
	s_bfe_u32 s0, ttmp6, 0x4000c
	s_min_i32 s31, s6, 20
	s_add_co_i32 s0, s0, 1
	s_and_b32 s28, ttmp6, 15
	s_mul_i32 s0, ttmp9, s0
	s_lshl_b64 s[16:17], s[16:17], 3
	s_add_co_i32 s26, s26, -1
	s_add_co_i32 s33, s31, -1
	s_add_co_i32 s28, s28, s0
	s_cmp_eq_u32 s3, 0
	s_add_nc_u64 s[16:17], s[10:11], s[16:17]
	s_cselect_b32 s0, ttmp9, s28
	s_delay_alu instid0(SALU_CYCLE_1)
	s_mul_i32 s3, s0, 0xffffffec
	s_mul_i32 s28, s0, 20
	s_add_co_i32 s3, s7, s3
	s_cmp_ge_u32 s0, s26
	s_mov_b32 s26, s18
	s_cselect_b32 s0, s3, 20
	s_ashr_i32 s29, s28, 31
	v_mul_u64_e32 v[8:9], s[26:27], v[0:1]
	v_lshl_add_u64 v[10:11], s[28:29], 3, v[2:3]
	s_mul_u64 s[10:11], s[26:27], s[28:29]
	v_cmp_gt_i32_e32 vcc_lo, s0, v0
	s_lshl_b64 s[28:29], s[10:11], 3
	s_cmp_lg_u32 s5, 0x84
	v_mad_nc_u64_u32 v[6:7], v10, s18, s[16:17]
	s_cselect_b32 s34, -1, 0
	s_cmp_gt_i32 s6, 0
	s_mov_b32 s10, s22
	s_cselect_b32 s0, -1, 0
	s_cmp_lg_u32 s4, 0x6f
	s_mov_b32 s11, s22
	s_cselect_b32 s35, -1, 0
	s_and_b32 s36, vcc_lo, s0
	s_cmp_gt_i32 s6, 1
	v_cmp_gt_i32_e64 s0, s31, v0
	v_mad_u32 v1, v11, s18, v7
	s_cselect_b32 s37, -1, 0
	s_and_b32 s38, s31, 30
	s_mov_b32 s4, s23
	s_cmp_lg_u32 s31, s38
	s_mov_b32 s5, s23
	s_cselect_b32 s39, -1, 0
	s_lshl_b64 s[6:7], s[14:15], 3
	s_lshl_b32 s41, s31, 3
	s_add_nc_u64 s[12:13], s[12:13], s[6:7]
	s_mov_b32 s6, s23
	v_mad_u32 v7, v10, s27, v1
	v_add_nc_u64_e32 v[10:11], s[12:13], v[2:3]
	s_mov_b32 s7, s22
	s_add_nc_u64 s[12:13], s[16:17], s[28:29]
	s_lshl_b64 s[8:9], s[8:9], 3
	s_lshl_b64 s[14:15], s[24:25], 3
	;; [unrolled: 1-line block ×3, first 2 shown]
	s_or_b32 s40, 0, 8
	v_add_nc_u64_e32 v[0:1], 4, v[10:11]
	s_add_co_i32 s41, s41, -8
	s_get_pc_i64 s[24:25]
	s_add_nc_u64 s[24:25], s[24:25], __const._ZL38rocblas_trsm_small_left_device_sharedBILi20ELi20ELb1E19rocblas_complex_numIfES1_PKS1_PS1_Ev13rocblas_fill_18rocblas_operation_17rocblas_diagonal_iiT3_T4_lilT5_lili.step_sizes@rel64+4
	v_add_nc_u64_e32 v[10:11], 4, v[6:7]
	s_branch .LBB155_3
.LBB155_2:                              ;   in Loop: Header=BB155_3 Depth=1
	s_or_b32 exec_lo, exec_lo, s3
	s_add_co_i32 s2, s2, 0x10000
	s_delay_alu instid0(SALU_CYCLE_1)
	s_cmp_lt_u32 s2, s30
	s_cbranch_scc0 .LBB155_86
.LBB155_3:                              ; =>This Loop Header: Depth=1
                                        ;     Child Loop BB155_6 Depth 2
                                        ;     Child Loop BB155_21 Depth 2
	;; [unrolled: 1-line block ×4, first 2 shown]
                                        ;       Child Loop BB155_32 Depth 3
                                        ;         Child Loop BB155_33 Depth 4
                                        ;         Child Loop BB155_37 Depth 4
                                        ;           Child Loop BB155_39 Depth 5
                                        ;           Child Loop BB155_45 Depth 5
                                        ;         Child Loop BB155_48 Depth 4
                                        ;           Child Loop BB155_50 Depth 5
                                        ;     Child Loop BB155_58 Depth 2
                                        ;       Child Loop BB155_61 Depth 3
                                        ;         Child Loop BB155_62 Depth 4
                                        ;         Child Loop BB155_66 Depth 4
                                        ;           Child Loop BB155_68 Depth 5
                                        ;           Child Loop BB155_74 Depth 5
                                        ;         Child Loop BB155_77 Depth 4
                                        ;           Child Loop BB155_79 Depth 5
                                        ;     Child Loop BB155_85 Depth 2
	s_mov_b32 s3, s19
	s_and_saveexec_b32 s18, s0
	s_cbranch_execz .LBB155_18
; %bb.4:                                ;   in Loop: Header=BB155_3 Depth=1
	v_mad_nc_u64_u32 v[14:15], s8, s2, v[0:1]
	v_mov_b32_e32 v3, v2
	s_mov_b32 s26, s31
	s_delay_alu instid0(VALU_DEP_2)
	v_mad_u32 v15, s9, s2, v15
	s_branch .LBB155_6
.LBB155_5:                              ;   in Loop: Header=BB155_6 Depth=2
	global_load_b32 v16, v[14:15], off offset:-4
	s_wait_xcnt 0x0
	v_add_nc_u64_e32 v[14:15], s[14:15], v[14:15]
	s_add_co_i32 s26, s26, -1
	s_delay_alu instid0(SALU_CYCLE_1)
	s_cmp_eq_u32 s26, 0
	s_wait_loadcnt 0x0
	ds_store_b64 v3, v[16:17]
	v_add_nc_u32_e32 v3, 0xa0, v3
	s_cbranch_scc1 .LBB155_10
.LBB155_6:                              ;   Parent Loop BB155_3 Depth=1
                                        ; =>  This Inner Loop Header: Depth=2
	s_and_b32 vcc_lo, exec_lo, s1
	s_mov_b32 s27, -1
                                        ; implicit-def: $vgpr17
	s_cbranch_vccz .LBB155_8
; %bb.7:                                ;   in Loop: Header=BB155_6 Depth=2
	global_load_b32 v17, v[14:15], off
	s_mov_b32 s27, 0
.LBB155_8:                              ;   in Loop: Header=BB155_6 Depth=2
	s_delay_alu instid0(SALU_CYCLE_1)
	s_and_not1_b32 vcc_lo, exec_lo, s27
	s_cbranch_vccnz .LBB155_5
; %bb.9:                                ;   in Loop: Header=BB155_6 Depth=2
	global_load_b32 v16, v[14:15], off
	s_wait_loadcnt 0x0
	v_xor_b32_e32 v17, 0x80000000, v16
	s_branch .LBB155_5
.LBB155_10:                             ;   in Loop: Header=BB155_3 Depth=1
	s_and_b32 vcc_lo, exec_lo, s34
	s_mov_b32 s26, -1
	s_cbranch_vccz .LBB155_16
; %bb.11:                               ;   in Loop: Header=BB155_3 Depth=1
	ds_load_b64 v[14:15], v23
                                        ; implicit-def: $vgpr16_vgpr17
	s_wait_dscnt 0x0
	v_cmp_ngt_f32_e64 s26, |v14|, |v15|
	s_and_saveexec_b32 s27, s26
	s_delay_alu instid0(SALU_CYCLE_1)
	s_xor_b32 s26, exec_lo, s27
	s_cbranch_execz .LBB155_13
; %bb.12:                               ;   in Loop: Header=BB155_3 Depth=1
	v_div_scale_f32 v3, null, v15, v15, v14
	v_div_scale_f32 v18, vcc_lo, v14, v15, v14
	s_delay_alu instid0(VALU_DEP_2) | instskip(SKIP_1) | instid1(TRANS32_DEP_1)
	v_rcp_f32_e32 v16, v3
	v_nop
	v_fma_f32 v17, -v3, v16, 1.0
	s_delay_alu instid0(VALU_DEP_1) | instskip(NEXT) | instid1(VALU_DEP_1)
	v_fmac_f32_e32 v16, v17, v16
	v_mul_f32_e32 v17, v18, v16
	s_delay_alu instid0(VALU_DEP_1) | instskip(NEXT) | instid1(VALU_DEP_1)
	v_fma_f32 v19, -v3, v17, v18
	v_fmac_f32_e32 v17, v19, v16
	s_delay_alu instid0(VALU_DEP_1) | instskip(NEXT) | instid1(VALU_DEP_1)
	v_fma_f32 v3, -v3, v17, v18
	v_div_fmas_f32 v3, v3, v16, v17
	s_delay_alu instid0(VALU_DEP_1) | instskip(NEXT) | instid1(VALU_DEP_1)
	v_div_fixup_f32 v16, v3, v15, v14
	v_fmac_f32_e32 v15, v14, v16
	s_delay_alu instid0(VALU_DEP_1) | instskip(SKIP_1) | instid1(VALU_DEP_2)
	v_div_scale_f32 v3, null, v15, v15, 1.0
	v_div_scale_f32 v18, vcc_lo, 1.0, v15, 1.0
	v_rcp_f32_e32 v14, v3
	v_nop
	s_delay_alu instid0(TRANS32_DEP_1) | instskip(NEXT) | instid1(VALU_DEP_1)
	v_fma_f32 v17, -v3, v14, 1.0
	v_fmac_f32_e32 v14, v17, v14
	s_delay_alu instid0(VALU_DEP_1) | instskip(NEXT) | instid1(VALU_DEP_1)
	v_mul_f32_e32 v17, v18, v14
	v_fma_f32 v19, -v3, v17, v18
	s_delay_alu instid0(VALU_DEP_1) | instskip(NEXT) | instid1(VALU_DEP_1)
	v_fmac_f32_e32 v17, v19, v14
	v_fma_f32 v3, -v3, v17, v18
	s_delay_alu instid0(VALU_DEP_1) | instskip(SKIP_1) | instid1(VALU_DEP_2)
	v_div_fmas_f32 v3, v3, v14, v17
	v_mul_f32_e32 v17, 0, v16
	v_div_fixup_f32 v14, v3, v15, 1.0
	s_delay_alu instid0(VALU_DEP_2) | instskip(NEXT) | instid1(VALU_DEP_1)
	v_pk_add_f32 v[16:17], v[16:17], v[4:5]
	v_pk_mul_f32 v[16:17], v[16:17], v[14:15] op_sel_hi:[1,0]
                                        ; implicit-def: $vgpr14_vgpr15
.LBB155_13:                             ;   in Loop: Header=BB155_3 Depth=1
	s_and_not1_saveexec_b32 s26, s26
	s_cbranch_execz .LBB155_15
; %bb.14:                               ;   in Loop: Header=BB155_3 Depth=1
	v_div_scale_f32 v3, null, v14, v14, v15
	v_div_scale_f32 v18, vcc_lo, v15, v14, v15
	s_delay_alu instid0(VALU_DEP_2) | instskip(SKIP_1) | instid1(TRANS32_DEP_1)
	v_rcp_f32_e32 v16, v3
	v_nop
	v_fma_f32 v17, -v3, v16, 1.0
	s_delay_alu instid0(VALU_DEP_1) | instskip(NEXT) | instid1(VALU_DEP_1)
	v_fmac_f32_e32 v16, v17, v16
	v_mul_f32_e32 v17, v18, v16
	s_delay_alu instid0(VALU_DEP_1) | instskip(NEXT) | instid1(VALU_DEP_1)
	v_fma_f32 v19, -v3, v17, v18
	v_fmac_f32_e32 v17, v19, v16
	s_delay_alu instid0(VALU_DEP_1) | instskip(NEXT) | instid1(VALU_DEP_1)
	v_fma_f32 v3, -v3, v17, v18
	v_div_fmas_f32 v3, v3, v16, v17
	s_delay_alu instid0(VALU_DEP_1) | instskip(NEXT) | instid1(VALU_DEP_1)
	v_div_fixup_f32 v3, v3, v14, v15
	v_fmac_f32_e32 v14, v15, v3
	s_delay_alu instid0(VALU_DEP_1) | instskip(SKIP_1) | instid1(VALU_DEP_2)
	v_div_scale_f32 v15, null, v14, v14, 1.0
	v_div_scale_f32 v18, vcc_lo, 1.0, v14, 1.0
	v_rcp_f32_e32 v16, v15
	v_nop
	s_delay_alu instid0(TRANS32_DEP_1) | instskip(NEXT) | instid1(VALU_DEP_1)
	v_fma_f32 v17, -v15, v16, 1.0
	v_fmac_f32_e32 v16, v17, v16
	s_delay_alu instid0(VALU_DEP_1) | instskip(NEXT) | instid1(VALU_DEP_1)
	v_mul_f32_e32 v17, v18, v16
	v_fma_f32 v19, -v15, v17, v18
	s_delay_alu instid0(VALU_DEP_1) | instskip(NEXT) | instid1(VALU_DEP_1)
	v_fmac_f32_e32 v17, v19, v16
	v_dual_fma_f32 v15, -v15, v17, v18 :: v_dual_mul_f32 v18, 0, v3
	s_delay_alu instid0(VALU_DEP_1) | instskip(NEXT) | instid1(VALU_DEP_2)
	v_div_fmas_f32 v15, v15, v16, v17
	v_dual_add_f32 v16, 1.0, v18 :: v_dual_sub_f32 v17, 0, v3
	s_delay_alu instid0(VALU_DEP_2) | instskip(NEXT) | instid1(VALU_DEP_1)
	v_div_fixup_f32 v14, v15, v14, 1.0
	v_pk_mul_f32 v[16:17], v[16:17], v[14:15] op_sel_hi:[1,0]
.LBB155_15:                             ;   in Loop: Header=BB155_3 Depth=1
	s_or_b32 exec_lo, exec_lo, s26
	s_mov_b32 s26, 0
	ds_store_b64 v23, v[16:17]
.LBB155_16:                             ;   in Loop: Header=BB155_3 Depth=1
	s_and_b32 vcc_lo, exec_lo, s26
	s_cbranch_vccz .LBB155_18
; %bb.17:                               ;   in Loop: Header=BB155_3 Depth=1
	ds_store_b64 v23, v[12:13]
.LBB155_18:                             ;   in Loop: Header=BB155_3 Depth=1
	s_or_b32 exec_lo, exec_lo, s18
	s_mul_u64 s[26:27], s[16:17], s[2:3]
	s_and_saveexec_b32 s42, s36
	s_cbranch_execz .LBB155_26
; %bb.19:                               ;   in Loop: Header=BB155_3 Depth=1
	s_and_not1_b32 vcc_lo, exec_lo, s37
	s_cbranch_vccnz .LBB155_23
; %bb.20:                               ;   in Loop: Header=BB155_3 Depth=1
	s_mul_u64 s[28:29], s[20:21], s[2:3]
	s_mov_b32 s18, 0
	s_lshl_b64 s[28:29], s[28:29], 3
	s_mov_b32 s3, s38
	s_add_nc_u64 s[28:29], s[12:13], s[28:29]
	s_delay_alu instid0(SALU_CYCLE_1)
	v_lshl_add_u64 v[14:15], v[8:9], 3, s[28:29]
	s_mov_b32 s28, 1
.LBB155_21:                             ;   Parent Loop BB155_3 Depth=1
                                        ; =>  This Inner Loop Header: Depth=2
	s_mov_b32 s29, s19
	s_delay_alu instid0(VALU_DEP_1)
	v_lshl_add_u64 v[16:17], s[18:19], 3, v[14:15]
	v_lshl_add_u64 v[18:19], s[28:29], 3, v[14:15]
	v_mad_u32 v3, 0xa0, s18, v22
	v_mad_u32 v28, 0xa0, s28, v22
	s_add_co_i32 s3, s3, -2
	s_clause 0x1
	global_load_b64 v[20:21], v[16:17], off
	global_load_b64 v[24:25], v[18:19], off
	s_wait_xcnt 0x1
	v_mov_b64_e32 v[16:17], s[4:5]
	s_wait_xcnt 0x0
	v_mov_b64_e32 v[18:19], s[10:11]
	s_add_co_i32 s18, s18, 2
	s_add_co_i32 s28, s28, 2
	s_mov_b32 s29, s38
	s_mov_b32 s43, s39
	s_cmp_lg_u32 s3, 0
	s_wait_loadcnt 0x0
	v_dual_mov_b32 v26, v20 :: v_dual_mov_b32 v27, v24
	v_mov_b32_e32 v24, v21
	s_delay_alu instid0(VALU_DEP_1) | instskip(SKIP_1) | instid1(VALU_DEP_2)
	v_pk_mul_f32 v[20:21], v[16:17], v[24:25]
	v_pk_mul_f32 v[24:25], v[18:19], v[24:25]
	v_pk_fma_f32 v[18:19], v[18:19], v[26:27], v[20:21] neg_lo:[0,0,1] neg_hi:[0,0,1]
	s_delay_alu instid0(VALU_DEP_2)
	v_pk_fma_f32 v[16:17], v[16:17], v[26:27], v[24:25]
	ds_store_b32 v3, v18
	ds_store_b32 v28, v19
	ds_store_b32 v3, v16 offset:4
	ds_store_b32 v28, v17 offset:4
	s_cbranch_scc1 .LBB155_21
; %bb.22:                               ;   in Loop: Header=BB155_3 Depth=1
	s_and_b32 vcc_lo, exec_lo, s43
	s_cbranch_vccnz .LBB155_24
	s_branch .LBB155_26
.LBB155_23:                             ;   in Loop: Header=BB155_3 Depth=1
	s_mov_b32 s29, 0
	s_cbranch_execz .LBB155_26
.LBB155_24:                             ;   in Loop: Header=BB155_3 Depth=1
	s_lshl_b32 s18, s29, 3
	v_mad_u32 v3, 0xa0, s29, v22
	s_add_nc_u64 s[44:45], s[26:27], s[18:19]
	s_sub_co_i32 s3, s31, s29
	v_add_nc_u64_e32 v[14:15], s[44:45], v[10:11]
.LBB155_25:                             ;   Parent Loop BB155_3 Depth=1
                                        ; =>  This Inner Loop Header: Depth=2
	global_load_b64 v[16:17], v[14:15], off offset:-4
	v_mov_b64_e32 v[18:19], s[6:7]
	v_mov_b64_e32 v[20:21], s[22:23]
	s_wait_xcnt 0x0
	v_add_nc_u64_e32 v[14:15], 8, v[14:15]
	s_add_co_i32 s3, s3, -1
	s_delay_alu instid0(SALU_CYCLE_1) | instskip(SKIP_2) | instid1(VALU_DEP_1)
	s_cmp_lg_u32 s3, 0
	s_wait_loadcnt 0x0
	v_pk_mul_f32 v[18:19], v[18:19], v[16:17] op_sel:[0,1]
	v_pk_fma_f32 v[24:25], v[20:21], v[16:17], v[18:19] op_sel_hi:[1,0,1]
	v_pk_fma_f32 v[16:17], v[20:21], v[16:17], v[18:19] neg_lo:[0,0,1] neg_hi:[0,0,1]
	s_delay_alu instid0(VALU_DEP_2)
	v_mov_b32_e32 v17, v25
	ds_store_b64 v3, v[16:17]
	v_add_nc_u32_e32 v3, 0xa0, v3
	s_cbranch_scc1 .LBB155_25
.LBB155_26:                             ;   in Loop: Header=BB155_3 Depth=1
	s_or_b32 exec_lo, exec_lo, s42
	s_delay_alu instid0(SALU_CYCLE_1)
	s_and_not1_b32 vcc_lo, exec_lo, s35
	s_mov_b32 s3, -1
	s_wait_dscnt 0x0
	; wave barrier
	s_cbranch_vccnz .LBB155_55
; %bb.27:                               ;   in Loop: Header=BB155_3 Depth=1
	s_mov_b32 s18, 0
	s_mov_b32 s3, s33
	s_branch .LBB155_29
.LBB155_28:                             ;   in Loop: Header=BB155_29 Depth=2
	s_cmp_gt_i32 s3, -1
	s_cselect_b32 s28, -1, 0
	s_add_co_i32 s29, s18, 1
	s_cmp_lt_u32 s18, 2
	s_wait_xcnt 0x0
	s_cselect_b32 s18, -1, 0
	s_delay_alu instid0(SALU_CYCLE_1) | instskip(NEXT) | instid1(SALU_CYCLE_1)
	s_and_b32 s18, s28, s18
	s_and_b32 vcc_lo, exec_lo, s18
	s_mov_b32 s18, s29
	s_cbranch_vccz .LBB155_54
.LBB155_29:                             ;   Parent Loop BB155_3 Depth=1
                                        ; =>  This Loop Header: Depth=2
                                        ;       Child Loop BB155_32 Depth 3
                                        ;         Child Loop BB155_33 Depth 4
                                        ;         Child Loop BB155_37 Depth 4
                                        ;           Child Loop BB155_39 Depth 5
                                        ;           Child Loop BB155_45 Depth 5
                                        ;         Child Loop BB155_48 Depth 4
                                        ;           Child Loop BB155_50 Depth 5
	s_load_b32 s28, s[24:25], s18 offset:0x0 scale_offset
	s_wait_kmcnt 0x0
	s_add_co_i32 s29, s28, -1
	s_delay_alu instid0(SALU_CYCLE_1)
	s_cmp_lt_i32 s3, s29
	s_cbranch_scc1 .LBB155_28
; %bb.30:                               ;   in Loop: Header=BB155_29 Depth=2
	s_max_i32 s42, s28, 1
	s_cmp_lg_u32 s18, 2
	s_mul_i32 s47, s3, 0xa0
	s_cselect_b32 s43, -1, 0
	s_and_b32 s44, s42, 0x7ffffffe
	v_add_nc_u32_e32 v3, s47, v22
	s_cmp_lg_u32 s42, s44
	s_mul_i32 s46, s28, 0xffffff60
	s_cselect_b32 s45, -1, 0
	s_add_co_i32 s47, s41, s47
	s_mul_i32 s48, s3, 0xa8
	s_mul_i32 s49, s28, 0xffffff58
	s_branch .LBB155_32
.LBB155_31:                             ;   in Loop: Header=BB155_32 Depth=3
	v_add_nc_u32_e32 v3, s46, v3
	s_sub_co_i32 s3, s3, s28
	s_add_co_i32 s47, s47, s46
	s_add_co_i32 s48, s48, s49
	s_cmp_lt_i32 s3, s29
	s_cbranch_scc1 .LBB155_28
.LBB155_32:                             ;   Parent Loop BB155_3 Depth=1
                                        ;     Parent Loop BB155_29 Depth=2
                                        ; =>    This Loop Header: Depth=3
                                        ;         Child Loop BB155_33 Depth 4
                                        ;         Child Loop BB155_37 Depth 4
                                        ;           Child Loop BB155_39 Depth 5
                                        ;           Child Loop BB155_45 Depth 5
                                        ;         Child Loop BB155_48 Depth 4
                                        ;           Child Loop BB155_50 Depth 5
	s_wait_xcnt 0x0
	v_mov_b32_e32 v14, v3
	s_mov_b32 s50, 0
	s_mov_b32 s51, s42
.LBB155_33:                             ;   Parent Loop BB155_3 Depth=1
                                        ;     Parent Loop BB155_29 Depth=2
                                        ;       Parent Loop BB155_32 Depth=3
                                        ; =>      This Inner Loop Header: Depth=4
	ds_load_b64 v[16:17], v14
	v_add_nc_u32_e32 v14, 0xffffff60, v14
	s_add_co_i32 s51, s51, -1
	s_wait_dscnt 0x0
	scratch_store_b64 off, v[16:17], s50
	s_wait_xcnt 0x0
	s_add_co_i32 s50, s50, 8
	s_cmp_eq_u32 s51, 0
	s_cbranch_scc0 .LBB155_33
; %bb.34:                               ;   in Loop: Header=BB155_32 Depth=3
	s_cmp_le_i32 s33, s3
	s_cbranch_scc1 .LBB155_46
; %bb.35:                               ;   in Loop: Header=BB155_32 Depth=3
	s_mov_b32 s50, s3
	s_mov_b32 s51, s47
	s_mov_b32 s52, s33
	s_branch .LBB155_37
.LBB155_36:                             ;   in Loop: Header=BB155_37 Depth=4
	s_add_co_i32 s52, s52, -1
	s_add_co_i32 s51, s51, -8
	s_cmp_le_i32 s52, s3
	s_cbranch_scc1 .LBB155_46
.LBB155_37:                             ;   Parent Loop BB155_3 Depth=1
                                        ;     Parent Loop BB155_29 Depth=2
                                        ;       Parent Loop BB155_32 Depth=3
                                        ; =>      This Loop Header: Depth=4
                                        ;           Child Loop BB155_39 Depth 5
                                        ;           Child Loop BB155_45 Depth 5
	v_mad_u32 v14, 0xa0, s52, v22
	s_and_b32 vcc_lo, exec_lo, s43
	ds_load_b64 v[14:15], v14
	s_cbranch_vccz .LBB155_41
; %bb.38:                               ;   in Loop: Header=BB155_37 Depth=4
	s_wait_dscnt 0x0
	v_dual_mov_b32 v18, v14 :: v_dual_mov_b32 v19, v14
	v_dual_mov_b32 v16, v15 :: v_dual_mov_b32 v20, v15
	v_mov_b32_e32 v21, v15
	s_lshl_b32 s53, s52, 3
	s_mov_b32 s54, 1
	s_mov_b32 s55, 0
	;; [unrolled: 1-line block ×4, first 2 shown]
.LBB155_39:                             ;   Parent Loop BB155_3 Depth=1
                                        ;     Parent Loop BB155_29 Depth=2
                                        ;       Parent Loop BB155_32 Depth=3
                                        ;         Parent Loop BB155_37 Depth=4
                                        ; =>        This Inner Loop Header: Depth=5
	scratch_load_b128 v[24:27], off, s57 offset:-8
	s_sub_co_i32 s58, s50, s54
	s_sub_co_i32 s59, s3, s55
	s_mulk_i32 s58, 0xa0
	s_mulk_i32 s59, 0xa0
	s_add_co_i32 s58, s53, s58
	s_add_co_i32 s59, s53, s59
	s_delay_alu instid0(SALU_CYCLE_1)
	v_dual_mov_b32 v17, s58 :: v_dual_mov_b32 v30, s59
	s_add_co_i32 s56, s56, -2
	s_add_co_i32 s55, s55, 2
	ds_load_b64 v[28:29], v17
	ds_load_b64 v[30:31], v30
	s_add_co_i32 s54, s54, 2
	s_wait_dscnt 0x0
	v_dual_mov_b32 v33, v28 :: v_dual_mov_b32 v28, v31
	v_mov_b32_e32 v32, v30
	s_delay_alu instid0(VALU_DEP_2) | instskip(SKIP_1) | instid1(VALU_DEP_2)
	v_pk_mul_f32 v[30:31], v[28:29], v[20:21]
	v_pk_mul_f32 v[28:29], v[28:29], v[18:19]
	v_pk_fma_f32 v[30:31], v[32:33], v[18:19], v[30:31] neg_lo:[0,0,1] neg_hi:[0,0,1]
	s_delay_alu instid0(VALU_DEP_2) | instskip(SKIP_3) | instid1(VALU_DEP_2)
	v_pk_fma_f32 v[28:29], v[32:33], v[20:21], v[28:29]
	s_wait_loadcnt 0x0
	v_dual_mov_b32 v32, v24 :: v_dual_mov_b32 v33, v26
	v_mov_b32_e32 v26, v25
	v_pk_add_f32 v[30:31], v[32:33], v[30:31] neg_lo:[0,1] neg_hi:[0,1]
	s_delay_alu instid0(VALU_DEP_2) | instskip(NEXT) | instid1(VALU_DEP_1)
	v_pk_add_f32 v[26:27], v[26:27], v[28:29] neg_lo:[0,1] neg_hi:[0,1]
	v_dual_mov_b32 v24, v30 :: v_dual_mov_b32 v25, v26
	s_delay_alu instid0(VALU_DEP_3)
	v_mov_b32_e32 v26, v31
	scratch_store_b128 off, v[24:27], s57 offset:-8
	s_wait_xcnt 0x0
	s_add_co_i32 s57, s57, 16
	s_cmp_lg_u32 s56, 0
	s_cbranch_scc1 .LBB155_39
; %bb.40:                               ;   in Loop: Header=BB155_37 Depth=4
	s_mov_b32 s53, s45
	s_mov_b32 s54, s44
	s_branch .LBB155_43
.LBB155_41:                             ;   in Loop: Header=BB155_37 Depth=4
	s_wait_dscnt 0x0
	v_mov_b32_e32 v16, v15
	s_mov_b32 s53, 0
	s_mov_b32 s54, s44
	s_cbranch_execz .LBB155_43
; %bb.42:                               ;   in Loop: Header=BB155_37 Depth=4
	s_mov_b32 s53, -1
	s_mov_b32 s54, 0
.LBB155_43:                             ;   in Loop: Header=BB155_37 Depth=4
	s_and_not1_b32 vcc_lo, exec_lo, s53
	s_cbranch_vccnz .LBB155_36
; %bb.44:                               ;   in Loop: Header=BB155_37 Depth=4
	v_dual_mov_b32 v17, v15 :: v_dual_mov_b32 v15, v14
	s_mul_i32 s55, s54, 0xffffff60
	s_lshl_b32 s56, s54, 3
	s_sub_co_i32 s53, s42, s54
	s_add_co_i32 s54, s51, s55
	s_mov_b32 s55, s56
.LBB155_45:                             ;   Parent Loop BB155_3 Depth=1
                                        ;     Parent Loop BB155_29 Depth=2
                                        ;       Parent Loop BB155_32 Depth=3
                                        ;         Parent Loop BB155_37 Depth=4
                                        ; =>        This Inner Loop Header: Depth=5
	scratch_load_b64 v[18:19], off, s55
	v_mov_b32_e32 v20, s54
	s_add_co_i32 s53, s53, -1
	s_addk_co_i32 s54, 0xff60
	ds_load_b64 v[20:21], v20
	s_wait_dscnt 0x0
	v_pk_mul_f32 v[24:25], v[20:21], v[16:17] op_sel:[1,0] op_sel_hi:[0,1]
	s_delay_alu instid0(VALU_DEP_1) | instskip(SKIP_1) | instid1(VALU_DEP_2)
	v_pk_fma_f32 v[26:27], v[20:21], v[14:15], v[24:25]
	v_pk_fma_f32 v[20:21], v[20:21], v[14:15], v[24:25] neg_lo:[0,0,1] neg_hi:[0,0,1]
	v_mov_b32_e32 v21, v27
	s_wait_loadcnt 0x0
	s_delay_alu instid0(VALU_DEP_1)
	v_pk_add_f32 v[18:19], v[18:19], v[20:21] neg_lo:[0,1] neg_hi:[0,1]
	scratch_store_b64 off, v[18:19], s55
	s_wait_xcnt 0x0
	s_add_co_i32 s55, s55, 8
	s_cmp_eq_u32 s53, 0
	s_cbranch_scc0 .LBB155_45
	s_branch .LBB155_36
.LBB155_46:                             ;   in Loop: Header=BB155_32 Depth=3
	s_mul_i32 s50, s3, 0xa0
	s_mov_b32 s51, 0
	s_mov_b32 s52, s48
	s_branch .LBB155_48
.LBB155_47:                             ;   in Loop: Header=BB155_48 Depth=4
	s_wait_xcnt 0x0
	s_mulk_i32 s54, 0xa8
	s_addk_co_i32 s52, 0xff60
	v_mov_b32_e32 v15, s54
	s_lshl_b32 s54, s51, 3
	s_add_co_i32 s51, s51, 1
	s_delay_alu instid0(SALU_CYCLE_1) | instskip(SKIP_3) | instid1(VALU_DEP_1)
	s_cmp_eq_u32 s51, s42
	ds_load_b64 v[18:19], v15
	s_wait_dscnt 0x0
	v_pk_mul_f32 v[16:17], v[18:19], v[16:17] op_sel:[1,0] op_sel_hi:[0,0]
	v_pk_fma_f32 v[20:21], v[18:19], v[14:15], v[16:17] op_sel_hi:[1,0,1]
	v_add_nc_u32_e32 v20, s53, v22
	v_pk_fma_f32 v[14:15], v[18:19], v[14:15], v[16:17] neg_lo:[0,0,1] neg_hi:[0,0,1]
	s_delay_alu instid0(VALU_DEP_3)
	v_mov_b32_e32 v15, v21
	scratch_store_b64 off, v[14:15], s54
	ds_store_b64 v20, v[14:15]
	s_cbranch_scc1 .LBB155_31
.LBB155_48:                             ;   Parent Loop BB155_3 Depth=1
                                        ;     Parent Loop BB155_29 Depth=2
                                        ;       Parent Loop BB155_32 Depth=3
                                        ; =>      This Loop Header: Depth=4
                                        ;           Child Loop BB155_50 Depth 5
	s_cmp_lg_u32 s51, 0
	s_cbranch_scc0 .LBB155_52
; %bb.49:                               ;   in Loop: Header=BB155_48 Depth=4
	s_lshl_b32 s53, s51, 3
	s_wait_xcnt 0x0
	s_mov_b32 s54, 0
	scratch_load_b64 v[14:15], off, s53
	s_mov_b32 s55, s52
	s_mov_b32 s56, s51
.LBB155_50:                             ;   Parent Loop BB155_3 Depth=1
                                        ;     Parent Loop BB155_29 Depth=2
                                        ;       Parent Loop BB155_32 Depth=3
                                        ;         Parent Loop BB155_48 Depth=4
                                        ; =>        This Inner Loop Header: Depth=5
	scratch_load_b64 v[16:17], off, s54
	v_mov_b32_e32 v18, s55
	s_add_co_i32 s56, s56, -1
	s_add_co_i32 s55, s55, -8
	s_wait_xcnt 0x0
	s_add_co_i32 s54, s54, 8
	s_cmp_eq_u32 s56, 0
	ds_load_b64 v[18:19], v18
	s_wait_loadcnt_dscnt 0x0
	v_pk_mul_f32 v[20:21], v[18:19], v[16:17] op_sel:[1,1] op_sel_hi:[0,1]
	s_delay_alu instid0(VALU_DEP_1) | instskip(SKIP_1) | instid1(VALU_DEP_2)
	v_pk_fma_f32 v[24:25], v[18:19], v[16:17], v[20:21] op_sel_hi:[1,0,1]
	v_pk_fma_f32 v[16:17], v[18:19], v[16:17], v[20:21] neg_lo:[0,0,1] neg_hi:[0,0,1]
	v_mov_b32_e32 v17, v25
	s_delay_alu instid0(VALU_DEP_1)
	v_pk_add_f32 v[14:15], v[14:15], v[16:17] neg_lo:[0,1] neg_hi:[0,1]
	scratch_store_b64 off, v[14:15], s53
	s_cbranch_scc0 .LBB155_50
; %bb.51:                               ;   in Loop: Header=BB155_48 Depth=4
	v_mov_b32_e32 v16, v15
	s_sub_co_i32 s54, s3, s51
	s_wait_xcnt 0x0
	s_mul_i32 s53, s54, 0xa0
	s_branch .LBB155_47
.LBB155_52:                             ;   in Loop: Header=BB155_48 Depth=4
                                        ; implicit-def: $vgpr14
                                        ; implicit-def: $vgpr16
                                        ; implicit-def: $sgpr54
                                        ; implicit-def: $sgpr53
	s_cbranch_execz .LBB155_47
; %bb.53:                               ;   in Loop: Header=BB155_48 Depth=4
	scratch_load_b64 v[14:15], off, off
	s_mov_b32 s53, s50
	s_mov_b32 s54, s3
	s_wait_loadcnt 0x0
	v_mov_b32_e32 v16, v15
	s_branch .LBB155_47
.LBB155_54:                             ;   in Loop: Header=BB155_3 Depth=1
	s_mov_b32 s3, 0
.LBB155_55:                             ;   in Loop: Header=BB155_3 Depth=1
	s_delay_alu instid0(SALU_CYCLE_1)
	s_and_b32 vcc_lo, exec_lo, s3
	s_cbranch_vccz .LBB155_83
; %bb.56:                               ;   in Loop: Header=BB155_3 Depth=1
	s_mov_b32 s18, 0
	s_mov_b32 s3, 0
	s_branch .LBB155_58
.LBB155_57:                             ;   in Loop: Header=BB155_58 Depth=2
	s_cmp_lt_i32 s3, s31
	s_cselect_b32 s28, -1, 0
	s_add_co_i32 s29, s18, 1
	s_cmp_lt_u32 s18, 2
	s_wait_xcnt 0x0
	s_cselect_b32 s18, -1, 0
	s_delay_alu instid0(SALU_CYCLE_1) | instskip(NEXT) | instid1(SALU_CYCLE_1)
	s_and_b32 s18, s28, s18
	s_and_not1_b32 vcc_lo, exec_lo, s18
	s_mov_b32 s18, s29
	s_cbranch_vccnz .LBB155_83
.LBB155_58:                             ;   Parent Loop BB155_3 Depth=1
                                        ; =>  This Loop Header: Depth=2
                                        ;       Child Loop BB155_61 Depth 3
                                        ;         Child Loop BB155_62 Depth 4
                                        ;         Child Loop BB155_66 Depth 4
                                        ;           Child Loop BB155_68 Depth 5
                                        ;           Child Loop BB155_74 Depth 5
                                        ;         Child Loop BB155_77 Depth 4
                                        ;           Child Loop BB155_79 Depth 5
	s_load_b32 s28, s[24:25], s18 offset:0x0 scale_offset
	s_wait_kmcnt 0x0
	s_add_co_i32 s29, s28, -1
	s_delay_alu instid0(SALU_CYCLE_1) | instskip(NEXT) | instid1(SALU_CYCLE_1)
	s_add_co_i32 s42, s29, s3
	s_cmp_ge_i32 s42, s31
	s_cbranch_scc1 .LBB155_57
; %bb.59:                               ;   in Loop: Header=BB155_58 Depth=2
	v_mad_u32 v3, 0xa0, s3, v22
	s_max_i32 s42, s28, 1
	s_cmp_lg_u32 s18, 2
	s_mul_i32 s45, s28, 0xa0
	s_cselect_b32 s43, -1, 0
	s_and_b32 s44, s42, 0x7ffffffe
	s_mul_i32 s49, s3, 0xa8
	s_cmp_lg_u32 s42, s44
	s_mul_i32 s50, s28, 0xa8
	s_cselect_b32 s46, -1, 0
	s_lshl_b32 s47, s3, 3
	s_lshl_b32 s48, s28, 3
	s_branch .LBB155_61
.LBB155_60:                             ;   in Loop: Header=BB155_61 Depth=3
	s_add_co_i32 s3, s3, s28
	v_add_nc_u32_e32 v3, s45, v3
	s_add_co_i32 s51, s29, s3
	s_add_co_i32 s47, s47, s48
	;; [unrolled: 1-line block ×3, first 2 shown]
	s_cmp_ge_i32 s51, s31
	s_cbranch_scc1 .LBB155_57
.LBB155_61:                             ;   Parent Loop BB155_3 Depth=1
                                        ;     Parent Loop BB155_58 Depth=2
                                        ; =>    This Loop Header: Depth=3
                                        ;         Child Loop BB155_62 Depth 4
                                        ;         Child Loop BB155_66 Depth 4
                                        ;           Child Loop BB155_68 Depth 5
                                        ;           Child Loop BB155_74 Depth 5
                                        ;         Child Loop BB155_77 Depth 4
                                        ;           Child Loop BB155_79 Depth 5
	s_wait_xcnt 0x0
	v_mov_b32_e32 v14, v3
	s_mov_b32 s51, 0
	s_mov_b32 s52, s42
.LBB155_62:                             ;   Parent Loop BB155_3 Depth=1
                                        ;     Parent Loop BB155_58 Depth=2
                                        ;       Parent Loop BB155_61 Depth=3
                                        ; =>      This Inner Loop Header: Depth=4
	ds_load_b64 v[16:17], v14
	v_add_nc_u32_e32 v14, 0xa0, v14
	s_add_co_i32 s52, s52, -1
	s_wait_dscnt 0x0
	scratch_store_b64 off, v[16:17], s51
	s_wait_xcnt 0x0
	s_add_co_i32 s51, s51, 8
	s_cmp_eq_u32 s52, 0
	s_cbranch_scc0 .LBB155_62
; %bb.63:                               ;   in Loop: Header=BB155_61 Depth=3
	s_cmp_lt_i32 s3, 1
	s_cbranch_scc1 .LBB155_75
; %bb.64:                               ;   in Loop: Header=BB155_61 Depth=3
	s_mov_b32 s51, 0
	s_mov_b32 s52, s47
	s_branch .LBB155_66
.LBB155_65:                             ;   in Loop: Header=BB155_66 Depth=4
	s_add_co_i32 s51, s51, 1
	s_addk_co_i32 s52, 0xa0
	s_cmp_eq_u32 s51, s3
	s_cbranch_scc1 .LBB155_75
.LBB155_66:                             ;   Parent Loop BB155_3 Depth=1
                                        ;     Parent Loop BB155_58 Depth=2
                                        ;       Parent Loop BB155_61 Depth=3
                                        ; =>      This Loop Header: Depth=4
                                        ;           Child Loop BB155_68 Depth 5
                                        ;           Child Loop BB155_74 Depth 5
	v_mad_u32 v14, 0xa0, s51, v22
	s_and_b32 vcc_lo, exec_lo, s43
	ds_load_b64 v[14:15], v14
	s_cbranch_vccz .LBB155_70
; %bb.67:                               ;   in Loop: Header=BB155_66 Depth=4
	s_wait_dscnt 0x0
	s_wait_xcnt 0x0
	v_dual_mov_b32 v18, v14 :: v_dual_mov_b32 v19, v14
	v_dual_mov_b32 v16, v15 :: v_dual_mov_b32 v20, v15
	v_mov_b32_e32 v21, v15
	s_mov_b32 s53, s44
	s_mov_b32 s54, s40
	;; [unrolled: 1-line block ×3, first 2 shown]
.LBB155_68:                             ;   Parent Loop BB155_3 Depth=1
                                        ;     Parent Loop BB155_58 Depth=2
                                        ;       Parent Loop BB155_61 Depth=3
                                        ;         Parent Loop BB155_66 Depth=4
                                        ; =>        This Inner Loop Header: Depth=5
	scratch_load_b128 v[24:27], off, s54 offset:-8
	v_mov_b32_e32 v17, s55
	s_add_co_i32 s53, s53, -2
	s_add_co_i32 s55, s55, 16
	ds_load_2addr_b64 v[28:31], v17 offset1:1
	s_wait_dscnt 0x0
	v_dual_mov_b32 v33, v30 :: v_dual_mov_b32 v30, v29
	v_mov_b32_e32 v32, v28
	s_delay_alu instid0(VALU_DEP_2) | instskip(SKIP_1) | instid1(VALU_DEP_2)
	v_pk_mul_f32 v[28:29], v[30:31], v[20:21]
	v_pk_mul_f32 v[30:31], v[30:31], v[18:19]
	v_pk_fma_f32 v[28:29], v[32:33], v[18:19], v[28:29] neg_lo:[0,0,1] neg_hi:[0,0,1]
	s_delay_alu instid0(VALU_DEP_2) | instskip(SKIP_2) | instid1(VALU_DEP_1)
	v_pk_fma_f32 v[30:31], v[32:33], v[20:21], v[30:31]
	s_wait_loadcnt 0x0
	v_dual_mov_b32 v32, v24 :: v_dual_mov_b32 v33, v26
	v_pk_add_f32 v[28:29], v[32:33], v[28:29] neg_lo:[0,1] neg_hi:[0,1]
	s_delay_alu instid0(VALU_DEP_1) | instskip(NEXT) | instid1(VALU_DEP_1)
	v_dual_mov_b32 v26, v25 :: v_dual_mov_b32 v24, v28
	v_pk_add_f32 v[26:27], v[26:27], v[30:31] neg_lo:[0,1] neg_hi:[0,1]
	s_delay_alu instid0(VALU_DEP_1)
	v_dual_mov_b32 v25, v26 :: v_dual_mov_b32 v26, v29
	scratch_store_b128 off, v[24:27], s54 offset:-8
	s_wait_xcnt 0x0
	s_add_co_i32 s54, s54, 16
	s_cmp_lg_u32 s53, 0
	s_cbranch_scc1 .LBB155_68
; %bb.69:                               ;   in Loop: Header=BB155_66 Depth=4
	s_mov_b32 s53, s46
	s_mov_b32 s54, s44
	s_branch .LBB155_72
.LBB155_70:                             ;   in Loop: Header=BB155_66 Depth=4
	s_wait_dscnt 0x0
	v_mov_b32_e32 v16, v15
	s_mov_b32 s53, 0
	s_mov_b32 s54, s44
	s_cbranch_execz .LBB155_72
; %bb.71:                               ;   in Loop: Header=BB155_66 Depth=4
	s_mov_b32 s53, -1
	s_mov_b32 s54, 0
.LBB155_72:                             ;   in Loop: Header=BB155_66 Depth=4
	s_and_not1_b32 vcc_lo, exec_lo, s53
	s_cbranch_vccnz .LBB155_65
; %bb.73:                               ;   in Loop: Header=BB155_66 Depth=4
	v_dual_mov_b32 v17, v15 :: v_dual_mov_b32 v15, v14
	s_sub_co_i32 s53, s42, s54
	s_lshl_b32 s54, s54, 3
.LBB155_74:                             ;   Parent Loop BB155_3 Depth=1
                                        ;     Parent Loop BB155_58 Depth=2
                                        ;       Parent Loop BB155_61 Depth=3
                                        ;         Parent Loop BB155_66 Depth=4
                                        ; =>        This Inner Loop Header: Depth=5
	scratch_load_b64 v[18:19], off, s54
	s_add_co_i32 s56, s52, s54
	s_add_co_i32 s53, s53, -1
	v_mov_b32_e32 v20, s56
	s_mov_b32 s55, s54
	s_wait_xcnt 0x0
	s_add_co_i32 s54, s54, 8
	s_cmp_eq_u32 s53, 0
	ds_load_b64 v[20:21], v20
	s_wait_dscnt 0x0
	v_pk_mul_f32 v[24:25], v[20:21], v[16:17] op_sel:[1,0] op_sel_hi:[0,1]
	s_delay_alu instid0(VALU_DEP_1) | instskip(SKIP_1) | instid1(VALU_DEP_2)
	v_pk_fma_f32 v[26:27], v[20:21], v[14:15], v[24:25]
	v_pk_fma_f32 v[20:21], v[20:21], v[14:15], v[24:25] neg_lo:[0,0,1] neg_hi:[0,0,1]
	v_mov_b32_e32 v21, v27
	s_wait_loadcnt 0x0
	s_delay_alu instid0(VALU_DEP_1)
	v_pk_add_f32 v[18:19], v[18:19], v[20:21] neg_lo:[0,1] neg_hi:[0,1]
	scratch_store_b64 off, v[18:19], s55
	s_cbranch_scc0 .LBB155_74
	s_branch .LBB155_65
.LBB155_75:                             ;   in Loop: Header=BB155_61 Depth=3
	s_mov_b32 s51, 0
	s_mov_b32 s52, s49
	s_branch .LBB155_77
.LBB155_76:                             ;   in Loop: Header=BB155_77 Depth=4
	s_add_co_i32 s53, s51, s3
	s_add_co_i32 s52, s52, 8
	s_mul_i32 s54, s53, 0xa8
	v_mad_u32 v24, 0xa0, s53, v22
	v_mov_b32_e32 v15, s54
	s_lshl_b32 s53, s51, 3
	s_add_co_i32 s51, s51, 1
	s_delay_alu instid0(SALU_CYCLE_1) | instskip(SKIP_4) | instid1(VALU_DEP_1)
	s_cmp_eq_u32 s51, s42
	s_wait_xcnt 0x0
	ds_load_b64 v[18:19], v15
	s_wait_dscnt 0x0
	v_pk_mul_f32 v[16:17], v[18:19], v[16:17] op_sel:[1,0] op_sel_hi:[0,0]
	v_pk_fma_f32 v[20:21], v[18:19], v[14:15], v[16:17] op_sel_hi:[1,0,1]
	v_pk_fma_f32 v[14:15], v[18:19], v[14:15], v[16:17] neg_lo:[0,0,1] neg_hi:[0,0,1]
	s_delay_alu instid0(VALU_DEP_2)
	v_mov_b32_e32 v15, v21
	scratch_store_b64 off, v[14:15], s53
	ds_store_b64 v24, v[14:15]
	s_cbranch_scc1 .LBB155_60
.LBB155_77:                             ;   Parent Loop BB155_3 Depth=1
                                        ;     Parent Loop BB155_58 Depth=2
                                        ;       Parent Loop BB155_61 Depth=3
                                        ; =>      This Loop Header: Depth=4
                                        ;           Child Loop BB155_79 Depth 5
	s_cmp_lg_u32 s51, 0
	s_cbranch_scc0 .LBB155_81
; %bb.78:                               ;   in Loop: Header=BB155_77 Depth=4
	s_wait_xcnt 0x0
	s_lshl_b32 s53, s51, 3
	s_mov_b32 s54, 0
	scratch_load_b64 v[14:15], off, s53
	s_wait_xcnt 0x1
	s_mov_b32 s55, s52
	s_mov_b32 s56, s51
.LBB155_79:                             ;   Parent Loop BB155_3 Depth=1
                                        ;     Parent Loop BB155_58 Depth=2
                                        ;       Parent Loop BB155_61 Depth=3
                                        ;         Parent Loop BB155_77 Depth=4
                                        ; =>        This Inner Loop Header: Depth=5
	scratch_load_b64 v[16:17], off, s54
	v_mov_b32_e32 v18, s55
	s_add_co_i32 s56, s56, -1
	s_addk_co_i32 s55, 0xa0
	s_wait_xcnt 0x0
	s_add_co_i32 s54, s54, 8
	s_cmp_eq_u32 s56, 0
	ds_load_b64 v[18:19], v18
	s_wait_loadcnt_dscnt 0x0
	v_pk_mul_f32 v[20:21], v[18:19], v[16:17] op_sel:[1,1] op_sel_hi:[0,1]
	s_delay_alu instid0(VALU_DEP_1) | instskip(SKIP_1) | instid1(VALU_DEP_2)
	v_pk_fma_f32 v[24:25], v[18:19], v[16:17], v[20:21] op_sel_hi:[1,0,1]
	v_pk_fma_f32 v[16:17], v[18:19], v[16:17], v[20:21] neg_lo:[0,0,1] neg_hi:[0,0,1]
	v_mov_b32_e32 v17, v25
	s_delay_alu instid0(VALU_DEP_1)
	v_pk_add_f32 v[14:15], v[14:15], v[16:17] neg_lo:[0,1] neg_hi:[0,1]
	scratch_store_b64 off, v[14:15], s53
	s_cbranch_scc0 .LBB155_79
; %bb.80:                               ;   in Loop: Header=BB155_77 Depth=4
	v_mov_b32_e32 v16, v15
	s_wait_xcnt 0x0
	s_branch .LBB155_76
.LBB155_81:                             ;   in Loop: Header=BB155_77 Depth=4
	s_wait_xcnt 0x0
                                        ; implicit-def: $vgpr14
                                        ; implicit-def: $vgpr16
	s_cbranch_execz .LBB155_76
; %bb.82:                               ;   in Loop: Header=BB155_77 Depth=4
	scratch_load_b64 v[14:15], off, off
	s_wait_loadcnt 0x0
	v_mov_b32_e32 v16, v15
	s_branch .LBB155_76
.LBB155_83:                             ;   in Loop: Header=BB155_3 Depth=1
	; wave barrier
	s_wait_storecnt_dscnt 0x0
	s_wait_xcnt 0x0
	s_and_saveexec_b32 s3, s36
	s_cbranch_execz .LBB155_2
; %bb.84:                               ;   in Loop: Header=BB155_3 Depth=1
	v_add_nc_u64_e32 v[14:15], s[26:27], v[6:7]
	v_mov_b32_e32 v3, v22
	s_mov_b32 s18, s31
.LBB155_85:                             ;   Parent Loop BB155_3 Depth=1
                                        ; =>  This Inner Loop Header: Depth=2
	ds_load_b64 v[16:17], v3
	v_add_nc_u32_e32 v3, 0xa0, v3
	s_add_co_i32 s18, s18, -1
	s_delay_alu instid0(SALU_CYCLE_1)
	s_cmp_lg_u32 s18, 0
	s_wait_dscnt 0x0
	global_store_b64 v[14:15], v[16:17], off
	s_wait_xcnt 0x0
	v_add_nc_u64_e32 v[14:15], 8, v[14:15]
	s_cbranch_scc1 .LBB155_85
	s_branch .LBB155_2
.LBB155_86:
	s_endpgm
	.section	.rodata,"a",@progbits
	.p2align	6, 0x0
	.amdhsa_kernel _ZL38rocblas_trsm_small_left_device_sharedBILi20ELi20ELb1E19rocblas_complex_numIfES1_PKS1_PS1_Ev13rocblas_fill_18rocblas_operation_17rocblas_diagonal_iiT3_T4_lilT5_lili
		.amdhsa_group_segment_fixed_size 6400
		.amdhsa_private_segment_fixed_size 176
		.amdhsa_kernarg_size 360
		.amdhsa_user_sgpr_count 2
		.amdhsa_user_sgpr_dispatch_ptr 0
		.amdhsa_user_sgpr_queue_ptr 0
		.amdhsa_user_sgpr_kernarg_segment_ptr 1
		.amdhsa_user_sgpr_dispatch_id 0
		.amdhsa_user_sgpr_kernarg_preload_length 0
		.amdhsa_user_sgpr_kernarg_preload_offset 0
		.amdhsa_user_sgpr_private_segment_size 0
		.amdhsa_wavefront_size32 1
		.amdhsa_uses_dynamic_stack 0
		.amdhsa_enable_private_segment 1
		.amdhsa_system_sgpr_workgroup_id_x 1
		.amdhsa_system_sgpr_workgroup_id_y 0
		.amdhsa_system_sgpr_workgroup_id_z 1
		.amdhsa_system_sgpr_workgroup_info 0
		.amdhsa_system_vgpr_workitem_id 0
		.amdhsa_next_free_vgpr 34
		.amdhsa_next_free_sgpr 60
		.amdhsa_named_barrier_count 0
		.amdhsa_reserve_vcc 1
		.amdhsa_float_round_mode_32 0
		.amdhsa_float_round_mode_16_64 0
		.amdhsa_float_denorm_mode_32 3
		.amdhsa_float_denorm_mode_16_64 3
		.amdhsa_fp16_overflow 0
		.amdhsa_memory_ordered 1
		.amdhsa_forward_progress 1
		.amdhsa_inst_pref_size 31
		.amdhsa_round_robin_scheduling 0
		.amdhsa_exception_fp_ieee_invalid_op 0
		.amdhsa_exception_fp_denorm_src 0
		.amdhsa_exception_fp_ieee_div_zero 0
		.amdhsa_exception_fp_ieee_overflow 0
		.amdhsa_exception_fp_ieee_underflow 0
		.amdhsa_exception_fp_ieee_inexact 0
		.amdhsa_exception_int_div_zero 0
	.end_amdhsa_kernel
	.section	.text._ZL38rocblas_trsm_small_left_device_sharedBILi20ELi20ELb1E19rocblas_complex_numIfES1_PKS1_PS1_Ev13rocblas_fill_18rocblas_operation_17rocblas_diagonal_iiT3_T4_lilT5_lili,"axG",@progbits,_ZL38rocblas_trsm_small_left_device_sharedBILi20ELi20ELb1E19rocblas_complex_numIfES1_PKS1_PS1_Ev13rocblas_fill_18rocblas_operation_17rocblas_diagonal_iiT3_T4_lilT5_lili,comdat
.Lfunc_end155:
	.size	_ZL38rocblas_trsm_small_left_device_sharedBILi20ELi20ELb1E19rocblas_complex_numIfES1_PKS1_PS1_Ev13rocblas_fill_18rocblas_operation_17rocblas_diagonal_iiT3_T4_lilT5_lili, .Lfunc_end155-_ZL38rocblas_trsm_small_left_device_sharedBILi20ELi20ELb1E19rocblas_complex_numIfES1_PKS1_PS1_Ev13rocblas_fill_18rocblas_operation_17rocblas_diagonal_iiT3_T4_lilT5_lili
                                        ; -- End function
	.set _ZL38rocblas_trsm_small_left_device_sharedBILi20ELi20ELb1E19rocblas_complex_numIfES1_PKS1_PS1_Ev13rocblas_fill_18rocblas_operation_17rocblas_diagonal_iiT3_T4_lilT5_lili.num_vgpr, 34
	.set _ZL38rocblas_trsm_small_left_device_sharedBILi20ELi20ELb1E19rocblas_complex_numIfES1_PKS1_PS1_Ev13rocblas_fill_18rocblas_operation_17rocblas_diagonal_iiT3_T4_lilT5_lili.num_agpr, 0
	.set _ZL38rocblas_trsm_small_left_device_sharedBILi20ELi20ELb1E19rocblas_complex_numIfES1_PKS1_PS1_Ev13rocblas_fill_18rocblas_operation_17rocblas_diagonal_iiT3_T4_lilT5_lili.numbered_sgpr, 60
	.set _ZL38rocblas_trsm_small_left_device_sharedBILi20ELi20ELb1E19rocblas_complex_numIfES1_PKS1_PS1_Ev13rocblas_fill_18rocblas_operation_17rocblas_diagonal_iiT3_T4_lilT5_lili.num_named_barrier, 0
	.set _ZL38rocblas_trsm_small_left_device_sharedBILi20ELi20ELb1E19rocblas_complex_numIfES1_PKS1_PS1_Ev13rocblas_fill_18rocblas_operation_17rocblas_diagonal_iiT3_T4_lilT5_lili.private_seg_size, 176
	.set _ZL38rocblas_trsm_small_left_device_sharedBILi20ELi20ELb1E19rocblas_complex_numIfES1_PKS1_PS1_Ev13rocblas_fill_18rocblas_operation_17rocblas_diagonal_iiT3_T4_lilT5_lili.uses_vcc, 1
	.set _ZL38rocblas_trsm_small_left_device_sharedBILi20ELi20ELb1E19rocblas_complex_numIfES1_PKS1_PS1_Ev13rocblas_fill_18rocblas_operation_17rocblas_diagonal_iiT3_T4_lilT5_lili.uses_flat_scratch, 0
	.set _ZL38rocblas_trsm_small_left_device_sharedBILi20ELi20ELb1E19rocblas_complex_numIfES1_PKS1_PS1_Ev13rocblas_fill_18rocblas_operation_17rocblas_diagonal_iiT3_T4_lilT5_lili.has_dyn_sized_stack, 0
	.set _ZL38rocblas_trsm_small_left_device_sharedBILi20ELi20ELb1E19rocblas_complex_numIfES1_PKS1_PS1_Ev13rocblas_fill_18rocblas_operation_17rocblas_diagonal_iiT3_T4_lilT5_lili.has_recursion, 0
	.set _ZL38rocblas_trsm_small_left_device_sharedBILi20ELi20ELb1E19rocblas_complex_numIfES1_PKS1_PS1_Ev13rocblas_fill_18rocblas_operation_17rocblas_diagonal_iiT3_T4_lilT5_lili.has_indirect_call, 0
	.section	.AMDGPU.csdata,"",@progbits
; Kernel info:
; codeLenInByte = 3936
; TotalNumSgprs: 62
; NumVgprs: 34
; ScratchSize: 176
; MemoryBound: 0
; FloatMode: 240
; IeeeMode: 1
; LDSByteSize: 6400 bytes/workgroup (compile time only)
; SGPRBlocks: 0
; VGPRBlocks: 2
; NumSGPRsForWavesPerEU: 62
; NumVGPRsForWavesPerEU: 34
; NamedBarCnt: 0
; Occupancy: 13
; WaveLimiterHint : 0
; COMPUTE_PGM_RSRC2:SCRATCH_EN: 1
; COMPUTE_PGM_RSRC2:USER_SGPR: 2
; COMPUTE_PGM_RSRC2:TRAP_HANDLER: 0
; COMPUTE_PGM_RSRC2:TGID_X_EN: 1
; COMPUTE_PGM_RSRC2:TGID_Y_EN: 0
; COMPUTE_PGM_RSRC2:TGID_Z_EN: 1
; COMPUTE_PGM_RSRC2:TIDIG_COMP_CNT: 0
	.section	.text._ZL30rocblas_trsm_small_left_deviceILi20ELi20ELb1E19rocblas_complex_numIfES1_PKS1_PS1_Ev13rocblas_fill_18rocblas_operation_17rocblas_diagonal_iiT3_T4_lilT5_lili,"axG",@progbits,_ZL30rocblas_trsm_small_left_deviceILi20ELi20ELb1E19rocblas_complex_numIfES1_PKS1_PS1_Ev13rocblas_fill_18rocblas_operation_17rocblas_diagonal_iiT3_T4_lilT5_lili,comdat
	.globl	_ZL30rocblas_trsm_small_left_deviceILi20ELi20ELb1E19rocblas_complex_numIfES1_PKS1_PS1_Ev13rocblas_fill_18rocblas_operation_17rocblas_diagonal_iiT3_T4_lilT5_lili ; -- Begin function _ZL30rocblas_trsm_small_left_deviceILi20ELi20ELb1E19rocblas_complex_numIfES1_PKS1_PS1_Ev13rocblas_fill_18rocblas_operation_17rocblas_diagonal_iiT3_T4_lilT5_lili
	.p2align	8
	.type	_ZL30rocblas_trsm_small_left_deviceILi20ELi20ELb1E19rocblas_complex_numIfES1_PKS1_PS1_Ev13rocblas_fill_18rocblas_operation_17rocblas_diagonal_iiT3_T4_lilT5_lili,@function
_ZL30rocblas_trsm_small_left_deviceILi20ELi20ELb1E19rocblas_complex_numIfES1_PKS1_PS1_Ev13rocblas_fill_18rocblas_operation_17rocblas_diagonal_iiT3_T4_lilT5_lili: ; @_ZL30rocblas_trsm_small_left_deviceILi20ELi20ELb1E19rocblas_complex_numIfES1_PKS1_PS1_Ev13rocblas_fill_18rocblas_operation_17rocblas_diagonal_iiT3_T4_lilT5_lili
; %bb.0:
	s_load_b32 s33, s[0:1], 0x60
	s_bfe_u32 s2, ttmp6, 0x40014
	s_lshr_b32 s4, ttmp7, 16
	s_add_co_i32 s2, s2, 1
	s_bfe_u32 s5, ttmp6, 0x40008
	s_mul_i32 s2, s4, s2
	s_getreg_b32 s3, hwreg(HW_REG_IB_STS2, 6, 4)
	s_add_co_i32 s5, s5, s2
	s_cmp_eq_u32 s3, 0
	s_mov_b32 s17, 0
	s_cselect_b32 s2, s4, s5
	s_wait_kmcnt 0x0
	s_cmp_ge_u32 s2, s33
	s_cbranch_scc1 .LBB156_88
; %bb.1:
	s_clause 0x4
	s_load_b32 s26, s[0:1], 0x30
	s_load_b96 s[8:10], s[0:1], 0x48
	s_load_b128 s[4:7], s[0:1], 0x4
	s_load_b32 s12, s[0:1], 0x68
	s_load_b64 s[18:19], s[0:1], 0x14
	v_mul_u32_u24_e32 v12, 0xa0, v0
	v_mov_b64_e32 v[4:5], 0xbf80000000000000
	v_mov_b64_e32 v[10:11], 0x3f800000
	s_mov_b32 s41, 0
                                        ; implicit-def: $sgpr42
                                        ; implicit-def: $sgpr43
	s_wait_kmcnt 0x0
	s_ashr_i32 s27, s26, 31
	s_ashr_i32 s11, s10, 31
	s_cmp_lg_u32 s4, 0x71
	s_cselect_b32 s34, -1, 0
	s_min_i32 s35, s6, 20
	s_bfe_u32 s6, ttmp6, 0x4000c
	s_lshl_b64 s[28:29], s[8:9], 3
	s_add_co_i32 s6, s6, 1
	s_and_b32 s8, ttmp6, 15
	s_mul_i32 s6, ttmp9, s6
	s_add_co_i32 s16, s12, -1
	s_add_co_i32 s36, s35, -1
	s_add_co_i32 s8, s8, s6
	s_cmp_eq_u32 s3, 0
	s_mov_b32 s22, s18
	s_cselect_b32 s3, ttmp9, s8
	s_mov_b32 s23, s18
	v_mad_u32 v2, s3, 20, v0
	s_mov_b32 s6, s19
	s_mov_b32 s24, s19
	;; [unrolled: 1-line block ×3, first 2 shown]
	s_delay_alu instid0(VALU_DEP_1) | instskip(NEXT) | instid1(VALU_DEP_1)
	v_ashrrev_i32_e32 v3, 31, v2
	v_mul_u64_e32 v[6:7], s[10:11], v[2:3]
	s_clause 0x2
	s_load_b128 s[12:15], s[0:1], 0x20
	s_load_b128 s[8:11], s[0:1], 0x38
	s_load_b64 s[20:21], s[0:1], 0x58
	s_wait_xcnt 0x0
	s_mul_i32 s0, s3, 0xffffffec
	v_lshlrev_b32_e32 v2, 3, v0
	s_add_co_i32 s0, s7, s0
	s_cmp_ge_u32 s3, s16
	v_mov_b32_e32 v3, 0
	s_cselect_b32 s3, s0, 20
	s_cmp_lg_u32 s5, 0x84
	s_mov_b32 s7, s19
	s_cselect_b32 s37, -1, 0
	s_cmp_lg_u32 s4, 0x6f
	s_cselect_b32 s38, -1, 0
	s_lshl_b32 s40, s35, 3
	s_or_b32 s39, 0, 8
	s_add_co_i32 s40, s40, -8
	s_wait_kmcnt 0x0
	s_lshl_b64 s[0:1], s[14:15], 3
	s_add_nc_u64 s[10:11], s[10:11], s[28:29]
	s_add_nc_u64 s[4:5], s[12:13], s[0:1]
	v_cmp_gt_i32_e64 s0, s35, v0
	v_add_nc_u64_e32 v[8:9], s[4:5], v[2:3]
	v_cmp_gt_i32_e64 s1, s3, v0
	v_add_nc_u32_e32 v3, v2, v12
	s_lshl_b64 s[4:5], s[8:9], 3
	s_lshl_b64 s[8:9], s[26:27], 3
	;; [unrolled: 1-line block ×3, first 2 shown]
	v_lshl_add_u64 v[0:1], v[6:7], 3, s[10:11]
	v_add_nc_u64_e32 v[6:7], 4, v[8:9]
	s_get_pc_i64 s[10:11]
	s_add_nc_u64 s[10:11], s[10:11], __const._ZL30rocblas_trsm_small_left_deviceILi20ELi20ELb1E19rocblas_complex_numIfES1_PKS1_PS1_Ev13rocblas_fill_18rocblas_operation_17rocblas_diagonal_iiT3_T4_lilT5_lili.step_sizes@rel64+4
	s_delay_alu instid0(VALU_DEP_2)
	v_add_nc_u64_e32 v[8:9], 4, v[0:1]
	s_branch .LBB156_4
.LBB156_2:                              ;   in Loop: Header=BB156_4 Depth=1
	s_add_co_i32 s2, s2, 0x10000
	s_delay_alu instid0(SALU_CYCLE_1)
	s_cmp_ge_u32 s2, s33
	s_cselect_b32 s3, -1, 0
	s_and_not1_b32 s43, s43, exec_lo
	s_or_not1_b32 s14, s3, exec_lo
.LBB156_3:                              ;   in Loop: Header=BB156_4 Depth=1
	s_wait_xcnt 0x0
	s_or_b32 exec_lo, exec_lo, s44
	s_delay_alu instid0(SALU_CYCLE_1) | instskip(NEXT) | instid1(SALU_CYCLE_1)
	s_and_b32 s3, exec_lo, s14
	s_or_b32 s41, s3, s41
	s_and_not1_b32 s3, s42, exec_lo
	s_and_b32 s14, s43, exec_lo
	s_delay_alu instid0(SALU_CYCLE_1)
	s_or_b32 s42, s3, s14
	s_and_not1_b32 exec_lo, exec_lo, s41
	s_cbranch_execz .LBB156_87
.LBB156_4:                              ; =>This Loop Header: Depth=1
                                        ;     Child Loop BB156_7 Depth 2
                                        ;     Child Loop BB156_23 Depth 2
                                        ;       Child Loop BB156_26 Depth 3
                                        ;         Child Loop BB156_28 Depth 4
                                        ;         Child Loop BB156_32 Depth 4
	;; [unrolled: 1-line block ×3, first 2 shown]
                                        ;           Child Loop BB156_38 Depth 5
                                        ;           Child Loop BB156_44 Depth 5
                                        ;         Child Loop BB156_47 Depth 4
                                        ;           Child Loop BB156_49 Depth 5
                                        ;     Child Loop BB156_57 Depth 2
                                        ;       Child Loop BB156_60 Depth 3
                                        ;         Child Loop BB156_62 Depth 4
                                        ;         Child Loop BB156_66 Depth 4
	;; [unrolled: 1-line block ×3, first 2 shown]
                                        ;           Child Loop BB156_72 Depth 5
                                        ;           Child Loop BB156_78 Depth 5
                                        ;         Child Loop BB156_81 Depth 4
                                        ;           Child Loop BB156_83 Depth 5
	s_mov_b32 s3, s17
	s_and_saveexec_b32 s14, s0
	s_cbranch_execz .LBB156_19
; %bb.5:                                ;   in Loop: Header=BB156_4 Depth=1
	v_mad_nc_u64_u32 v[12:13], s4, s2, v[6:7]
	v_mov_b32_e32 v16, v2
	s_mov_b32 s15, s35
	s_delay_alu instid0(VALU_DEP_2)
	v_mad_u32 v13, s5, s2, v13
	s_branch .LBB156_7
.LBB156_6:                              ;   in Loop: Header=BB156_7 Depth=2
	global_load_b32 v14, v[12:13], off offset:-4
	s_wait_xcnt 0x0
	v_add_nc_u64_e32 v[12:13], s[8:9], v[12:13]
	s_add_co_i32 s15, s15, -1
	s_delay_alu instid0(SALU_CYCLE_1)
	s_cmp_eq_u32 s15, 0
	s_wait_loadcnt 0x0
	ds_store_b64 v16, v[14:15]
	v_add_nc_u32_e32 v16, 0xa0, v16
	s_cbranch_scc1 .LBB156_11
.LBB156_7:                              ;   Parent Loop BB156_4 Depth=1
                                        ; =>  This Inner Loop Header: Depth=2
	s_and_b32 vcc_lo, exec_lo, s34
	s_mov_b32 s16, -1
                                        ; implicit-def: $vgpr15
	s_cbranch_vccz .LBB156_9
; %bb.8:                                ;   in Loop: Header=BB156_7 Depth=2
	global_load_b32 v15, v[12:13], off
	s_mov_b32 s16, 0
.LBB156_9:                              ;   in Loop: Header=BB156_7 Depth=2
	s_delay_alu instid0(SALU_CYCLE_1)
	s_and_not1_b32 vcc_lo, exec_lo, s16
	s_cbranch_vccnz .LBB156_6
; %bb.10:                               ;   in Loop: Header=BB156_7 Depth=2
	global_load_b32 v14, v[12:13], off
	s_wait_loadcnt 0x0
	v_xor_b32_e32 v15, 0x80000000, v14
	s_branch .LBB156_6
.LBB156_11:                             ;   in Loop: Header=BB156_4 Depth=1
	s_and_b32 vcc_lo, exec_lo, s37
	s_mov_b32 s15, -1
	s_cbranch_vccz .LBB156_17
; %bb.12:                               ;   in Loop: Header=BB156_4 Depth=1
	ds_load_b64 v[12:13], v3
                                        ; implicit-def: $vgpr14_vgpr15
	s_wait_dscnt 0x0
	v_cmp_ngt_f32_e64 s15, |v12|, |v13|
	s_and_saveexec_b32 s16, s15
	s_delay_alu instid0(SALU_CYCLE_1)
	s_xor_b32 s15, exec_lo, s16
	s_cbranch_execz .LBB156_14
; %bb.13:                               ;   in Loop: Header=BB156_4 Depth=1
	v_div_scale_f32 v14, null, v13, v13, v12
	v_div_scale_f32 v17, vcc_lo, v12, v13, v12
	s_delay_alu instid0(VALU_DEP_2) | instskip(SKIP_1) | instid1(TRANS32_DEP_1)
	v_rcp_f32_e32 v15, v14
	v_nop
	v_fma_f32 v16, -v14, v15, 1.0
	s_delay_alu instid0(VALU_DEP_1) | instskip(NEXT) | instid1(VALU_DEP_1)
	v_fmac_f32_e32 v15, v16, v15
	v_mul_f32_e32 v16, v17, v15
	s_delay_alu instid0(VALU_DEP_1) | instskip(NEXT) | instid1(VALU_DEP_1)
	v_fma_f32 v18, -v14, v16, v17
	v_fmac_f32_e32 v16, v18, v15
	s_delay_alu instid0(VALU_DEP_1) | instskip(NEXT) | instid1(VALU_DEP_1)
	v_fma_f32 v14, -v14, v16, v17
	v_div_fmas_f32 v14, v14, v15, v16
	s_delay_alu instid0(VALU_DEP_1) | instskip(NEXT) | instid1(VALU_DEP_1)
	v_div_fixup_f32 v14, v14, v13, v12
	v_fmac_f32_e32 v13, v12, v14
	s_delay_alu instid0(VALU_DEP_1) | instskip(SKIP_1) | instid1(VALU_DEP_2)
	v_div_scale_f32 v12, null, v13, v13, 1.0
	v_div_scale_f32 v17, vcc_lo, 1.0, v13, 1.0
	v_rcp_f32_e32 v15, v12
	v_nop
	s_delay_alu instid0(TRANS32_DEP_1) | instskip(NEXT) | instid1(VALU_DEP_1)
	v_fma_f32 v16, -v12, v15, 1.0
	v_fmac_f32_e32 v15, v16, v15
	s_delay_alu instid0(VALU_DEP_1) | instskip(NEXT) | instid1(VALU_DEP_1)
	v_mul_f32_e32 v16, v17, v15
	v_fma_f32 v18, -v12, v16, v17
	s_delay_alu instid0(VALU_DEP_1) | instskip(NEXT) | instid1(VALU_DEP_1)
	v_fmac_f32_e32 v16, v18, v15
	v_fma_f32 v12, -v12, v16, v17
	s_delay_alu instid0(VALU_DEP_1) | instskip(SKIP_1) | instid1(VALU_DEP_2)
	v_div_fmas_f32 v12, v12, v15, v16
	v_mul_f32_e32 v15, 0, v14
	v_div_fixup_f32 v12, v12, v13, 1.0
	s_delay_alu instid0(VALU_DEP_2) | instskip(NEXT) | instid1(VALU_DEP_1)
	v_pk_add_f32 v[14:15], v[14:15], v[4:5]
	v_pk_mul_f32 v[14:15], v[14:15], v[12:13] op_sel_hi:[1,0]
                                        ; implicit-def: $vgpr12_vgpr13
.LBB156_14:                             ;   in Loop: Header=BB156_4 Depth=1
	s_and_not1_saveexec_b32 s15, s15
	s_cbranch_execz .LBB156_16
; %bb.15:                               ;   in Loop: Header=BB156_4 Depth=1
	v_div_scale_f32 v14, null, v12, v12, v13
	v_div_scale_f32 v17, vcc_lo, v13, v12, v13
	s_delay_alu instid0(VALU_DEP_2) | instskip(SKIP_1) | instid1(TRANS32_DEP_1)
	v_rcp_f32_e32 v15, v14
	v_nop
	v_fma_f32 v16, -v14, v15, 1.0
	s_delay_alu instid0(VALU_DEP_1) | instskip(NEXT) | instid1(VALU_DEP_1)
	v_fmac_f32_e32 v15, v16, v15
	v_mul_f32_e32 v16, v17, v15
	s_delay_alu instid0(VALU_DEP_1) | instskip(NEXT) | instid1(VALU_DEP_1)
	v_fma_f32 v18, -v14, v16, v17
	v_fmac_f32_e32 v16, v18, v15
	s_delay_alu instid0(VALU_DEP_1) | instskip(NEXT) | instid1(VALU_DEP_1)
	v_fma_f32 v14, -v14, v16, v17
	v_div_fmas_f32 v14, v14, v15, v16
	s_delay_alu instid0(VALU_DEP_1) | instskip(NEXT) | instid1(VALU_DEP_1)
	v_div_fixup_f32 v15, v14, v12, v13
	v_fmac_f32_e32 v12, v13, v15
	s_delay_alu instid0(VALU_DEP_1) | instskip(SKIP_1) | instid1(VALU_DEP_2)
	v_div_scale_f32 v13, null, v12, v12, 1.0
	v_div_scale_f32 v17, vcc_lo, 1.0, v12, 1.0
	v_rcp_f32_e32 v14, v13
	v_nop
	s_delay_alu instid0(TRANS32_DEP_1) | instskip(NEXT) | instid1(VALU_DEP_1)
	v_fma_f32 v16, -v13, v14, 1.0
	v_fmac_f32_e32 v14, v16, v14
	s_delay_alu instid0(VALU_DEP_1) | instskip(NEXT) | instid1(VALU_DEP_1)
	v_mul_f32_e32 v16, v17, v14
	v_fma_f32 v18, -v13, v16, v17
	s_delay_alu instid0(VALU_DEP_1) | instskip(NEXT) | instid1(VALU_DEP_1)
	v_fmac_f32_e32 v16, v18, v14
	v_dual_fma_f32 v13, -v13, v16, v17 :: v_dual_mul_f32 v17, 0, v15
	v_sub_f32_e32 v15, 0, v15
	s_delay_alu instid0(VALU_DEP_2) | instskip(NEXT) | instid1(VALU_DEP_3)
	v_div_fmas_f32 v13, v13, v14, v16
	v_add_f32_e32 v14, 1.0, v17
	s_delay_alu instid0(VALU_DEP_2) | instskip(NEXT) | instid1(VALU_DEP_1)
	v_div_fixup_f32 v12, v13, v12, 1.0
	v_pk_mul_f32 v[14:15], v[14:15], v[12:13] op_sel_hi:[1,0]
.LBB156_16:                             ;   in Loop: Header=BB156_4 Depth=1
	s_or_b32 exec_lo, exec_lo, s15
	s_mov_b32 s15, 0
	ds_store_b64 v3, v[14:15]
.LBB156_17:                             ;   in Loop: Header=BB156_4 Depth=1
	s_and_b32 vcc_lo, exec_lo, s15
	s_cbranch_vccz .LBB156_19
; %bb.18:                               ;   in Loop: Header=BB156_4 Depth=1
	ds_store_b64 v3, v[10:11]
.LBB156_19:                             ;   in Loop: Header=BB156_4 Depth=1
	s_or_b32 exec_lo, exec_lo, s14
	s_mov_b32 s14, -1
	s_or_b32 s43, s43, exec_lo
	s_wait_dscnt 0x0
	; wave barrier
	s_and_saveexec_b32 s44, s1
	s_cbranch_execz .LBB156_3
; %bb.20:                               ;   in Loop: Header=BB156_4 Depth=1
	s_mul_u64 s[14:15], s[20:21], s[2:3]
	s_and_not1_b32 vcc_lo, exec_lo, s38
	v_lshl_add_u64 v[12:13], s[14:15], 3, v[0:1]
	s_mul_u64 s[14:15], s[12:13], s[2:3]
	s_mov_b32 s3, -1
	s_cbranch_vccnz .LBB156_54
; %bb.21:                               ;   in Loop: Header=BB156_4 Depth=1
	v_add_nc_u64_e32 v[14:15], s[14:15], v[8:9]
	s_mov_b32 s3, 0
	s_mov_b32 s26, s36
	s_branch .LBB156_23
.LBB156_22:                             ;   in Loop: Header=BB156_23 Depth=2
	s_cmp_gt_i32 s26, -1
	s_cselect_b32 s16, -1, 0
	s_add_co_i32 s27, s3, 1
	s_cmp_lt_u32 s3, 2
	s_wait_xcnt 0x0
	s_cselect_b32 s3, -1, 0
	s_delay_alu instid0(SALU_CYCLE_1) | instskip(NEXT) | instid1(SALU_CYCLE_1)
	s_and_b32 s3, s16, s3
	s_and_b32 vcc_lo, exec_lo, s3
	s_mov_b32 s3, s27
	s_cbranch_vccz .LBB156_53
.LBB156_23:                             ;   Parent Loop BB156_4 Depth=1
                                        ; =>  This Loop Header: Depth=2
                                        ;       Child Loop BB156_26 Depth 3
                                        ;         Child Loop BB156_28 Depth 4
                                        ;         Child Loop BB156_32 Depth 4
	;; [unrolled: 1-line block ×3, first 2 shown]
                                        ;           Child Loop BB156_38 Depth 5
                                        ;           Child Loop BB156_44 Depth 5
                                        ;         Child Loop BB156_47 Depth 4
                                        ;           Child Loop BB156_49 Depth 5
	s_load_b32 s45, s[10:11], s3 offset:0x0 scale_offset
	s_wait_kmcnt 0x0
	s_add_co_i32 s46, s45, -1
	s_delay_alu instid0(SALU_CYCLE_1)
	s_cmp_lt_i32 s26, s46
	s_cbranch_scc1 .LBB156_22
; %bb.24:                               ;   in Loop: Header=BB156_23 Depth=2
	s_max_i32 s47, s45, 1
	s_cmp_lg_u32 s3, 2
	s_mul_i32 s16, s26, 0xa0
	s_cselect_b32 s48, -1, 0
	s_and_b32 s49, s47, 0x7ffffffe
	s_mul_i32 s52, s45, 0xffffff60
	s_cmp_lg_u32 s47, s49
	s_mul_i32 s53, s26, 0xa8
	s_cselect_b32 s50, -1, 0
	s_add_co_i32 s51, s40, s16
	s_mul_i32 s54, s45, 0xffffff58
	s_branch .LBB156_26
.LBB156_25:                             ;   in Loop: Header=BB156_26 Depth=3
	s_sub_co_i32 s26, s26, s45
	s_add_co_i32 s51, s51, s52
	s_add_co_i32 s53, s53, s54
	s_cmp_lt_i32 s26, s46
	s_cbranch_scc1 .LBB156_22
.LBB156_26:                             ;   Parent Loop BB156_4 Depth=1
                                        ;     Parent Loop BB156_23 Depth=2
                                        ; =>    This Loop Header: Depth=3
                                        ;         Child Loop BB156_28 Depth 4
                                        ;         Child Loop BB156_32 Depth 4
	;; [unrolled: 1-line block ×3, first 2 shown]
                                        ;           Child Loop BB156_38 Depth 5
                                        ;           Child Loop BB156_44 Depth 5
                                        ;         Child Loop BB156_47 Depth 4
                                        ;           Child Loop BB156_49 Depth 5
	s_and_not1_b32 vcc_lo, exec_lo, s48
	s_cbranch_vccnz .LBB156_30
; %bb.27:                               ;   in Loop: Header=BB156_26 Depth=3
	s_mov_b32 s27, s26
	s_mov_b32 s28, 1
	;; [unrolled: 1-line block ×3, first 2 shown]
	s_wait_xcnt 0x0
	s_mov_b32 s30, s49
	s_mov_b32 s31, s39
.LBB156_28:                             ;   Parent Loop BB156_4 Depth=1
                                        ;     Parent Loop BB156_23 Depth=2
                                        ;       Parent Loop BB156_26 Depth=3
                                        ; =>      This Inner Loop Header: Depth=4
	s_sub_co_i32 s56, s27, s28
	s_sub_co_i32 s58, s26, s29
	s_ashr_i32 s57, s56, 31
	s_ashr_i32 s59, s58, 31
	v_lshl_add_u64 v[16:17], s[56:57], 3, v[12:13]
	v_lshl_add_u64 v[18:19], s[58:59], 3, v[12:13]
	v_mov_b64_e32 v[20:21], s[6:7]
	v_mov_b64_e32 v[22:23], s[22:23]
	s_add_co_i32 s30, s30, -2
	s_clause 0x1
	global_load_b64 v[16:17], v[16:17], off
	global_load_b64 v[18:19], v[18:19], off
	s_add_co_i32 s29, s29, 2
	s_add_co_i32 s28, s28, 2
	s_mov_b32 s16, s49
	s_mov_b32 s55, s50
	s_wait_loadcnt 0x0
	s_wait_xcnt 0x1
	v_dual_mov_b32 v25, v16 :: v_dual_mov_b32 v16, v19
	v_mov_b32_e32 v24, v18
	s_wait_xcnt 0x0
	s_delay_alu instid0(VALU_DEP_2) | instskip(SKIP_1) | instid1(VALU_DEP_2)
	v_pk_mul_f32 v[18:19], v[16:17], v[20:21]
	v_pk_mul_f32 v[16:17], v[16:17], v[22:23]
	v_pk_fma_f32 v[22:23], v[24:25], v[22:23], v[18:19] neg_lo:[0,0,1] neg_hi:[0,0,1]
	s_delay_alu instid0(VALU_DEP_2) | instskip(NEXT) | instid1(VALU_DEP_1)
	v_pk_fma_f32 v[18:19], v[24:25], v[20:21], v[16:17]
	v_dual_mov_b32 v16, v22 :: v_dual_mov_b32 v17, v18
	s_delay_alu instid0(VALU_DEP_3)
	v_mov_b32_e32 v18, v23
	scratch_store_b128 off, v[16:19], s31 offset:-8
	s_wait_xcnt 0x0
	s_add_co_i32 s31, s31, 16
	s_cmp_lg_u32 s30, 0
	s_cbranch_scc1 .LBB156_28
; %bb.29:                               ;   in Loop: Header=BB156_26 Depth=3
	s_and_b32 vcc_lo, exec_lo, s55
	s_ashr_i32 s27, s26, 31
	s_cbranch_vccnz .LBB156_31
	s_branch .LBB156_33
.LBB156_30:                             ;   in Loop: Header=BB156_26 Depth=3
	s_mov_b32 s16, 0
	s_ashr_i32 s27, s26, 31
	s_cbranch_execz .LBB156_33
.LBB156_31:                             ;   in Loop: Header=BB156_26 Depth=3
	s_lshl_b64 s[28:29], s[26:27], 3
	s_wait_xcnt 0x0
	s_lshl_b64 s[30:31], s[16:17], 3
	s_delay_alu instid0(SALU_CYCLE_1) | instskip(NEXT) | instid1(SALU_CYCLE_1)
	s_sub_nc_u64 s[28:29], s[28:29], s[30:31]
	v_add_nc_u64_e32 v[16:17], s[28:29], v[14:15]
	s_lshl_b32 s28, s16, 3
	s_sub_co_i32 s16, s47, s16
.LBB156_32:                             ;   Parent Loop BB156_4 Depth=1
                                        ;     Parent Loop BB156_23 Depth=2
                                        ;       Parent Loop BB156_26 Depth=3
                                        ; =>      This Inner Loop Header: Depth=4
	global_load_b64 v[18:19], v[16:17], off offset:-4
	v_mov_b64_e32 v[20:21], s[24:25]
	v_mov_b64_e32 v[22:23], s[18:19]
	s_wait_xcnt 0x0
	v_add_nc_u64_e32 v[16:17], -8, v[16:17]
	s_add_co_i32 s16, s16, -1
	s_wait_loadcnt 0x0
	s_delay_alu instid0(VALU_DEP_3) | instskip(NEXT) | instid1(VALU_DEP_1)
	v_pk_mul_f32 v[20:21], v[18:19], v[20:21] op_sel:[1,0]
	v_pk_fma_f32 v[24:25], v[18:19], v[22:23], v[20:21] op_sel_hi:[0,1,1]
	v_pk_fma_f32 v[18:19], v[18:19], v[22:23], v[20:21] neg_lo:[0,0,1] neg_hi:[0,0,1]
	s_delay_alu instid0(VALU_DEP_2)
	v_mov_b32_e32 v19, v25
	scratch_store_b64 off, v[18:19], s28
	s_wait_xcnt 0x0
	s_add_co_i32 s28, s28, 8
	s_cmp_eq_u32 s16, 0
	s_cbranch_scc0 .LBB156_32
.LBB156_33:                             ;   in Loop: Header=BB156_26 Depth=3
	s_cmp_le_i32 s36, s26
	s_cbranch_scc1 .LBB156_45
; %bb.34:                               ;   in Loop: Header=BB156_26 Depth=3
	s_mov_b32 s16, s26
	s_wait_xcnt 0x0
	s_mov_b32 s30, s26
	s_mov_b32 s31, s51
	;; [unrolled: 1-line block ×3, first 2 shown]
	s_branch .LBB156_36
.LBB156_35:                             ;   in Loop: Header=BB156_36 Depth=4
	s_add_co_i32 s28, s28, -1
	s_add_co_i32 s31, s31, -8
	s_cmp_le_i32 s28, s26
	s_cbranch_scc1 .LBB156_45
.LBB156_36:                             ;   Parent Loop BB156_4 Depth=1
                                        ;     Parent Loop BB156_23 Depth=2
                                        ;       Parent Loop BB156_26 Depth=3
                                        ; =>      This Loop Header: Depth=4
                                        ;           Child Loop BB156_38 Depth 5
                                        ;           Child Loop BB156_44 Depth 5
	s_ashr_i32 s29, s28, 31
	s_and_b32 vcc_lo, exec_lo, s48
	s_wait_xcnt 0x0
	v_lshl_add_u64 v[16:17], s[28:29], 3, v[12:13]
	global_load_b64 v[16:17], v[16:17], off
	s_cbranch_vccz .LBB156_40
; %bb.37:                               ;   in Loop: Header=BB156_36 Depth=4
	s_wait_loadcnt 0x0
	v_dual_mov_b32 v20, v16 :: v_dual_mov_b32 v21, v16
	v_dual_mov_b32 v18, v17 :: v_dual_mov_b32 v22, v17
	v_mov_b32_e32 v23, v17
	s_lshl_b32 s29, s28, 3
	s_mov_b32 s55, 1
	s_mov_b32 s56, 0
	;; [unrolled: 1-line block ×4, first 2 shown]
.LBB156_38:                             ;   Parent Loop BB156_4 Depth=1
                                        ;     Parent Loop BB156_23 Depth=2
                                        ;       Parent Loop BB156_26 Depth=3
                                        ;         Parent Loop BB156_36 Depth=4
                                        ; =>        This Inner Loop Header: Depth=5
	scratch_load_b128 v[24:27], off, s58 offset:-8
	s_sub_co_i32 s59, s30, s55
	s_sub_co_i32 s60, s16, s56
	s_mulk_i32 s59, 0xa0
	s_mulk_i32 s60, 0xa0
	s_add_co_i32 s59, s29, s59
	s_add_co_i32 s60, s29, s60
	s_delay_alu instid0(SALU_CYCLE_1)
	v_dual_mov_b32 v19, s59 :: v_dual_mov_b32 v30, s60
	s_add_co_i32 s57, s57, -2
	s_add_co_i32 s56, s56, 2
	ds_load_b64 v[28:29], v19
	ds_load_b64 v[30:31], v30
	s_add_co_i32 s55, s55, 2
	s_wait_dscnt 0x0
	v_dual_mov_b32 v33, v28 :: v_dual_mov_b32 v28, v31
	v_mov_b32_e32 v32, v30
	s_delay_alu instid0(VALU_DEP_2) | instskip(SKIP_1) | instid1(VALU_DEP_2)
	v_pk_mul_f32 v[30:31], v[28:29], v[22:23]
	v_pk_mul_f32 v[28:29], v[28:29], v[20:21]
	v_pk_fma_f32 v[30:31], v[32:33], v[20:21], v[30:31] neg_lo:[0,0,1] neg_hi:[0,0,1]
	s_delay_alu instid0(VALU_DEP_2) | instskip(SKIP_3) | instid1(VALU_DEP_2)
	v_pk_fma_f32 v[28:29], v[32:33], v[22:23], v[28:29]
	s_wait_loadcnt 0x0
	v_dual_mov_b32 v32, v24 :: v_dual_mov_b32 v33, v26
	v_mov_b32_e32 v26, v25
	v_pk_add_f32 v[30:31], v[32:33], v[30:31] neg_lo:[0,1] neg_hi:[0,1]
	s_delay_alu instid0(VALU_DEP_2) | instskip(NEXT) | instid1(VALU_DEP_1)
	v_pk_add_f32 v[26:27], v[26:27], v[28:29] neg_lo:[0,1] neg_hi:[0,1]
	v_dual_mov_b32 v24, v30 :: v_dual_mov_b32 v25, v26
	s_delay_alu instid0(VALU_DEP_3)
	v_mov_b32_e32 v26, v31
	scratch_store_b128 off, v[24:27], s58 offset:-8
	s_wait_xcnt 0x0
	s_add_co_i32 s58, s58, 16
	s_cmp_lg_u32 s57, 0
	s_cbranch_scc1 .LBB156_38
; %bb.39:                               ;   in Loop: Header=BB156_36 Depth=4
	s_mov_b32 s29, s50
	s_mov_b32 s55, s49
	s_branch .LBB156_42
.LBB156_40:                             ;   in Loop: Header=BB156_36 Depth=4
	s_wait_loadcnt 0x0
	v_mov_b32_e32 v18, v17
	s_mov_b32 s29, 0
	s_mov_b32 s55, s49
	s_cbranch_execz .LBB156_42
; %bb.41:                               ;   in Loop: Header=BB156_36 Depth=4
	s_mov_b32 s29, -1
	s_mov_b32 s55, 0
.LBB156_42:                             ;   in Loop: Header=BB156_36 Depth=4
	s_and_not1_b32 vcc_lo, exec_lo, s29
	s_cbranch_vccnz .LBB156_35
; %bb.43:                               ;   in Loop: Header=BB156_36 Depth=4
	s_wait_xcnt 0x0
	v_dual_mov_b32 v19, v17 :: v_dual_mov_b32 v17, v16
	s_mul_i32 s56, s55, 0xffffff60
	s_lshl_b32 s57, s55, 3
	s_sub_co_i32 s29, s47, s55
	s_add_co_i32 s55, s31, s56
	s_mov_b32 s56, s57
.LBB156_44:                             ;   Parent Loop BB156_4 Depth=1
                                        ;     Parent Loop BB156_23 Depth=2
                                        ;       Parent Loop BB156_26 Depth=3
                                        ;         Parent Loop BB156_36 Depth=4
                                        ; =>        This Inner Loop Header: Depth=5
	scratch_load_b64 v[20:21], off, s56
	v_mov_b32_e32 v22, s55
	s_add_co_i32 s29, s29, -1
	s_addk_co_i32 s55, 0xff60
	ds_load_b64 v[22:23], v22
	s_wait_dscnt 0x0
	v_pk_mul_f32 v[24:25], v[22:23], v[18:19] op_sel:[1,0] op_sel_hi:[0,1]
	s_delay_alu instid0(VALU_DEP_1) | instskip(SKIP_1) | instid1(VALU_DEP_2)
	v_pk_fma_f32 v[26:27], v[22:23], v[16:17], v[24:25]
	v_pk_fma_f32 v[22:23], v[22:23], v[16:17], v[24:25] neg_lo:[0,0,1] neg_hi:[0,0,1]
	v_mov_b32_e32 v23, v27
	s_wait_loadcnt 0x0
	s_delay_alu instid0(VALU_DEP_1)
	v_pk_add_f32 v[20:21], v[20:21], v[22:23] neg_lo:[0,1] neg_hi:[0,1]
	scratch_store_b64 off, v[20:21], s56
	s_wait_xcnt 0x0
	s_add_co_i32 s56, s56, 8
	s_cmp_eq_u32 s29, 0
	s_cbranch_scc0 .LBB156_44
	s_branch .LBB156_35
.LBB156_45:                             ;   in Loop: Header=BB156_26 Depth=3
	s_mov_b32 s16, 0
	s_mov_b32 s55, s53
	s_branch .LBB156_47
.LBB156_46:                             ;   in Loop: Header=BB156_47 Depth=4
	s_wait_xcnt 0x0
	s_mulk_i32 s30, 0xa8
	v_lshl_add_u64 v[24:25], s[28:29], 3, v[12:13]
	s_wait_xcnt 0x0
	v_mov_b32_e32 v17, s30
	s_lshl_b32 s30, s16, 3
	s_add_co_i32 s16, s16, 1
	s_addk_co_i32 s55, 0xff60
	s_cmp_eq_u32 s16, s47
	ds_load_b64 v[20:21], v17
	s_wait_dscnt 0x0
	v_pk_mul_f32 v[18:19], v[20:21], v[18:19] op_sel:[1,0] op_sel_hi:[0,0]
	s_delay_alu instid0(VALU_DEP_1) | instskip(SKIP_1) | instid1(VALU_DEP_2)
	v_pk_fma_f32 v[22:23], v[20:21], v[16:17], v[18:19] op_sel_hi:[1,0,1]
	v_pk_fma_f32 v[16:17], v[20:21], v[16:17], v[18:19] neg_lo:[0,0,1] neg_hi:[0,0,1]
	v_mov_b32_e32 v17, v23
	scratch_store_b64 off, v[16:17], s30
	global_store_b64 v[24:25], v[16:17], off
	s_cbranch_scc1 .LBB156_25
.LBB156_47:                             ;   Parent Loop BB156_4 Depth=1
                                        ;     Parent Loop BB156_23 Depth=2
                                        ;       Parent Loop BB156_26 Depth=3
                                        ; =>      This Loop Header: Depth=4
                                        ;           Child Loop BB156_49 Depth 5
	s_cmp_lg_u32 s16, 0
	s_cbranch_scc0 .LBB156_51
; %bb.48:                               ;   in Loop: Header=BB156_47 Depth=4
	s_lshl_b32 s28, s16, 3
	s_mov_b32 s29, 0
	scratch_load_b64 v[16:17], off, s28
	s_mov_b32 s30, s55
	s_mov_b32 s31, s16
.LBB156_49:                             ;   Parent Loop BB156_4 Depth=1
                                        ;     Parent Loop BB156_23 Depth=2
                                        ;       Parent Loop BB156_26 Depth=3
                                        ;         Parent Loop BB156_47 Depth=4
                                        ; =>        This Inner Loop Header: Depth=5
	scratch_load_b64 v[18:19], off, s29
	v_mov_b32_e32 v20, s30
	s_add_co_i32 s31, s31, -1
	s_add_co_i32 s30, s30, -8
	s_wait_xcnt 0x0
	s_add_co_i32 s29, s29, 8
	s_cmp_eq_u32 s31, 0
	ds_load_b64 v[20:21], v20
	s_wait_loadcnt_dscnt 0x0
	v_pk_mul_f32 v[22:23], v[20:21], v[18:19] op_sel:[1,1] op_sel_hi:[0,1]
	s_delay_alu instid0(VALU_DEP_1) | instskip(SKIP_1) | instid1(VALU_DEP_2)
	v_pk_fma_f32 v[24:25], v[20:21], v[18:19], v[22:23] op_sel_hi:[1,0,1]
	v_pk_fma_f32 v[18:19], v[20:21], v[18:19], v[22:23] neg_lo:[0,0,1] neg_hi:[0,0,1]
	v_mov_b32_e32 v19, v25
	s_delay_alu instid0(VALU_DEP_1)
	v_pk_add_f32 v[16:17], v[16:17], v[18:19] neg_lo:[0,1] neg_hi:[0,1]
	scratch_store_b64 off, v[16:17], s28
	s_cbranch_scc0 .LBB156_49
; %bb.50:                               ;   in Loop: Header=BB156_47 Depth=4
	s_sub_co_i32 s30, s26, s16
	v_mov_b32_e32 v18, v17
	s_ashr_i32 s31, s30, 31
	s_wait_xcnt 0x0
	s_mov_b64 s[28:29], s[30:31]
	s_branch .LBB156_46
.LBB156_51:                             ;   in Loop: Header=BB156_47 Depth=4
                                        ; implicit-def: $vgpr16
                                        ; implicit-def: $vgpr18
                                        ; implicit-def: $sgpr30
                                        ; implicit-def: $sgpr28_sgpr29
	s_cbranch_execz .LBB156_46
; %bb.52:                               ;   in Loop: Header=BB156_47 Depth=4
	scratch_load_b64 v[16:17], off, off
	s_mov_b64 s[28:29], s[26:27]
	s_mov_b32 s30, s26
	s_wait_loadcnt 0x0
	v_mov_b32_e32 v18, v17
	s_branch .LBB156_46
.LBB156_53:                             ;   in Loop: Header=BB156_4 Depth=1
	s_mov_b32 s3, 0
.LBB156_54:                             ;   in Loop: Header=BB156_4 Depth=1
	s_delay_alu instid0(SALU_CYCLE_1)
	s_and_b32 vcc_lo, exec_lo, s3
	s_cbranch_vccz .LBB156_2
; %bb.55:                               ;   in Loop: Header=BB156_4 Depth=1
	v_add_nc_u64_e32 v[14:15], s[14:15], v[8:9]
	s_mov_b32 s14, 0
	s_mov_b32 s3, 0
	s_branch .LBB156_57
.LBB156_56:                             ;   in Loop: Header=BB156_57 Depth=2
	s_cmp_lt_i32 s14, s35
	s_cselect_b32 s15, -1, 0
	s_add_co_i32 s16, s3, 1
	s_cmp_lt_u32 s3, 2
	s_wait_xcnt 0x0
	s_cselect_b32 s3, -1, 0
	s_delay_alu instid0(SALU_CYCLE_1) | instskip(NEXT) | instid1(SALU_CYCLE_1)
	s_and_b32 s3, s15, s3
	s_and_not1_b32 vcc_lo, exec_lo, s3
	s_mov_b32 s3, s16
	s_cbranch_vccnz .LBB156_2
.LBB156_57:                             ;   Parent Loop BB156_4 Depth=1
                                        ; =>  This Loop Header: Depth=2
                                        ;       Child Loop BB156_60 Depth 3
                                        ;         Child Loop BB156_62 Depth 4
                                        ;         Child Loop BB156_66 Depth 4
                                        ;         Child Loop BB156_70 Depth 4
                                        ;           Child Loop BB156_72 Depth 5
                                        ;           Child Loop BB156_78 Depth 5
                                        ;         Child Loop BB156_81 Depth 4
                                        ;           Child Loop BB156_83 Depth 5
	s_load_b32 s26, s[10:11], s3 offset:0x0 scale_offset
	s_wait_kmcnt 0x0
	s_add_co_i32 s28, s26, -1
	s_delay_alu instid0(SALU_CYCLE_1) | instskip(NEXT) | instid1(SALU_CYCLE_1)
	s_add_co_i32 s15, s28, s14
	s_cmp_ge_i32 s15, s35
	s_cbranch_scc1 .LBB156_56
; %bb.58:                               ;   in Loop: Header=BB156_57 Depth=2
	s_max_i32 s29, s26, 1
	s_cmp_lg_u32 s3, 2
	s_mul_i32 s48, s14, 0xa8
	s_cselect_b32 s30, -1, 0
	s_and_b32 s31, s29, 0x7ffffffe
	s_mul_i32 s49, s26, 0xa8
	s_cmp_lg_u32 s29, s31
	s_cselect_b32 s45, -1, 0
	s_ashr_i32 s15, s14, 31
	s_ashr_i32 s27, s26, 31
	s_lshl_b32 s46, s14, 3
	s_lshl_b32 s47, s26, 3
	s_branch .LBB156_60
.LBB156_59:                             ;   in Loop: Header=BB156_60 Depth=3
	s_add_nc_u64 s[14:15], s[14:15], s[26:27]
	s_add_co_i32 s46, s46, s47
	s_add_co_i32 s16, s28, s14
	;; [unrolled: 1-line block ×3, first 2 shown]
	s_cmp_ge_i32 s16, s35
	s_cbranch_scc1 .LBB156_56
.LBB156_60:                             ;   Parent Loop BB156_4 Depth=1
                                        ;     Parent Loop BB156_57 Depth=2
                                        ; =>    This Loop Header: Depth=3
                                        ;         Child Loop BB156_62 Depth 4
                                        ;         Child Loop BB156_66 Depth 4
	;; [unrolled: 1-line block ×3, first 2 shown]
                                        ;           Child Loop BB156_72 Depth 5
                                        ;           Child Loop BB156_78 Depth 5
                                        ;         Child Loop BB156_81 Depth 4
                                        ;           Child Loop BB156_83 Depth 5
	s_and_not1_b32 vcc_lo, exec_lo, s30
	s_cbranch_vccnz .LBB156_64
; %bb.61:                               ;   in Loop: Header=BB156_60 Depth=3
	s_mov_b32 s50, s14
	s_wait_xcnt 0x0
	s_mov_b32 s51, s14
	s_mov_b32 s52, 1
	;; [unrolled: 1-line block ×5, first 2 shown]
.LBB156_62:                             ;   Parent Loop BB156_4 Depth=1
                                        ;     Parent Loop BB156_57 Depth=2
                                        ;       Parent Loop BB156_60 Depth=3
                                        ; =>      This Inner Loop Header: Depth=4
	s_add_co_i32 s56, s52, s51
	s_add_co_i32 s58, s53, s50
	s_ashr_i32 s57, s56, 31
	s_ashr_i32 s59, s58, 31
	v_lshl_add_u64 v[16:17], s[56:57], 3, v[12:13]
	v_lshl_add_u64 v[18:19], s[58:59], 3, v[12:13]
	v_mov_b64_e32 v[20:21], s[6:7]
	v_mov_b64_e32 v[22:23], s[22:23]
	s_add_co_i32 s54, s54, -2
	s_clause 0x1
	global_load_b64 v[16:17], v[16:17], off
	global_load_b64 v[18:19], v[18:19], off
	s_add_co_i32 s53, s53, 2
	s_add_co_i32 s52, s52, 2
	s_mov_b32 s16, s31
	s_mov_b32 s56, s45
	s_wait_loadcnt 0x0
	s_wait_xcnt 0x1
	v_dual_mov_b32 v25, v16 :: v_dual_mov_b32 v16, v19
	v_mov_b32_e32 v24, v18
	s_wait_xcnt 0x0
	s_delay_alu instid0(VALU_DEP_2) | instskip(SKIP_1) | instid1(VALU_DEP_2)
	v_pk_mul_f32 v[18:19], v[16:17], v[20:21]
	v_pk_mul_f32 v[16:17], v[16:17], v[22:23]
	v_pk_fma_f32 v[22:23], v[24:25], v[22:23], v[18:19] neg_lo:[0,0,1] neg_hi:[0,0,1]
	s_delay_alu instid0(VALU_DEP_2) | instskip(NEXT) | instid1(VALU_DEP_1)
	v_pk_fma_f32 v[18:19], v[24:25], v[20:21], v[16:17]
	v_dual_mov_b32 v16, v22 :: v_dual_mov_b32 v17, v18
	s_delay_alu instid0(VALU_DEP_3)
	v_mov_b32_e32 v18, v23
	scratch_store_b128 off, v[16:19], s55 offset:-8
	s_wait_xcnt 0x0
	s_add_co_i32 s55, s55, 16
	s_cmp_lg_u32 s54, 0
	s_cbranch_scc1 .LBB156_62
; %bb.63:                               ;   in Loop: Header=BB156_60 Depth=3
	s_and_b32 vcc_lo, exec_lo, s56
	s_cbranch_vccnz .LBB156_65
	s_branch .LBB156_67
.LBB156_64:                             ;   in Loop: Header=BB156_60 Depth=3
	s_mov_b32 s16, 0
	s_cbranch_execz .LBB156_67
.LBB156_65:                             ;   in Loop: Header=BB156_60 Depth=3
	s_wait_xcnt 0x0
	s_add_nc_u64 s[50:51], s[14:15], s[16:17]
	s_delay_alu instid0(SALU_CYCLE_1)
	v_lshl_add_u64 v[16:17], s[50:51], 3, v[14:15]
	s_lshl_b32 s50, s16, 3
	s_sub_co_i32 s16, s29, s16
.LBB156_66:                             ;   Parent Loop BB156_4 Depth=1
                                        ;     Parent Loop BB156_57 Depth=2
                                        ;       Parent Loop BB156_60 Depth=3
                                        ; =>      This Inner Loop Header: Depth=4
	global_load_b64 v[18:19], v[16:17], off offset:-4
	v_mov_b64_e32 v[20:21], s[24:25]
	v_mov_b64_e32 v[22:23], s[18:19]
	s_wait_xcnt 0x0
	v_add_nc_u64_e32 v[16:17], 8, v[16:17]
	s_add_co_i32 s16, s16, -1
	s_wait_loadcnt 0x0
	s_delay_alu instid0(VALU_DEP_3) | instskip(NEXT) | instid1(VALU_DEP_1)
	v_pk_mul_f32 v[20:21], v[18:19], v[20:21] op_sel:[1,0]
	v_pk_fma_f32 v[24:25], v[18:19], v[22:23], v[20:21] op_sel_hi:[0,1,1]
	v_pk_fma_f32 v[18:19], v[18:19], v[22:23], v[20:21] neg_lo:[0,0,1] neg_hi:[0,0,1]
	s_delay_alu instid0(VALU_DEP_2)
	v_mov_b32_e32 v19, v25
	scratch_store_b64 off, v[18:19], s50
	s_wait_xcnt 0x0
	s_add_co_i32 s50, s50, 8
	s_cmp_eq_u32 s16, 0
	s_cbranch_scc0 .LBB156_66
.LBB156_67:                             ;   in Loop: Header=BB156_60 Depth=3
	s_cmp_lt_i32 s14, 1
	s_cbranch_scc1 .LBB156_79
; %bb.68:                               ;   in Loop: Header=BB156_60 Depth=3
	s_mov_b32 s16, 0
	s_mov_b32 s50, s46
	s_branch .LBB156_70
.LBB156_69:                             ;   in Loop: Header=BB156_70 Depth=4
	s_add_co_i32 s16, s16, 1
	s_addk_co_i32 s50, 0xa0
	s_cmp_eq_u32 s16, s14
	s_cbranch_scc1 .LBB156_79
.LBB156_70:                             ;   Parent Loop BB156_4 Depth=1
                                        ;     Parent Loop BB156_57 Depth=2
                                        ;       Parent Loop BB156_60 Depth=3
                                        ; =>      This Loop Header: Depth=4
                                        ;           Child Loop BB156_72 Depth 5
                                        ;           Child Loop BB156_78 Depth 5
	s_wait_xcnt 0x0
	v_lshl_add_u64 v[16:17], s[16:17], 3, v[12:13]
	s_and_b32 vcc_lo, exec_lo, s30
	global_load_b64 v[16:17], v[16:17], off
	s_cbranch_vccz .LBB156_74
; %bb.71:                               ;   in Loop: Header=BB156_70 Depth=4
	s_wait_loadcnt 0x0
	v_dual_mov_b32 v20, v16 :: v_dual_mov_b32 v21, v16
	v_dual_mov_b32 v18, v17 :: v_dual_mov_b32 v22, v17
	v_mov_b32_e32 v23, v17
	s_mov_b32 s51, s31
	s_mov_b32 s52, s39
	;; [unrolled: 1-line block ×3, first 2 shown]
.LBB156_72:                             ;   Parent Loop BB156_4 Depth=1
                                        ;     Parent Loop BB156_57 Depth=2
                                        ;       Parent Loop BB156_60 Depth=3
                                        ;         Parent Loop BB156_70 Depth=4
                                        ; =>        This Inner Loop Header: Depth=5
	scratch_load_b128 v[24:27], off, s52 offset:-8
	v_mov_b32_e32 v19, s53
	s_add_co_i32 s51, s51, -2
	s_add_co_i32 s53, s53, 16
	ds_load_2addr_b64 v[28:31], v19 offset1:1
	s_wait_dscnt 0x0
	v_dual_mov_b32 v33, v30 :: v_dual_mov_b32 v30, v29
	v_mov_b32_e32 v32, v28
	s_delay_alu instid0(VALU_DEP_2) | instskip(SKIP_1) | instid1(VALU_DEP_2)
	v_pk_mul_f32 v[28:29], v[30:31], v[22:23]
	v_pk_mul_f32 v[30:31], v[30:31], v[20:21]
	v_pk_fma_f32 v[28:29], v[32:33], v[20:21], v[28:29] neg_lo:[0,0,1] neg_hi:[0,0,1]
	s_delay_alu instid0(VALU_DEP_2) | instskip(SKIP_2) | instid1(VALU_DEP_1)
	v_pk_fma_f32 v[30:31], v[32:33], v[22:23], v[30:31]
	s_wait_loadcnt 0x0
	v_dual_mov_b32 v32, v24 :: v_dual_mov_b32 v33, v26
	v_pk_add_f32 v[28:29], v[32:33], v[28:29] neg_lo:[0,1] neg_hi:[0,1]
	s_delay_alu instid0(VALU_DEP_1) | instskip(NEXT) | instid1(VALU_DEP_1)
	v_dual_mov_b32 v26, v25 :: v_dual_mov_b32 v24, v28
	v_pk_add_f32 v[26:27], v[26:27], v[30:31] neg_lo:[0,1] neg_hi:[0,1]
	s_delay_alu instid0(VALU_DEP_1)
	v_dual_mov_b32 v25, v26 :: v_dual_mov_b32 v26, v29
	scratch_store_b128 off, v[24:27], s52 offset:-8
	s_wait_xcnt 0x0
	s_add_co_i32 s52, s52, 16
	s_cmp_lg_u32 s51, 0
	s_cbranch_scc1 .LBB156_72
; %bb.73:                               ;   in Loop: Header=BB156_70 Depth=4
	s_mov_b32 s51, s45
	s_mov_b32 s52, s31
	s_branch .LBB156_76
.LBB156_74:                             ;   in Loop: Header=BB156_70 Depth=4
	s_wait_loadcnt 0x0
	v_mov_b32_e32 v18, v17
	s_mov_b32 s51, 0
	s_mov_b32 s52, s31
	s_cbranch_execz .LBB156_76
; %bb.75:                               ;   in Loop: Header=BB156_70 Depth=4
	s_mov_b32 s51, -1
	s_mov_b32 s52, 0
.LBB156_76:                             ;   in Loop: Header=BB156_70 Depth=4
	s_and_not1_b32 vcc_lo, exec_lo, s51
	s_cbranch_vccnz .LBB156_69
; %bb.77:                               ;   in Loop: Header=BB156_70 Depth=4
	s_wait_xcnt 0x0
	v_dual_mov_b32 v19, v17 :: v_dual_mov_b32 v17, v16
	s_sub_co_i32 s51, s29, s52
	s_lshl_b32 s52, s52, 3
.LBB156_78:                             ;   Parent Loop BB156_4 Depth=1
                                        ;     Parent Loop BB156_57 Depth=2
                                        ;       Parent Loop BB156_60 Depth=3
                                        ;         Parent Loop BB156_70 Depth=4
                                        ; =>        This Inner Loop Header: Depth=5
	scratch_load_b64 v[20:21], off, s52
	s_add_co_i32 s54, s50, s52
	s_add_co_i32 s51, s51, -1
	v_mov_b32_e32 v22, s54
	s_mov_b32 s53, s52
	s_wait_xcnt 0x0
	s_add_co_i32 s52, s52, 8
	s_cmp_eq_u32 s51, 0
	ds_load_b64 v[22:23], v22
	s_wait_dscnt 0x0
	v_pk_mul_f32 v[24:25], v[22:23], v[18:19] op_sel:[1,0] op_sel_hi:[0,1]
	s_delay_alu instid0(VALU_DEP_1) | instskip(SKIP_1) | instid1(VALU_DEP_2)
	v_pk_fma_f32 v[26:27], v[22:23], v[16:17], v[24:25]
	v_pk_fma_f32 v[22:23], v[22:23], v[16:17], v[24:25] neg_lo:[0,0,1] neg_hi:[0,0,1]
	v_mov_b32_e32 v23, v27
	s_wait_loadcnt 0x0
	s_delay_alu instid0(VALU_DEP_1)
	v_pk_add_f32 v[20:21], v[20:21], v[22:23] neg_lo:[0,1] neg_hi:[0,1]
	scratch_store_b64 off, v[20:21], s53
	s_cbranch_scc0 .LBB156_78
	s_branch .LBB156_69
.LBB156_79:                             ;   in Loop: Header=BB156_60 Depth=3
	s_mov_b32 s16, 0
	s_mov_b32 s50, s48
	s_branch .LBB156_81
.LBB156_80:                             ;   in Loop: Header=BB156_81 Depth=4
	s_add_co_i32 s52, s16, s14
	s_add_co_i32 s50, s50, 8
	s_mul_i32 s51, s52, 0xa8
	s_wait_xcnt 0x0
	s_ashr_i32 s53, s52, 31
	v_mov_b32_e32 v17, s51
	s_lshl_b32 s51, s16, 3
	s_add_co_i32 s16, s16, 1
	s_delay_alu instid0(SALU_CYCLE_1) | instskip(SKIP_3) | instid1(VALU_DEP_1)
	s_cmp_eq_u32 s16, s29
	ds_load_b64 v[20:21], v17
	s_wait_dscnt 0x0
	v_pk_mul_f32 v[18:19], v[20:21], v[18:19] op_sel:[1,0] op_sel_hi:[0,0]
	v_pk_fma_f32 v[22:23], v[20:21], v[16:17], v[18:19] op_sel_hi:[1,0,1]
	v_pk_fma_f32 v[16:17], v[20:21], v[16:17], v[18:19] neg_lo:[0,0,1] neg_hi:[0,0,1]
	v_lshl_add_u64 v[18:19], s[52:53], 3, v[12:13]
	s_delay_alu instid0(VALU_DEP_3)
	v_mov_b32_e32 v17, v23
	scratch_store_b64 off, v[16:17], s51
	global_store_b64 v[18:19], v[16:17], off
	s_cbranch_scc1 .LBB156_59
.LBB156_81:                             ;   Parent Loop BB156_4 Depth=1
                                        ;     Parent Loop BB156_57 Depth=2
                                        ;       Parent Loop BB156_60 Depth=3
                                        ; =>      This Loop Header: Depth=4
                                        ;           Child Loop BB156_83 Depth 5
	s_cmp_lg_u32 s16, 0
	s_cbranch_scc0 .LBB156_85
; %bb.82:                               ;   in Loop: Header=BB156_81 Depth=4
	s_wait_xcnt 0x0
	s_lshl_b32 s51, s16, 3
	s_mov_b32 s52, 0
	scratch_load_b64 v[16:17], off, s51
	s_mov_b32 s53, s50
	s_mov_b32 s54, s16
.LBB156_83:                             ;   Parent Loop BB156_4 Depth=1
                                        ;     Parent Loop BB156_57 Depth=2
                                        ;       Parent Loop BB156_60 Depth=3
                                        ;         Parent Loop BB156_81 Depth=4
                                        ; =>        This Inner Loop Header: Depth=5
	scratch_load_b64 v[18:19], off, s52
	v_mov_b32_e32 v20, s53
	s_add_co_i32 s54, s54, -1
	s_addk_co_i32 s53, 0xa0
	s_wait_xcnt 0x0
	s_add_co_i32 s52, s52, 8
	s_cmp_eq_u32 s54, 0
	ds_load_b64 v[20:21], v20
	s_wait_loadcnt_dscnt 0x0
	v_pk_mul_f32 v[22:23], v[20:21], v[18:19] op_sel:[1,1] op_sel_hi:[0,1]
	s_delay_alu instid0(VALU_DEP_1) | instskip(SKIP_1) | instid1(VALU_DEP_2)
	v_pk_fma_f32 v[24:25], v[20:21], v[18:19], v[22:23] op_sel_hi:[1,0,1]
	v_pk_fma_f32 v[18:19], v[20:21], v[18:19], v[22:23] neg_lo:[0,0,1] neg_hi:[0,0,1]
	v_mov_b32_e32 v19, v25
	s_delay_alu instid0(VALU_DEP_1)
	v_pk_add_f32 v[16:17], v[16:17], v[18:19] neg_lo:[0,1] neg_hi:[0,1]
	scratch_store_b64 off, v[16:17], s51
	s_cbranch_scc0 .LBB156_83
; %bb.84:                               ;   in Loop: Header=BB156_81 Depth=4
	v_mov_b32_e32 v18, v17
	s_wait_xcnt 0x0
	s_branch .LBB156_80
.LBB156_85:                             ;   in Loop: Header=BB156_81 Depth=4
	s_wait_xcnt 0x0
                                        ; implicit-def: $vgpr16
                                        ; implicit-def: $vgpr18
	s_cbranch_execz .LBB156_80
; %bb.86:                               ;   in Loop: Header=BB156_81 Depth=4
	scratch_load_b64 v[16:17], off, off
	s_wait_loadcnt 0x0
	v_mov_b32_e32 v18, v17
	s_branch .LBB156_80
.LBB156_87:
	s_or_b32 exec_lo, exec_lo, s41
	s_and_saveexec_b32 s0, s42
	s_delay_alu instid0(SALU_CYCLE_1)
	s_xor_b32 s0, exec_lo, s0
.LBB156_88:
	s_endpgm
	.section	.rodata,"a",@progbits
	.p2align	6, 0x0
	.amdhsa_kernel _ZL30rocblas_trsm_small_left_deviceILi20ELi20ELb1E19rocblas_complex_numIfES1_PKS1_PS1_Ev13rocblas_fill_18rocblas_operation_17rocblas_diagonal_iiT3_T4_lilT5_lili
		.amdhsa_group_segment_fixed_size 3200
		.amdhsa_private_segment_fixed_size 176
		.amdhsa_kernarg_size 360
		.amdhsa_user_sgpr_count 2
		.amdhsa_user_sgpr_dispatch_ptr 0
		.amdhsa_user_sgpr_queue_ptr 0
		.amdhsa_user_sgpr_kernarg_segment_ptr 1
		.amdhsa_user_sgpr_dispatch_id 0
		.amdhsa_user_sgpr_kernarg_preload_length 0
		.amdhsa_user_sgpr_kernarg_preload_offset 0
		.amdhsa_user_sgpr_private_segment_size 0
		.amdhsa_wavefront_size32 1
		.amdhsa_uses_dynamic_stack 0
		.amdhsa_enable_private_segment 1
		.amdhsa_system_sgpr_workgroup_id_x 1
		.amdhsa_system_sgpr_workgroup_id_y 0
		.amdhsa_system_sgpr_workgroup_id_z 1
		.amdhsa_system_sgpr_workgroup_info 0
		.amdhsa_system_vgpr_workitem_id 0
		.amdhsa_next_free_vgpr 34
		.amdhsa_next_free_sgpr 61
		.amdhsa_named_barrier_count 0
		.amdhsa_reserve_vcc 1
		.amdhsa_float_round_mode_32 0
		.amdhsa_float_round_mode_16_64 0
		.amdhsa_float_denorm_mode_32 3
		.amdhsa_float_denorm_mode_16_64 3
		.amdhsa_fp16_overflow 0
		.amdhsa_memory_ordered 1
		.amdhsa_forward_progress 1
		.amdhsa_inst_pref_size 33
		.amdhsa_round_robin_scheduling 0
		.amdhsa_exception_fp_ieee_invalid_op 0
		.amdhsa_exception_fp_denorm_src 0
		.amdhsa_exception_fp_ieee_div_zero 0
		.amdhsa_exception_fp_ieee_overflow 0
		.amdhsa_exception_fp_ieee_underflow 0
		.amdhsa_exception_fp_ieee_inexact 0
		.amdhsa_exception_int_div_zero 0
	.end_amdhsa_kernel
	.section	.text._ZL30rocblas_trsm_small_left_deviceILi20ELi20ELb1E19rocblas_complex_numIfES1_PKS1_PS1_Ev13rocblas_fill_18rocblas_operation_17rocblas_diagonal_iiT3_T4_lilT5_lili,"axG",@progbits,_ZL30rocblas_trsm_small_left_deviceILi20ELi20ELb1E19rocblas_complex_numIfES1_PKS1_PS1_Ev13rocblas_fill_18rocblas_operation_17rocblas_diagonal_iiT3_T4_lilT5_lili,comdat
.Lfunc_end156:
	.size	_ZL30rocblas_trsm_small_left_deviceILi20ELi20ELb1E19rocblas_complex_numIfES1_PKS1_PS1_Ev13rocblas_fill_18rocblas_operation_17rocblas_diagonal_iiT3_T4_lilT5_lili, .Lfunc_end156-_ZL30rocblas_trsm_small_left_deviceILi20ELi20ELb1E19rocblas_complex_numIfES1_PKS1_PS1_Ev13rocblas_fill_18rocblas_operation_17rocblas_diagonal_iiT3_T4_lilT5_lili
                                        ; -- End function
	.set _ZL30rocblas_trsm_small_left_deviceILi20ELi20ELb1E19rocblas_complex_numIfES1_PKS1_PS1_Ev13rocblas_fill_18rocblas_operation_17rocblas_diagonal_iiT3_T4_lilT5_lili.num_vgpr, 34
	.set _ZL30rocblas_trsm_small_left_deviceILi20ELi20ELb1E19rocblas_complex_numIfES1_PKS1_PS1_Ev13rocblas_fill_18rocblas_operation_17rocblas_diagonal_iiT3_T4_lilT5_lili.num_agpr, 0
	.set _ZL30rocblas_trsm_small_left_deviceILi20ELi20ELb1E19rocblas_complex_numIfES1_PKS1_PS1_Ev13rocblas_fill_18rocblas_operation_17rocblas_diagonal_iiT3_T4_lilT5_lili.numbered_sgpr, 61
	.set _ZL30rocblas_trsm_small_left_deviceILi20ELi20ELb1E19rocblas_complex_numIfES1_PKS1_PS1_Ev13rocblas_fill_18rocblas_operation_17rocblas_diagonal_iiT3_T4_lilT5_lili.num_named_barrier, 0
	.set _ZL30rocblas_trsm_small_left_deviceILi20ELi20ELb1E19rocblas_complex_numIfES1_PKS1_PS1_Ev13rocblas_fill_18rocblas_operation_17rocblas_diagonal_iiT3_T4_lilT5_lili.private_seg_size, 176
	.set _ZL30rocblas_trsm_small_left_deviceILi20ELi20ELb1E19rocblas_complex_numIfES1_PKS1_PS1_Ev13rocblas_fill_18rocblas_operation_17rocblas_diagonal_iiT3_T4_lilT5_lili.uses_vcc, 1
	.set _ZL30rocblas_trsm_small_left_deviceILi20ELi20ELb1E19rocblas_complex_numIfES1_PKS1_PS1_Ev13rocblas_fill_18rocblas_operation_17rocblas_diagonal_iiT3_T4_lilT5_lili.uses_flat_scratch, 0
	.set _ZL30rocblas_trsm_small_left_deviceILi20ELi20ELb1E19rocblas_complex_numIfES1_PKS1_PS1_Ev13rocblas_fill_18rocblas_operation_17rocblas_diagonal_iiT3_T4_lilT5_lili.has_dyn_sized_stack, 0
	.set _ZL30rocblas_trsm_small_left_deviceILi20ELi20ELb1E19rocblas_complex_numIfES1_PKS1_PS1_Ev13rocblas_fill_18rocblas_operation_17rocblas_diagonal_iiT3_T4_lilT5_lili.has_recursion, 0
	.set _ZL30rocblas_trsm_small_left_deviceILi20ELi20ELb1E19rocblas_complex_numIfES1_PKS1_PS1_Ev13rocblas_fill_18rocblas_operation_17rocblas_diagonal_iiT3_T4_lilT5_lili.has_indirect_call, 0
	.section	.AMDGPU.csdata,"",@progbits
; Kernel info:
; codeLenInByte = 4104
; TotalNumSgprs: 63
; NumVgprs: 34
; ScratchSize: 176
; MemoryBound: 0
; FloatMode: 240
; IeeeMode: 1
; LDSByteSize: 3200 bytes/workgroup (compile time only)
; SGPRBlocks: 0
; VGPRBlocks: 2
; NumSGPRsForWavesPerEU: 63
; NumVGPRsForWavesPerEU: 34
; NamedBarCnt: 0
; Occupancy: 16
; WaveLimiterHint : 1
; COMPUTE_PGM_RSRC2:SCRATCH_EN: 1
; COMPUTE_PGM_RSRC2:USER_SGPR: 2
; COMPUTE_PGM_RSRC2:TRAP_HANDLER: 0
; COMPUTE_PGM_RSRC2:TGID_X_EN: 1
; COMPUTE_PGM_RSRC2:TGID_Y_EN: 0
; COMPUTE_PGM_RSRC2:TGID_Z_EN: 1
; COMPUTE_PGM_RSRC2:TIDIG_COMP_CNT: 0
	.section	.text._ZL31rocblas_trsm_small_right_deviceI19rocblas_complex_numIfES1_PKS1_PS1_Li20EEv13rocblas_fill_18rocblas_operation_17rocblas_diagonal_iiT0_T1_lilT2_lili,"axG",@progbits,_ZL31rocblas_trsm_small_right_deviceI19rocblas_complex_numIfES1_PKS1_PS1_Li20EEv13rocblas_fill_18rocblas_operation_17rocblas_diagonal_iiT0_T1_lilT2_lili,comdat
	.globl	_ZL31rocblas_trsm_small_right_deviceI19rocblas_complex_numIfES1_PKS1_PS1_Li20EEv13rocblas_fill_18rocblas_operation_17rocblas_diagonal_iiT0_T1_lilT2_lili ; -- Begin function _ZL31rocblas_trsm_small_right_deviceI19rocblas_complex_numIfES1_PKS1_PS1_Li20EEv13rocblas_fill_18rocblas_operation_17rocblas_diagonal_iiT0_T1_lilT2_lili
	.p2align	8
	.type	_ZL31rocblas_trsm_small_right_deviceI19rocblas_complex_numIfES1_PKS1_PS1_Li20EEv13rocblas_fill_18rocblas_operation_17rocblas_diagonal_iiT0_T1_lilT2_lili,@function
_ZL31rocblas_trsm_small_right_deviceI19rocblas_complex_numIfES1_PKS1_PS1_Li20EEv13rocblas_fill_18rocblas_operation_17rocblas_diagonal_iiT0_T1_lilT2_lili: ; @_ZL31rocblas_trsm_small_right_deviceI19rocblas_complex_numIfES1_PKS1_PS1_Li20EEv13rocblas_fill_18rocblas_operation_17rocblas_diagonal_iiT0_T1_lilT2_lili
; %bb.0:
	s_load_b32 s33, s[0:1], 0x60
	s_bfe_u32 s2, ttmp6, 0x40014
	s_lshr_b32 s4, ttmp7, 16
	s_add_co_i32 s2, s2, 1
	s_bfe_u32 s5, ttmp6, 0x40008
	s_mul_i32 s2, s4, s2
	s_getreg_b32 s3, hwreg(HW_REG_IB_STS2, 6, 4)
	s_add_co_i32 s5, s5, s2
	s_cmp_eq_u32 s3, 0
	s_mov_b32 s19, 0
	s_cselect_b32 s2, s4, s5
	s_wait_kmcnt 0x0
	s_cmp_ge_u32 s2, s33
	s_cbranch_scc1 .LBB157_155
; %bb.1:
	s_clause 0x7
	s_load_b96 s[20:22], s[0:1], 0x48
	s_load_b32 s26, s[0:1], 0x30
	s_load_b128 s[12:15], s[0:1], 0x0
	s_load_b96 s[16:18], s[0:1], 0x10
	s_load_b32 s23, s[0:1], 0x68
	s_load_b128 s[8:11], s[0:1], 0x20
	s_load_b128 s[4:7], s[0:1], 0x38
	s_load_b64 s[24:25], s[0:1], 0x58
	v_dual_mov_b32 v15, 0 :: v_dual_lshlrev_b32 v12, 3, v0
	v_mul_u32_u24_e32 v1, 0xa0, v0
	v_mov_b64_e32 v[22:23], 0x3f800000
	v_lshlrev_b32_e32 v14, 3, v0
	s_delay_alu instid0(VALU_DEP_4) | instskip(NEXT) | instid1(VALU_DEP_4)
	v_dual_mov_b32 v13, v15 :: v_dual_add_nc_u32 v26, 0xc80, v12
	v_add_nc_u32_e32 v28, v12, v1
	s_wait_kmcnt 0x0
	s_ashr_i32 s29, s22, 31
	s_mov_b32 s28, s22
	s_ashr_i32 s27, s26, 31
	s_cmp_eq_u64 s[28:29], 1
	s_mov_b32 s22, s18
	s_cselect_b32 s34, -1, 0
	s_lshl_b64 s[0:1], s[20:21], 3
	s_cmp_lg_u32 s12, 0x7a
	s_cselect_b32 s35, -1, 0
	s_cmp_lg_u32 s13, 0x71
	s_cselect_b32 s36, -1, 0
	s_bfe_u32 s20, ttmp6, 0x4000c
	s_min_i32 s37, s16, 20
	s_add_co_i32 s20, s20, 1
	s_and_b32 s21, ttmp6, 15
	s_mul_i32 s20, ttmp9, s20
	s_add_co_i32 s23, s23, -1
	s_add_co_i32 s38, s37, -1
	s_add_co_i32 s21, s21, s20
	s_cmp_eq_u32 s3, 0
	s_mov_b32 s20, s17
	s_cselect_b32 s30, ttmp9, s21
	s_mov_b32 s21, s18
	s_mul_i32 s3, s30, 0xffffffec
	s_delay_alu instid0(SALU_CYCLE_1)
	s_add_co_i32 s3, s15, s3
	s_cmp_ge_u32 s30, s23
	s_mov_b32 s15, s17
	s_cselect_b32 s3, s3, 20
	s_ashr_i32 s31, s30, 31
	s_cmp_eq_u32 s14, 0x84
	v_cmp_gt_i32_e32 vcc_lo, s3, v0
	s_cselect_b32 s39, -1, 0
	s_cmp_gt_i32 s16, 0
	s_mul_u64 s[30:31], s[30:31], 0xa0
	s_cselect_b32 s43, -1, 0
	s_cmp_lg_u32 s13, 0x6f
	s_mov_b32 s14, s17
	s_cselect_b32 s13, -1, 0
	s_cmp_lg_u32 s12, 0x79
	s_mov_b32 s23, s18
	s_cselect_b32 s3, -1, 0
	s_or_b32 s40, s35, s13
	s_or_b32 s41, s3, s13
	s_cmp_gt_i32 s16, 3
	v_cndmask_b32_e64 v27, 0, 1, s3
	s_cselect_b32 s42, -1, 0
	s_and_b32 s43, vcc_lo, s43
	s_cmp_gt_u32 s16, 1
	s_mov_b32 s13, s17
	s_cselect_b32 s3, -1, 0
	s_and_b32 s44, s16, 0x7ffffffe
	s_and_b32 s45, s3, s34
	s_cmp_lg_u32 s16, s44
	s_add_nc_u64 s[34:35], s[30:31], s[0:1]
	s_cselect_b32 s46, -1, 0
	s_lshl_b64 s[10:11], s[10:11], 3
	s_mul_i32 s17, s37, 0xa0
	s_add_nc_u64 s[8:9], s[8:9], s[10:11]
	s_add_nc_u64 s[10:11], s[6:7], s[34:35]
	v_add_nc_u64_e32 v[2:3], s[8:9], v[12:13]
	v_add_nc_u64_e32 v[16:17], s[10:11], v[12:13]
	s_add_nc_u64 s[6:7], s[6:7], s[0:1]
	v_cmp_gt_i32_e64 s0, s37, v0
	v_add3_u32 v13, s17, v12, 0xbe0
	s_mul_i32 s1, s37, 0xa8
	s_lshl_b32 s48, s37, 3
	v_add_nc_u64_e32 v[18:19], 4, v[2:3]
	v_add_nc_u64_e32 v[20:21], 4, v[16:17]
	s_mov_b32 s12, s18
	s_add_nc_u64 s[6:7], s[6:7], s[30:31]
	s_lshl_b64 s[4:5], s[4:5], 3
	s_lshl_b64 s[8:9], s[26:27], 3
	;; [unrolled: 1-line block ×4, first 2 shown]
	s_addk_co_i32 s17, 0xff60
	s_add_co_i32 s47, s1, 0xfffffd78
	s_add_co_i32 s48, s48, -8
	s_branch .LBB157_3
.LBB157_2:                              ;   in Loop: Header=BB157_3 Depth=1
	s_or_b32 exec_lo, exec_lo, s3
	s_add_co_i32 s2, s2, 0x10000
	s_delay_alu instid0(SALU_CYCLE_1)
	s_cmp_lt_u32 s2, s33
	s_cbranch_scc0 .LBB157_155
.LBB157_3:                              ; =>This Loop Header: Depth=1
                                        ;     Child Loop BB157_6 Depth 2
                                        ;     Child Loop BB157_15 Depth 2
	;; [unrolled: 1-line block ×4, first 2 shown]
                                        ;       Child Loop BB157_26 Depth 3
                                        ;     Child Loop BB157_48 Depth 2
                                        ;       Child Loop BB157_49 Depth 3
                                        ;     Child Loop BB157_57 Depth 2
	;; [unrolled: 2-line block ×8, first 2 shown]
	s_mov_b32 s3, s19
	s_and_saveexec_b32 s18, s0
	s_cbranch_execz .LBB157_12
; %bb.4:                                ;   in Loop: Header=BB157_3 Depth=1
	v_mad_nc_u64_u32 v[0:1], s4, s2, v[18:19]
	v_mov_b32_e32 v4, v12
	s_mov_b32 s28, s37
	s_delay_alu instid0(VALU_DEP_2)
	v_mad_u32 v1, s5, s2, v1
	s_branch .LBB157_6
.LBB157_5:                              ;   in Loop: Header=BB157_6 Depth=2
	global_load_b32 v2, v[0:1], off offset:-4
	s_wait_xcnt 0x0
	v_add_nc_u64_e32 v[0:1], s[8:9], v[0:1]
	s_add_co_i32 s28, s28, -1
	s_delay_alu instid0(SALU_CYCLE_1)
	s_cmp_eq_u32 s28, 0
	s_wait_loadcnt 0x0
	ds_store_b64 v4, v[2:3]
	v_add_nc_u32_e32 v4, 0xa0, v4
	s_cbranch_scc1 .LBB157_10
.LBB157_6:                              ;   Parent Loop BB157_3 Depth=1
                                        ; =>  This Inner Loop Header: Depth=2
	s_and_b32 vcc_lo, exec_lo, s36
	s_mov_b32 s29, -1
                                        ; implicit-def: $vgpr3
	s_cbranch_vccz .LBB157_8
; %bb.7:                                ;   in Loop: Header=BB157_6 Depth=2
	global_load_b32 v3, v[0:1], off
	s_mov_b32 s29, 0
.LBB157_8:                              ;   in Loop: Header=BB157_6 Depth=2
	s_delay_alu instid0(SALU_CYCLE_1)
	s_and_not1_b32 vcc_lo, exec_lo, s29
	s_cbranch_vccnz .LBB157_5
; %bb.9:                                ;   in Loop: Header=BB157_6 Depth=2
	global_load_b32 v2, v[0:1], off
	s_wait_loadcnt 0x0
	v_xor_b32_e32 v3, 0x80000000, v2
	s_branch .LBB157_5
.LBB157_10:                             ;   in Loop: Header=BB157_3 Depth=1
	s_and_b32 vcc_lo, exec_lo, s39
	s_cbranch_vccz .LBB157_12
; %bb.11:                               ;   in Loop: Header=BB157_3 Depth=1
	ds_store_b64 v28, v[22:23]
.LBB157_12:                             ;   in Loop: Header=BB157_3 Depth=1
	s_or_b32 exec_lo, exec_lo, s18
	s_mul_u64 s[28:29], s[26:27], s[2:3]
	s_and_saveexec_b32 s49, s43
	s_cbranch_execz .LBB157_20
; %bb.13:                               ;   in Loop: Header=BB157_3 Depth=1
	s_and_not1_b32 vcc_lo, exec_lo, s45
	s_cbranch_vccnz .LBB157_17
; %bb.14:                               ;   in Loop: Header=BB157_3 Depth=1
	s_mul_u64 s[30:31], s[24:25], s[2:3]
	s_mov_b32 s18, 0
	s_lshl_b64 s[30:31], s[30:31], 3
	s_mov_b32 s3, s44
	s_add_nc_u64 s[30:31], s[6:7], s[30:31]
	s_delay_alu instid0(SALU_CYCLE_1)
	v_add_nc_u64_e32 v[0:1], s[30:31], v[14:15]
	s_mov_b32 s30, 1
.LBB157_15:                             ;   Parent Loop BB157_3 Depth=1
                                        ; =>  This Inner Loop Header: Depth=2
	s_mov_b32 s31, s19
	s_delay_alu instid0(VALU_DEP_1)
	v_lshl_add_u64 v[2:3], s[18:19], 3, v[0:1]
	v_lshl_add_u64 v[4:5], s[30:31], 3, v[0:1]
	v_mad_u32 v24, 0xa0, s18, v26
	v_mad_u32 v25, 0xa0, s30, v26
	s_add_co_i32 s3, s3, -2
	s_clause 0x1
	global_load_b64 v[6:7], v[2:3], off
	global_load_b64 v[8:9], v[4:5], off
	s_wait_xcnt 0x1
	v_mov_b64_e32 v[2:3], s[22:23]
	s_wait_xcnt 0x0
	v_mov_b64_e32 v[4:5], s[14:15]
	s_add_co_i32 s18, s18, 2
	s_add_co_i32 s30, s30, 2
	s_mov_b32 s34, s44
	s_mov_b32 s31, s46
	s_cmp_lg_u32 s3, 0
	s_wait_loadcnt 0x0
	v_dual_mov_b32 v10, v6 :: v_dual_mov_b32 v11, v8
	v_mov_b32_e32 v8, v7
	s_delay_alu instid0(VALU_DEP_1) | instskip(SKIP_1) | instid1(VALU_DEP_2)
	v_pk_mul_f32 v[6:7], v[2:3], v[8:9]
	v_pk_mul_f32 v[8:9], v[4:5], v[8:9]
	v_pk_fma_f32 v[4:5], v[4:5], v[10:11], v[6:7] neg_lo:[0,0,1] neg_hi:[0,0,1]
	s_delay_alu instid0(VALU_DEP_2)
	v_pk_fma_f32 v[2:3], v[2:3], v[10:11], v[8:9]
	ds_store_b32 v24, v4
	ds_store_b32 v25, v5
	ds_store_b32 v24, v2 offset:4
	ds_store_b32 v25, v3 offset:4
	s_cbranch_scc1 .LBB157_15
; %bb.16:                               ;   in Loop: Header=BB157_3 Depth=1
	s_and_b32 vcc_lo, exec_lo, s31
	s_cbranch_vccnz .LBB157_18
	s_branch .LBB157_20
.LBB157_17:                             ;   in Loop: Header=BB157_3 Depth=1
	s_mov_b32 s34, 0
	s_cbranch_execz .LBB157_20
.LBB157_18:                             ;   in Loop: Header=BB157_3 Depth=1
	s_mov_b32 s35, s19
	v_mad_u32 v2, 0xa0, s34, v26
	s_mul_u64 s[30:31], s[10:11], s[34:35]
	s_sub_co_i32 s3, s16, s34
	s_add_nc_u64 s[30:31], s[30:31], s[28:29]
	s_delay_alu instid0(SALU_CYCLE_1)
	v_add_nc_u64_e32 v[0:1], s[30:31], v[20:21]
.LBB157_19:                             ;   Parent Loop BB157_3 Depth=1
                                        ; =>  This Inner Loop Header: Depth=2
	global_load_b64 v[4:5], v[0:1], off offset:-4
	v_mov_b64_e32 v[6:7], s[12:13]
	v_mov_b64_e32 v[8:9], s[20:21]
	s_wait_xcnt 0x0
	v_add_nc_u64_e32 v[0:1], s[10:11], v[0:1]
	s_add_co_i32 s3, s3, -1
	s_delay_alu instid0(SALU_CYCLE_1) | instskip(SKIP_2) | instid1(VALU_DEP_1)
	s_cmp_lg_u32 s3, 0
	s_wait_loadcnt 0x0
	v_pk_mul_f32 v[6:7], v[6:7], v[4:5] op_sel:[0,1]
	v_pk_fma_f32 v[10:11], v[8:9], v[4:5], v[6:7] op_sel_hi:[1,0,1]
	v_pk_fma_f32 v[4:5], v[8:9], v[4:5], v[6:7] neg_lo:[0,0,1] neg_hi:[0,0,1]
	s_delay_alu instid0(VALU_DEP_2)
	v_mov_b32_e32 v5, v11
	ds_store_b64 v2, v[4:5]
	v_add_nc_u32_e32 v2, 0xa0, v2
	s_cbranch_scc1 .LBB157_19
.LBB157_20:                             ;   in Loop: Header=BB157_3 Depth=1
	s_or_b32 exec_lo, exec_lo, s49
	s_delay_alu instid0(SALU_CYCLE_1)
	s_and_b32 vcc_lo, exec_lo, s41
	s_mov_b32 s3, -1
	s_wait_dscnt 0x0
	; wave barrier
	s_cbranch_vccz .LBB157_120
; %bb.21:                               ;   in Loop: Header=BB157_3 Depth=1
	s_and_b32 vcc_lo, exec_lo, s40
	s_cbranch_vccz .LBB157_88
; %bb.22:                               ;   in Loop: Header=BB157_3 Depth=1
	v_cmp_ne_u32_e32 vcc_lo, 1, v27
	s_cbranch_vccnz .LBB157_55
; %bb.23:                               ;   in Loop: Header=BB157_3 Depth=1
	s_and_not1_b32 vcc_lo, exec_lo, s42
	s_mov_b32 s30, 0
	s_cbranch_vccnz .LBB157_45
; %bb.24:                               ;   in Loop: Header=BB157_3 Depth=1
	s_mov_b32 s3, 0
	s_mov_b32 s18, 0
.LBB157_25:                             ;   Parent Loop BB157_3 Depth=1
                                        ; =>  This Loop Header: Depth=2
                                        ;       Child Loop BB157_26 Depth 3
	s_delay_alu instid0(SALU_CYCLE_1) | instskip(SKIP_3) | instid1(SALU_CYCLE_1)
	v_mad_u32 v30, 0xa0, s18, v26
	s_or_b32 s30, s18, 3
	s_cmp_eq_u32 s18, 0
	s_mulk_i32 s30, 0xa0
	v_dual_mov_b32 v4, v26 :: v_dual_add_nc_u32 v29, s30, v26
	s_mov_b32 s30, s3
	s_mov_b32 s31, s18
	ds_load_2addr_b64 v[0:3], v30 offset1:20
	ds_load_b64 v[10:11], v30 offset:320
	ds_load_b64 v[8:9], v29
	s_cbranch_scc1 .LBB157_27
.LBB157_26:                             ;   Parent Loop BB157_3 Depth=1
                                        ;     Parent Loop BB157_25 Depth=2
                                        ; =>    This Inner Loop Header: Depth=3
	v_mov_b32_e32 v5, s30
	s_add_co_i32 s31, s31, -1
	s_addk_co_i32 s30, 0xa0
	s_cmp_eq_u32 s31, 0
	ds_load_b64 v[6:7], v4
	ds_load_b128 v[32:35], v5
	ds_load_b128 v[36:39], v5 offset:16
	s_wait_dscnt 0x1
	v_dual_mul_f32 v5, v33, v7 :: v_dual_add_nc_u32 v4, 0xa0, v4
	v_dual_mul_f32 v31, v32, v7 :: v_dual_mul_f32 v42, v35, v7
	v_mul_f32_e32 v43, v35, v6
	s_wait_dscnt 0x0
	v_pk_mul_f32 v[24:25], v[36:37], v[6:7] op_sel:[0,1]
	v_pk_mul_f32 v[40:41], v[38:39], v[6:7] op_sel:[0,1]
	v_dual_fma_f32 v5, v32, v6, -v5 :: v_dual_fmac_f32 v31, v33, v6
	v_dual_fma_f32 v42, v34, v6, -v42 :: v_dual_fmac_f32 v43, v34, v7
	s_delay_alu instid0(VALU_DEP_4) | instskip(NEXT) | instid1(VALU_DEP_4)
	v_pk_fma_f32 v[32:33], v[36:37], v[6:7], v[24:25] op_sel:[0,0,1] op_sel_hi:[1,0,0]
	v_pk_fma_f32 v[34:35], v[38:39], v[6:7], v[40:41] op_sel:[0,0,1] op_sel_hi:[1,0,0]
	v_pk_fma_f32 v[24:25], v[36:37], v[6:7], v[24:25] op_sel:[0,0,1] op_sel_hi:[1,1,0] neg_lo:[0,0,1] neg_hi:[0,0,1]
	v_pk_fma_f32 v[6:7], v[38:39], v[6:7], v[40:41] op_sel:[0,0,1] op_sel_hi:[1,1,0] neg_lo:[0,0,1] neg_hi:[0,0,1]
	s_delay_alu instid0(VALU_DEP_4) | instskip(NEXT) | instid1(VALU_DEP_4)
	v_dual_sub_f32 v0, v0, v5 :: v_dual_mov_b32 v25, v33
	v_dual_mov_b32 v7, v35 :: v_dual_sub_f32 v1, v1, v31
	v_dual_sub_f32 v2, v2, v42 :: v_dual_sub_f32 v3, v3, v43
	s_delay_alu instid0(VALU_DEP_3) | instskip(NEXT) | instid1(VALU_DEP_3)
	v_pk_add_f32 v[10:11], v[10:11], v[24:25] neg_lo:[0,1] neg_hi:[0,1]
	v_pk_add_f32 v[8:9], v[8:9], v[6:7] neg_lo:[0,1] neg_hi:[0,1]
	s_cbranch_scc0 .LBB157_26
.LBB157_27:                             ;   in Loop: Header=BB157_25 Depth=2
	s_lshl_b32 s30, s18, 3
	s_mul_i32 s31, s18, 0xa0
	s_mov_b32 s34, -1
	s_add_co_i32 s31, s30, s31
                                        ; implicit-def: $vgpr25
	s_delay_alu instid0(SALU_CYCLE_1) | instskip(SKIP_4) | instid1(VALU_DEP_1)
	v_mov_b32_e32 v4, s31
	ds_load_b64 v[4:5], v4
	s_wait_dscnt 0x0
	v_and_b32_e32 v6, 0x7fffffff, v4
	v_and_b32_e32 v7, 0x7fffffff, v5
	v_cmp_ngt_f32_e32 vcc_lo, v6, v7
	s_cbranch_vccz .LBB157_29
; %bb.28:                               ;   in Loop: Header=BB157_25 Depth=2
	v_div_scale_f32 v6, null, v5, v5, v4
	v_div_scale_f32 v25, vcc_lo, v4, v5, v4
	s_mov_b32 s34, 0
	v_rcp_f32_e32 v7, v6
	v_nop
	v_xor_b32_e32 v6, 0x80000000, v6
	s_delay_alu instid0(TRANS32_DEP_1) | instid1(VALU_DEP_1)
	v_fma_f32 v24, v6, v7, 1.0
	s_delay_alu instid0(VALU_DEP_1) | instskip(NEXT) | instid1(VALU_DEP_1)
	v_fmac_f32_e32 v7, v24, v7
	v_mul_f32_e32 v24, v25, v7
	s_delay_alu instid0(VALU_DEP_1) | instskip(NEXT) | instid1(VALU_DEP_1)
	v_fma_f32 v31, v6, v24, v25
	v_fmac_f32_e32 v24, v31, v7
	s_delay_alu instid0(VALU_DEP_1) | instskip(NEXT) | instid1(VALU_DEP_1)
	v_fmac_f32_e32 v25, v6, v24
	v_div_fmas_f32 v6, v25, v7, v24
	s_delay_alu instid0(VALU_DEP_1) | instskip(NEXT) | instid1(VALU_DEP_1)
	v_div_fixup_f32 v6, v6, v5, v4
	v_fma_f32 v7, v4, v6, v5
	s_delay_alu instid0(VALU_DEP_1) | instskip(SKIP_1) | instid1(VALU_DEP_2)
	v_div_scale_f32 v24, null, v7, v7, 1.0
	v_div_scale_f32 v32, vcc_lo, 1.0, v7, 1.0
	v_rcp_f32_e32 v25, v24
	v_nop
	v_xor_b32_e32 v24, 0x80000000, v24
	s_delay_alu instid0(TRANS32_DEP_1) | instid1(VALU_DEP_1)
	v_fma_f32 v31, v24, v25, 1.0
	s_delay_alu instid0(VALU_DEP_1) | instskip(NEXT) | instid1(VALU_DEP_1)
	v_fmac_f32_e32 v25, v31, v25
	v_mul_f32_e32 v31, v32, v25
	s_delay_alu instid0(VALU_DEP_1) | instskip(NEXT) | instid1(VALU_DEP_1)
	v_fma_f32 v33, v24, v31, v32
	v_fmac_f32_e32 v31, v33, v25
	s_delay_alu instid0(VALU_DEP_1) | instskip(NEXT) | instid1(VALU_DEP_1)
	v_fmac_f32_e32 v32, v24, v31
	v_div_fmas_f32 v24, v32, v25, v31
	v_dual_fma_f32 v25, v0, v6, v1 :: v_dual_fma_f32 v6, v1, v6, -v0
	s_delay_alu instid0(VALU_DEP_2) | instskip(NEXT) | instid1(VALU_DEP_1)
	v_div_fixup_f32 v7, v24, v7, 1.0
	v_dual_mul_f32 v24, v25, v7 :: v_dual_mul_f32 v25, v6, v7
.LBB157_29:                             ;   in Loop: Header=BB157_25 Depth=2
	s_and_not1_b32 vcc_lo, exec_lo, s34
	s_cbranch_vccnz .LBB157_31
; %bb.30:                               ;   in Loop: Header=BB157_25 Depth=2
	v_div_scale_f32 v6, null, v4, v4, v5
	v_div_scale_f32 v25, vcc_lo, v5, v4, v5
	s_delay_alu instid0(VALU_DEP_2)
	v_rcp_f32_e32 v7, v6
	v_nop
	v_xor_b32_e32 v6, 0x80000000, v6
	s_delay_alu instid0(TRANS32_DEP_1) | instid1(VALU_DEP_1)
	v_fma_f32 v24, v6, v7, 1.0
	s_delay_alu instid0(VALU_DEP_1) | instskip(NEXT) | instid1(VALU_DEP_1)
	v_fmac_f32_e32 v7, v24, v7
	v_mul_f32_e32 v24, v25, v7
	s_delay_alu instid0(VALU_DEP_1) | instskip(NEXT) | instid1(VALU_DEP_1)
	v_fma_f32 v31, v6, v24, v25
	v_fmac_f32_e32 v24, v31, v7
	s_delay_alu instid0(VALU_DEP_1) | instskip(NEXT) | instid1(VALU_DEP_1)
	v_fmac_f32_e32 v25, v6, v24
	v_div_fmas_f32 v6, v25, v7, v24
	s_delay_alu instid0(VALU_DEP_1) | instskip(NEXT) | instid1(VALU_DEP_1)
	v_div_fixup_f32 v6, v6, v4, v5
	v_fmac_f32_e32 v4, v5, v6
	s_delay_alu instid0(VALU_DEP_1) | instskip(SKIP_1) | instid1(VALU_DEP_2)
	v_div_scale_f32 v5, null, v4, v4, 1.0
	v_div_scale_f32 v25, vcc_lo, 1.0, v4, 1.0
	v_rcp_f32_e32 v7, v5
	v_nop
	v_xor_b32_e32 v5, 0x80000000, v5
	s_delay_alu instid0(TRANS32_DEP_1) | instid1(VALU_DEP_1)
	v_fma_f32 v24, v5, v7, 1.0
	s_delay_alu instid0(VALU_DEP_1) | instskip(NEXT) | instid1(VALU_DEP_1)
	v_fmac_f32_e32 v7, v24, v7
	v_mul_f32_e32 v24, v25, v7
	s_delay_alu instid0(VALU_DEP_1) | instskip(NEXT) | instid1(VALU_DEP_1)
	v_fma_f32 v31, v5, v24, v25
	v_fmac_f32_e32 v24, v31, v7
	s_delay_alu instid0(VALU_DEP_1) | instskip(NEXT) | instid1(VALU_DEP_1)
	v_fmac_f32_e32 v25, v5, v24
	v_div_fmas_f32 v5, v25, v7, v24
	v_dual_fma_f32 v7, v1, v6, v0 :: v_dual_fma_f32 v0, -v0, v6, v1
	s_delay_alu instid0(VALU_DEP_2) | instskip(NEXT) | instid1(VALU_DEP_1)
	v_div_fixup_f32 v4, v5, v4, 1.0
	v_dual_mul_f32 v24, v7, v4 :: v_dual_mul_f32 v25, v0, v4
.LBB157_31:                             ;   in Loop: Header=BB157_25 Depth=2
	v_mov_b32_e32 v0, s31
	s_mov_b32 s34, -1
	ds_store_b64 v30, v[24:25]
	ds_load_2addr_b64 v[4:7], v0 offset0:1 offset1:21
	s_wait_dscnt 0x0
	v_dual_mul_f32 v1, v24, v5 :: v_dual_mul_f32 v0, v25, v5
	v_and_b32_e32 v5, 0x7fffffff, v6
	v_and_b32_e32 v31, 0x7fffffff, v7
	s_delay_alu instid0(VALU_DEP_3) | instskip(NEXT) | instid1(VALU_DEP_2)
	v_dual_fmac_f32 v1, v25, v4 :: v_dual_fma_f32 v0, v24, v4, -v0
	v_cmp_ngt_f32_e32 vcc_lo, v5, v31
                                        ; implicit-def: $vgpr5
	s_delay_alu instid0(VALU_DEP_2)
	v_dual_sub_f32 v1, v3, v1 :: v_dual_sub_f32 v0, v2, v0
	s_cbranch_vccz .LBB157_33
; %bb.32:                               ;   in Loop: Header=BB157_25 Depth=2
	v_div_scale_f32 v2, null, v7, v7, v6
	v_div_scale_f32 v5, vcc_lo, v6, v7, v6
	s_mov_b32 s34, 0
	v_rcp_f32_e32 v3, v2
	v_nop
	v_xor_b32_e32 v2, 0x80000000, v2
	s_delay_alu instid0(TRANS32_DEP_1) | instid1(VALU_DEP_1)
	v_fma_f32 v4, v2, v3, 1.0
	s_delay_alu instid0(VALU_DEP_1) | instskip(NEXT) | instid1(VALU_DEP_1)
	v_fmac_f32_e32 v3, v4, v3
	v_mul_f32_e32 v4, v5, v3
	s_delay_alu instid0(VALU_DEP_1) | instskip(NEXT) | instid1(VALU_DEP_1)
	v_fma_f32 v31, v2, v4, v5
	v_fmac_f32_e32 v4, v31, v3
	s_delay_alu instid0(VALU_DEP_1) | instskip(NEXT) | instid1(VALU_DEP_1)
	v_fmac_f32_e32 v5, v2, v4
	v_div_fmas_f32 v2, v5, v3, v4
	s_delay_alu instid0(VALU_DEP_1) | instskip(NEXT) | instid1(VALU_DEP_1)
	v_div_fixup_f32 v2, v2, v7, v6
	v_fma_f32 v3, v6, v2, v7
	s_delay_alu instid0(VALU_DEP_1) | instskip(SKIP_1) | instid1(VALU_DEP_2)
	v_div_scale_f32 v4, null, v3, v3, 1.0
	v_div_scale_f32 v32, vcc_lo, 1.0, v3, 1.0
	v_rcp_f32_e32 v5, v4
	v_nop
	v_xor_b32_e32 v4, 0x80000000, v4
	s_delay_alu instid0(TRANS32_DEP_1) | instid1(VALU_DEP_1)
	v_fma_f32 v31, v4, v5, 1.0
	s_delay_alu instid0(VALU_DEP_1) | instskip(NEXT) | instid1(VALU_DEP_1)
	v_fmac_f32_e32 v5, v31, v5
	v_mul_f32_e32 v31, v32, v5
	s_delay_alu instid0(VALU_DEP_1) | instskip(NEXT) | instid1(VALU_DEP_1)
	v_fma_f32 v33, v4, v31, v32
	v_fmac_f32_e32 v31, v33, v5
	s_delay_alu instid0(VALU_DEP_1) | instskip(NEXT) | instid1(VALU_DEP_1)
	v_fmac_f32_e32 v32, v4, v31
	v_div_fmas_f32 v4, v32, v5, v31
	v_fma_f32 v5, v2, v0, v1
	s_delay_alu instid0(VALU_DEP_2) | instskip(NEXT) | instid1(VALU_DEP_1)
	v_div_fixup_f32 v3, v4, v3, 1.0
	v_dual_fma_f32 v2, v2, v1, -v0 :: v_dual_mul_f32 v4, v5, v3
	s_delay_alu instid0(VALU_DEP_1)
	v_mul_f32_e32 v5, v2, v3
.LBB157_33:                             ;   in Loop: Header=BB157_25 Depth=2
	s_and_not1_b32 vcc_lo, exec_lo, s34
	s_cbranch_vccnz .LBB157_35
; %bb.34:                               ;   in Loop: Header=BB157_25 Depth=2
	v_div_scale_f32 v2, null, v6, v6, v7
	v_div_scale_f32 v5, vcc_lo, v7, v6, v7
	s_delay_alu instid0(VALU_DEP_2)
	v_rcp_f32_e32 v3, v2
	v_nop
	v_xor_b32_e32 v2, 0x80000000, v2
	s_delay_alu instid0(TRANS32_DEP_1) | instid1(VALU_DEP_1)
	v_fma_f32 v4, v2, v3, 1.0
	s_delay_alu instid0(VALU_DEP_1) | instskip(NEXT) | instid1(VALU_DEP_1)
	v_fmac_f32_e32 v3, v4, v3
	v_mul_f32_e32 v4, v5, v3
	s_delay_alu instid0(VALU_DEP_1) | instskip(NEXT) | instid1(VALU_DEP_1)
	v_fma_f32 v31, v2, v4, v5
	v_fmac_f32_e32 v4, v31, v3
	s_delay_alu instid0(VALU_DEP_1) | instskip(NEXT) | instid1(VALU_DEP_1)
	v_fmac_f32_e32 v5, v2, v4
	v_div_fmas_f32 v2, v5, v3, v4
	s_delay_alu instid0(VALU_DEP_1) | instskip(NEXT) | instid1(VALU_DEP_1)
	v_div_fixup_f32 v2, v2, v6, v7
	v_fmac_f32_e32 v6, v7, v2
	s_delay_alu instid0(VALU_DEP_1) | instskip(SKIP_1) | instid1(VALU_DEP_2)
	v_div_scale_f32 v3, null, v6, v6, 1.0
	v_div_scale_f32 v7, vcc_lo, 1.0, v6, 1.0
	v_rcp_f32_e32 v4, v3
	v_nop
	v_xor_b32_e32 v3, 0x80000000, v3
	s_delay_alu instid0(TRANS32_DEP_1) | instid1(VALU_DEP_1)
	v_fma_f32 v5, v3, v4, 1.0
	s_delay_alu instid0(VALU_DEP_1) | instskip(NEXT) | instid1(VALU_DEP_1)
	v_fmac_f32_e32 v4, v5, v4
	v_mul_f32_e32 v5, v7, v4
	s_delay_alu instid0(VALU_DEP_1) | instskip(NEXT) | instid1(VALU_DEP_1)
	v_fma_f32 v31, v3, v5, v7
	v_fmac_f32_e32 v5, v31, v4
	s_delay_alu instid0(VALU_DEP_1) | instskip(NEXT) | instid1(VALU_DEP_1)
	v_fmac_f32_e32 v7, v3, v5
	v_div_fmas_f32 v3, v7, v4, v5
	v_dual_fma_f32 v4, v2, v1, v0 :: v_dual_fma_f32 v0, -v2, v0, v1
	s_delay_alu instid0(VALU_DEP_2) | instskip(NEXT) | instid1(VALU_DEP_1)
	v_div_fixup_f32 v3, v3, v6, 1.0
	v_mul_f32_e32 v4, v4, v3
	s_delay_alu instid0(VALU_DEP_3)
	v_mul_f32_e32 v5, v0, v3
.LBB157_35:                             ;   in Loop: Header=BB157_25 Depth=2
	s_add_co_i32 s34, s31, 0xa8
	s_or_b32 s35, s30, 8
	s_delay_alu instid0(VALU_DEP_1) | instskip(SKIP_3) | instid1(SALU_CYCLE_1)
	v_dual_mov_b32 v32, v25 :: v_dual_mov_b32 v34, v5
	s_sub_co_i32 s35, s34, s35
	s_mov_b32 s49, -1
	s_add_co_i32 s35, s35, s30
	v_dual_mov_b32 v0, s31 :: v_dual_mov_b32 v6, s35
	ds_store_b64 v30, v[4:5] offset:160
	ds_load_2addr_b64 v[0:3], v0 offset0:2 offset1:42
	ds_load_b64 v[6:7], v6 offset:16
	s_wait_dscnt 0x1
	v_pk_mul_f32 v[32:33], v[32:33], v[0:1] op_sel_hi:[0,1]
	s_wait_dscnt 0x0
	v_pk_mul_f32 v[34:35], v[34:35], v[6:7] op_sel_hi:[0,1]
	v_and_b32_e32 v31, 0x7fffffff, v2
	s_delay_alu instid0(VALU_DEP_3) | instskip(SKIP_1) | instid1(VALU_DEP_4)
	v_pk_fma_f32 v[36:37], v[24:25], v[0:1], v[32:33] op_sel:[0,0,1] op_sel_hi:[0,1,0]
	v_pk_fma_f32 v[0:1], v[24:25], v[0:1], v[32:33] op_sel:[0,0,1] op_sel_hi:[1,1,0] neg_lo:[0,0,1] neg_hi:[0,0,1]
	v_pk_fma_f32 v[32:33], v[4:5], v[6:7], v[34:35] op_sel:[0,0,1] op_sel_hi:[0,1,0]
	v_and_b32_e32 v32, 0x7fffffff, v3
	v_pk_fma_f32 v[6:7], v[4:5], v[6:7], v[34:35] op_sel:[0,0,1] op_sel_hi:[1,1,0] neg_lo:[0,0,1] neg_hi:[0,0,1]
	s_delay_alu instid0(VALU_DEP_3) | instskip(NEXT) | instid1(VALU_DEP_3)
	v_dual_mov_b32 v1, v37 :: v_dual_mov_b32 v7, v33
	v_cmp_ngt_f32_e32 vcc_lo, v31, v32
	s_delay_alu instid0(VALU_DEP_2) | instskip(NEXT) | instid1(VALU_DEP_1)
	v_pk_add_f32 v[0:1], v[10:11], v[0:1] neg_lo:[0,1] neg_hi:[0,1]
	v_pk_add_f32 v[0:1], v[0:1], v[6:7] neg_lo:[0,1] neg_hi:[0,1]
                                        ; implicit-def: $vgpr6_vgpr7
	s_cbranch_vccz .LBB157_37
; %bb.36:                               ;   in Loop: Header=BB157_25 Depth=2
	v_div_scale_f32 v6, null, v3, v3, v2
	v_div_scale_f32 v11, vcc_lo, v2, v3, v2
	s_mov_b32 s49, 0
	v_rcp_f32_e32 v7, v6
	v_nop
	v_xor_b32_e32 v6, 0x80000000, v6
	s_delay_alu instid0(TRANS32_DEP_1) | instid1(VALU_DEP_1)
	v_fma_f32 v10, v6, v7, 1.0
	s_delay_alu instid0(VALU_DEP_1) | instskip(NEXT) | instid1(VALU_DEP_1)
	v_fmac_f32_e32 v7, v10, v7
	v_mul_f32_e32 v10, v11, v7
	s_delay_alu instid0(VALU_DEP_1) | instskip(NEXT) | instid1(VALU_DEP_1)
	v_fma_f32 v31, v6, v10, v11
	v_fmac_f32_e32 v10, v31, v7
	s_delay_alu instid0(VALU_DEP_1) | instskip(NEXT) | instid1(VALU_DEP_1)
	v_fmac_f32_e32 v11, v6, v10
	v_div_fmas_f32 v6, v11, v7, v10
	s_delay_alu instid0(VALU_DEP_1) | instskip(NEXT) | instid1(VALU_DEP_1)
	v_div_fixup_f32 v6, v6, v3, v2
	v_fma_f32 v7, v2, v6, v3
	s_delay_alu instid0(VALU_DEP_1) | instskip(NEXT) | instid1(VALU_DEP_1)
	v_div_scale_f32 v10, null, v7, v7, 1.0
	v_rcp_f32_e32 v11, v10
	v_nop
	v_xor_b32_e32 v10, 0x80000000, v10
	s_delay_alu instid0(TRANS32_DEP_1) | instid1(VALU_DEP_1)
	v_fma_f32 v31, v10, v11, 1.0
	s_delay_alu instid0(VALU_DEP_1) | instskip(SKIP_1) | instid1(VALU_DEP_1)
	v_fmac_f32_e32 v11, v31, v11
	v_div_scale_f32 v31, vcc_lo, 1.0, v7, 1.0
	v_mul_f32_e32 v32, v31, v11
	s_delay_alu instid0(VALU_DEP_1) | instskip(NEXT) | instid1(VALU_DEP_1)
	v_fma_f32 v33, v10, v32, v31
	v_fmac_f32_e32 v32, v33, v11
	s_delay_alu instid0(VALU_DEP_1) | instskip(NEXT) | instid1(VALU_DEP_1)
	v_dual_fmac_f32 v31, v10, v32 :: v_dual_mov_b32 v10, v1
	v_div_fmas_f32 v31, v31, v11, v32
	s_delay_alu instid0(VALU_DEP_2) | instskip(NEXT) | instid1(VALU_DEP_2)
	v_pk_fma_f32 v[10:11], v[6:7], v[0:1], v[10:11]
	v_div_fixup_f32 v11, v31, v7, 1.0
	s_delay_alu instid0(VALU_DEP_1) | instskip(NEXT) | instid1(VALU_DEP_1)
	v_dual_fma_f32 v7, v6, v1, -v0 :: v_dual_mov_b32 v6, v11
	v_pk_mul_f32 v[6:7], v[10:11], v[6:7]
.LBB157_37:                             ;   in Loop: Header=BB157_25 Depth=2
	s_and_not1_b32 vcc_lo, exec_lo, s49
	s_cbranch_vccnz .LBB157_39
; %bb.38:                               ;   in Loop: Header=BB157_25 Depth=2
	v_div_scale_f32 v6, null, v2, v2, v3
	v_div_scale_f32 v11, vcc_lo, v3, v2, v3
	s_delay_alu instid0(VALU_DEP_2)
	v_rcp_f32_e32 v7, v6
	v_nop
	v_xor_b32_e32 v6, 0x80000000, v6
	s_delay_alu instid0(TRANS32_DEP_1) | instid1(VALU_DEP_1)
	v_fma_f32 v10, v6, v7, 1.0
	s_delay_alu instid0(VALU_DEP_1) | instskip(NEXT) | instid1(VALU_DEP_1)
	v_fmac_f32_e32 v7, v10, v7
	v_mul_f32_e32 v10, v11, v7
	s_delay_alu instid0(VALU_DEP_1) | instskip(NEXT) | instid1(VALU_DEP_1)
	v_fma_f32 v31, v6, v10, v11
	v_fmac_f32_e32 v10, v31, v7
	s_delay_alu instid0(VALU_DEP_1) | instskip(NEXT) | instid1(VALU_DEP_1)
	v_fmac_f32_e32 v11, v6, v10
	v_div_fmas_f32 v6, v11, v7, v10
	s_delay_alu instid0(VALU_DEP_1) | instskip(NEXT) | instid1(VALU_DEP_1)
	v_div_fixup_f32 v6, v6, v2, v3
	v_fma_f32 v7, v3, v6, v2
	s_delay_alu instid0(VALU_DEP_1) | instskip(NEXT) | instid1(VALU_DEP_1)
	v_div_scale_f32 v2, null, v7, v7, 1.0
	v_rcp_f32_e32 v3, v2
	v_nop
	v_xor_b32_e32 v2, 0x80000000, v2
	s_delay_alu instid0(TRANS32_DEP_1) | instid1(VALU_DEP_1)
	v_fma_f32 v10, v2, v3, 1.0
	s_delay_alu instid0(VALU_DEP_1) | instskip(SKIP_1) | instid1(VALU_DEP_1)
	v_fmac_f32_e32 v3, v10, v3
	v_div_scale_f32 v11, vcc_lo, 1.0, v7, 1.0
	v_mul_f32_e32 v10, v11, v3
	s_delay_alu instid0(VALU_DEP_1) | instskip(NEXT) | instid1(VALU_DEP_1)
	v_fma_f32 v31, v2, v10, v11
	v_fmac_f32_e32 v10, v31, v3
	s_delay_alu instid0(VALU_DEP_1) | instskip(NEXT) | instid1(VALU_DEP_1)
	v_fmac_f32_e32 v11, v2, v10
	v_div_fmas_f32 v10, v11, v3, v10
	v_pk_fma_f32 v[2:3], v[6:7], v[0:1], v[0:1] op_sel:[0,1,0] op_sel_hi:[0,0,1] neg_lo:[1,0,0] neg_hi:[1,0,0]
	v_pk_fma_f32 v[0:1], v[6:7], v[0:1], v[0:1] op_sel:[0,1,0] op_sel_hi:[1,0,1]
	s_delay_alu instid0(VALU_DEP_3) | instskip(NEXT) | instid1(VALU_DEP_3)
	v_div_fixup_f32 v2, v10, v7, 1.0
	v_mov_b32_e32 v1, v3
	s_delay_alu instid0(VALU_DEP_1)
	v_pk_mul_f32 v[6:7], v[0:1], v[2:3] op_sel_hi:[1,0]
.LBB157_39:                             ;   in Loop: Header=BB157_25 Depth=2
	v_dual_mov_b32 v0, s31 :: v_dual_mov_b32 v10, s35
	s_or_b32 s31, s30, 16
	v_mov_b32_e32 v35, v25
	s_sub_co_i32 s31, s34, s31
	ds_load_2addr_b64 v[0:3], v0 offset0:3 offset1:63
	s_add_co_i32 s30, s31, s30
	ds_load_b64 v[10:11], v10 offset:24
	v_dual_mov_b32 v31, s30 :: v_dual_mov_b32 v34, v25
	v_dual_mov_b32 v25, v24 :: v_dual_mov_b32 v36, v5
	v_mov_b32_e32 v37, v5
	ds_load_b64 v[32:33], v31 offset:192
	s_mov_b32 s30, -1
	ds_store_b64 v30, v[6:7] offset:320
	s_wait_dscnt 0x3
	v_pk_mul_f32 v[34:35], v[34:35], v[0:1]
	s_wait_dscnt 0x2
	v_pk_mul_f32 v[36:37], v[36:37], v[10:11]
	s_delay_alu instid0(VALU_DEP_2)
	v_pk_fma_f32 v[38:39], v[24:25], v[0:1], v[34:35] op_sel:[0,0,1] op_sel_hi:[1,1,0]
	v_mov_b32_e32 v5, v4
	v_pk_fma_f32 v[0:1], v[24:25], v[0:1], v[34:35] op_sel:[0,0,1] op_sel_hi:[1,1,0] neg_lo:[0,0,1] neg_hi:[0,0,1]
	s_wait_dscnt 0x1
	v_pk_mul_f32 v[34:35], v[6:7], v[32:33] op_sel:[1,1] op_sel_hi:[1,0]
	v_mov_b32_e32 v1, v39
	v_pk_fma_f32 v[24:25], v[4:5], v[10:11], v[36:37] op_sel:[0,0,1] op_sel_hi:[1,1,0]
	v_pk_fma_f32 v[4:5], v[4:5], v[10:11], v[36:37] op_sel:[0,0,1] op_sel_hi:[1,1,0] neg_lo:[0,0,1] neg_hi:[0,0,1]
	v_and_b32_e32 v24, 0x7fffffff, v3
	v_pk_fma_f32 v[10:11], v[6:7], v[32:33], v[34:35] neg_lo:[0,0,1] neg_hi:[0,0,1]
	v_pk_add_f32 v[0:1], v[8:9], v[0:1] neg_lo:[0,1] neg_hi:[0,1]
	v_pk_fma_f32 v[8:9], v[6:7], v[32:33], v[34:35] op_sel_hi:[0,1,1]
	v_mov_b32_e32 v5, v25
	v_and_b32_e32 v8, 0x7fffffff, v2
	s_delay_alu instid0(VALU_DEP_3) | instskip(NEXT) | instid1(VALU_DEP_3)
	v_mov_b32_e32 v11, v9
	v_pk_add_f32 v[0:1], v[0:1], v[4:5] neg_lo:[0,1] neg_hi:[0,1]
	s_delay_alu instid0(VALU_DEP_3) | instskip(NEXT) | instid1(VALU_DEP_2)
	v_cmp_ngt_f32_e32 vcc_lo, v8, v24
                                        ; implicit-def: $vgpr4_vgpr5
	v_pk_add_f32 v[0:1], v[0:1], v[10:11] neg_lo:[0,1] neg_hi:[0,1]
	s_cbranch_vccz .LBB157_41
; %bb.40:                               ;   in Loop: Header=BB157_25 Depth=2
	v_div_scale_f32 v4, null, v3, v3, v2
	v_div_scale_f32 v7, vcc_lo, v2, v3, v2
	s_mov_b32 s30, 0
	v_rcp_f32_e32 v5, v4
	v_nop
	v_xor_b32_e32 v4, 0x80000000, v4
	s_delay_alu instid0(TRANS32_DEP_1) | instid1(VALU_DEP_1)
	v_fma_f32 v6, v4, v5, 1.0
	s_delay_alu instid0(VALU_DEP_1) | instskip(NEXT) | instid1(VALU_DEP_1)
	v_fmac_f32_e32 v5, v6, v5
	v_mul_f32_e32 v6, v7, v5
	s_delay_alu instid0(VALU_DEP_1) | instskip(NEXT) | instid1(VALU_DEP_1)
	v_fma_f32 v8, v4, v6, v7
	v_fmac_f32_e32 v6, v8, v5
	s_delay_alu instid0(VALU_DEP_1) | instskip(NEXT) | instid1(VALU_DEP_1)
	v_fmac_f32_e32 v7, v4, v6
	v_div_fmas_f32 v4, v7, v5, v6
	s_delay_alu instid0(VALU_DEP_1) | instskip(NEXT) | instid1(VALU_DEP_1)
	v_div_fixup_f32 v4, v4, v3, v2
	v_fma_f32 v5, v2, v4, v3
	s_delay_alu instid0(VALU_DEP_1) | instskip(NEXT) | instid1(VALU_DEP_1)
	v_div_scale_f32 v6, null, v5, v5, 1.0
	v_rcp_f32_e32 v7, v6
	v_nop
	v_xor_b32_e32 v6, 0x80000000, v6
	s_delay_alu instid0(TRANS32_DEP_1) | instid1(VALU_DEP_1)
	v_fma_f32 v8, v6, v7, 1.0
	s_delay_alu instid0(VALU_DEP_1) | instskip(SKIP_1) | instid1(VALU_DEP_1)
	v_fmac_f32_e32 v7, v8, v7
	v_div_scale_f32 v8, vcc_lo, 1.0, v5, 1.0
	v_mul_f32_e32 v9, v8, v7
	s_delay_alu instid0(VALU_DEP_1) | instskip(NEXT) | instid1(VALU_DEP_1)
	v_fma_f32 v10, v6, v9, v8
	v_fmac_f32_e32 v9, v10, v7
	s_delay_alu instid0(VALU_DEP_1) | instskip(NEXT) | instid1(VALU_DEP_1)
	v_dual_fmac_f32 v8, v6, v9 :: v_dual_mov_b32 v6, v1
	v_div_fmas_f32 v8, v8, v7, v9
	s_delay_alu instid0(VALU_DEP_2) | instskip(NEXT) | instid1(VALU_DEP_2)
	v_pk_fma_f32 v[6:7], v[4:5], v[0:1], v[6:7]
	v_div_fixup_f32 v7, v8, v5, 1.0
	s_delay_alu instid0(VALU_DEP_1) | instskip(NEXT) | instid1(VALU_DEP_1)
	v_dual_fma_f32 v5, v4, v1, -v0 :: v_dual_mov_b32 v4, v7
	v_pk_mul_f32 v[4:5], v[6:7], v[4:5]
.LBB157_41:                             ;   in Loop: Header=BB157_25 Depth=2
	s_and_not1_b32 vcc_lo, exec_lo, s30
	s_cbranch_vccnz .LBB157_43
; %bb.42:                               ;   in Loop: Header=BB157_25 Depth=2
	v_div_scale_f32 v4, null, v2, v2, v3
	v_div_scale_f32 v7, vcc_lo, v3, v2, v3
	s_delay_alu instid0(VALU_DEP_2)
	v_rcp_f32_e32 v5, v4
	v_nop
	v_xor_b32_e32 v4, 0x80000000, v4
	s_delay_alu instid0(TRANS32_DEP_1) | instid1(VALU_DEP_1)
	v_fma_f32 v6, v4, v5, 1.0
	s_delay_alu instid0(VALU_DEP_1) | instskip(NEXT) | instid1(VALU_DEP_1)
	v_fmac_f32_e32 v5, v6, v5
	v_mul_f32_e32 v6, v7, v5
	s_delay_alu instid0(VALU_DEP_1) | instskip(NEXT) | instid1(VALU_DEP_1)
	v_fma_f32 v8, v4, v6, v7
	v_fmac_f32_e32 v6, v8, v5
	s_delay_alu instid0(VALU_DEP_1) | instskip(NEXT) | instid1(VALU_DEP_1)
	v_fmac_f32_e32 v7, v4, v6
	v_div_fmas_f32 v4, v7, v5, v6
	s_delay_alu instid0(VALU_DEP_1) | instskip(NEXT) | instid1(VALU_DEP_1)
	v_div_fixup_f32 v4, v4, v2, v3
	v_fma_f32 v5, v3, v4, v2
	s_delay_alu instid0(VALU_DEP_1) | instskip(SKIP_1) | instid1(VALU_DEP_2)
	v_div_scale_f32 v2, null, v5, v5, 1.0
	v_div_scale_f32 v7, vcc_lo, 1.0, v5, 1.0
	v_rcp_f32_e32 v3, v2
	v_nop
	v_xor_b32_e32 v2, 0x80000000, v2
	s_delay_alu instid0(TRANS32_DEP_1) | instid1(VALU_DEP_1)
	v_fma_f32 v6, v2, v3, 1.0
	s_delay_alu instid0(VALU_DEP_1) | instskip(NEXT) | instid1(VALU_DEP_1)
	v_fmac_f32_e32 v3, v6, v3
	v_mul_f32_e32 v6, v7, v3
	s_delay_alu instid0(VALU_DEP_1) | instskip(NEXT) | instid1(VALU_DEP_1)
	v_fma_f32 v8, v2, v6, v7
	v_fmac_f32_e32 v6, v8, v3
	s_delay_alu instid0(VALU_DEP_1) | instskip(NEXT) | instid1(VALU_DEP_1)
	v_fmac_f32_e32 v7, v2, v6
	v_div_fmas_f32 v6, v7, v3, v6
	v_pk_fma_f32 v[2:3], v[4:5], v[0:1], v[0:1] op_sel:[0,1,0] op_sel_hi:[0,0,1] neg_lo:[1,0,0] neg_hi:[1,0,0]
	v_pk_fma_f32 v[0:1], v[4:5], v[0:1], v[0:1] op_sel:[0,1,0] op_sel_hi:[1,0,1]
	s_delay_alu instid0(VALU_DEP_3) | instskip(NEXT) | instid1(VALU_DEP_3)
	v_div_fixup_f32 v2, v6, v5, 1.0
	v_mov_b32_e32 v1, v3
	s_delay_alu instid0(VALU_DEP_1)
	v_pk_mul_f32 v[4:5], v[0:1], v[2:3] op_sel_hi:[1,0]
.LBB157_43:                             ;   in Loop: Header=BB157_25 Depth=2
	s_add_co_i32 s30, s18, 4
	s_add_co_i32 s18, s18, 7
	;; [unrolled: 1-line block ×3, first 2 shown]
	s_cmp_ge_i32 s18, s37
	ds_store_b64 v29, v[4:5]
	s_cbranch_scc1 .LBB157_45
; %bb.44:                               ;   in Loop: Header=BB157_25 Depth=2
	s_mov_b32 s18, s30
	s_branch .LBB157_25
.LBB157_45:                             ;   in Loop: Header=BB157_3 Depth=1
	s_cmp_ge_i32 s30, s37
	s_cbranch_scc1 .LBB157_54
; %bb.46:                               ;   in Loop: Header=BB157_3 Depth=1
	s_lshl_b32 s3, s30, 3
	s_branch .LBB157_48
.LBB157_47:                             ;   in Loop: Header=BB157_48 Depth=2
	s_add_co_i32 s30, s30, 1
	s_add_co_i32 s3, s3, 8
	s_cmp_ge_i32 s30, s37
	ds_store_b64 v6, v[4:5]
	s_cbranch_scc1 .LBB157_54
.LBB157_48:                             ;   Parent Loop BB157_3 Depth=1
                                        ; =>  This Loop Header: Depth=2
                                        ;       Child Loop BB157_49 Depth 3
	s_mul_i32 s18, s30, 0xa0
	s_cmp_eq_u32 s30, 0
	v_dual_add_nc_u32 v6, s18, v26 :: v_dual_mov_b32 v2, v26
	s_mov_b32 s31, s3
	s_mov_b32 s34, s30
	ds_load_b64 v[0:1], v6
	s_cbranch_scc1 .LBB157_50
.LBB157_49:                             ;   Parent Loop BB157_3 Depth=1
                                        ;     Parent Loop BB157_48 Depth=2
                                        ; =>    This Inner Loop Header: Depth=3
	v_mov_b32_e32 v3, s31
	s_add_co_i32 s34, s34, -1
	s_addk_co_i32 s31, 0xa0
	s_cmp_eq_u32 s34, 0
	ds_load_b64 v[4:5], v2
	ds_load_b64 v[8:9], v3
	v_add_nc_u32_e32 v2, 0xa0, v2
	s_wait_dscnt 0x0
	v_pk_mul_f32 v[10:11], v[8:9], v[4:5] op_sel:[1,1] op_sel_hi:[0,1]
	s_delay_alu instid0(VALU_DEP_1) | instskip(SKIP_1) | instid1(VALU_DEP_2)
	v_pk_fma_f32 v[24:25], v[8:9], v[4:5], v[10:11] op_sel_hi:[1,0,1]
	v_pk_fma_f32 v[4:5], v[8:9], v[4:5], v[10:11] op_sel_hi:[1,0,1] neg_lo:[0,0,1] neg_hi:[0,0,1]
	v_mov_b32_e32 v5, v25
	s_delay_alu instid0(VALU_DEP_1)
	v_pk_add_f32 v[0:1], v[0:1], v[4:5] neg_lo:[0,1] neg_hi:[0,1]
	s_cbranch_scc0 .LBB157_49
.LBB157_50:                             ;   in Loop: Header=BB157_48 Depth=2
	s_lshl_b32 s31, s30, 3
	s_delay_alu instid0(SALU_CYCLE_1) | instskip(NEXT) | instid1(SALU_CYCLE_1)
	s_add_co_i32 s18, s31, s18
	v_mov_b32_e32 v2, s18
	s_mov_b32 s18, -1
	ds_load_b64 v[2:3], v2
	s_wait_dscnt 0x0
	v_and_b32_e32 v4, 0x7fffffff, v2
	v_and_b32_e32 v5, 0x7fffffff, v3
	s_delay_alu instid0(VALU_DEP_1)
	v_cmp_ngt_f32_e32 vcc_lo, v4, v5
                                        ; implicit-def: $vgpr4_vgpr5
	s_cbranch_vccz .LBB157_52
; %bb.51:                               ;   in Loop: Header=BB157_48 Depth=2
	v_div_scale_f32 v4, null, v3, v3, v2
	v_div_scale_f32 v8, vcc_lo, v2, v3, v2
	s_mov_b32 s18, 0
	v_rcp_f32_e32 v5, v4
	v_nop
	v_xor_b32_e32 v4, 0x80000000, v4
	s_delay_alu instid0(TRANS32_DEP_1) | instid1(VALU_DEP_1)
	v_fma_f32 v7, v4, v5, 1.0
	s_delay_alu instid0(VALU_DEP_1) | instskip(NEXT) | instid1(VALU_DEP_1)
	v_fmac_f32_e32 v5, v7, v5
	v_mul_f32_e32 v7, v8, v5
	s_delay_alu instid0(VALU_DEP_1) | instskip(NEXT) | instid1(VALU_DEP_1)
	v_fma_f32 v9, v4, v7, v8
	v_fmac_f32_e32 v7, v9, v5
	s_delay_alu instid0(VALU_DEP_1) | instskip(NEXT) | instid1(VALU_DEP_1)
	v_fmac_f32_e32 v8, v4, v7
	v_div_fmas_f32 v4, v8, v5, v7
	s_delay_alu instid0(VALU_DEP_1) | instskip(NEXT) | instid1(VALU_DEP_1)
	v_div_fixup_f32 v4, v4, v3, v2
	v_fma_f32 v7, v2, v4, v3
	s_delay_alu instid0(VALU_DEP_1) | instskip(SKIP_1) | instid1(VALU_DEP_2)
	v_div_scale_f32 v5, null, v7, v7, 1.0
	v_div_scale_f32 v10, vcc_lo, 1.0, v7, 1.0
	v_rcp_f32_e32 v8, v5
	v_nop
	v_xor_b32_e32 v5, 0x80000000, v5
	s_delay_alu instid0(TRANS32_DEP_1) | instid1(VALU_DEP_1)
	v_fma_f32 v9, v5, v8, 1.0
	s_delay_alu instid0(VALU_DEP_1) | instskip(NEXT) | instid1(VALU_DEP_1)
	v_fmac_f32_e32 v8, v9, v8
	v_mul_f32_e32 v9, v10, v8
	s_delay_alu instid0(VALU_DEP_1) | instskip(NEXT) | instid1(VALU_DEP_1)
	v_fma_f32 v11, v5, v9, v10
	v_fmac_f32_e32 v9, v11, v8
	s_delay_alu instid0(VALU_DEP_1) | instskip(NEXT) | instid1(VALU_DEP_1)
	v_fmac_f32_e32 v10, v5, v9
	v_div_fmas_f32 v10, v10, v8, v9
	v_pk_fma_f32 v[8:9], v[0:1], v[4:5], v[0:1] op_sel:[0,0,1] op_sel_hi:[1,0,0] neg_lo:[0,0,1] neg_hi:[0,0,1]
	v_pk_fma_f32 v[4:5], v[0:1], v[4:5], v[0:1] op_sel:[0,0,1] op_sel_hi:[1,0,0]
	s_delay_alu instid0(VALU_DEP_3) | instskip(NEXT) | instid1(VALU_DEP_3)
	v_div_fixup_f32 v8, v10, v7, 1.0
	v_mov_b32_e32 v5, v9
	s_delay_alu instid0(VALU_DEP_1)
	v_pk_mul_f32 v[4:5], v[4:5], v[8:9] op_sel_hi:[1,0]
.LBB157_52:                             ;   in Loop: Header=BB157_48 Depth=2
	s_and_not1_b32 vcc_lo, exec_lo, s18
	s_cbranch_vccnz .LBB157_47
; %bb.53:                               ;   in Loop: Header=BB157_48 Depth=2
	v_div_scale_f32 v4, null, v2, v2, v3
	v_div_scale_f32 v8, vcc_lo, v3, v2, v3
	s_delay_alu instid0(VALU_DEP_2)
	v_rcp_f32_e32 v5, v4
	v_nop
	v_xor_b32_e32 v4, 0x80000000, v4
	s_delay_alu instid0(TRANS32_DEP_1) | instid1(VALU_DEP_1)
	v_fma_f32 v7, v4, v5, 1.0
	s_delay_alu instid0(VALU_DEP_1) | instskip(NEXT) | instid1(VALU_DEP_1)
	v_fmac_f32_e32 v5, v7, v5
	v_mul_f32_e32 v7, v8, v5
	s_delay_alu instid0(VALU_DEP_1) | instskip(NEXT) | instid1(VALU_DEP_1)
	v_fma_f32 v9, v4, v7, v8
	v_fmac_f32_e32 v7, v9, v5
	s_delay_alu instid0(VALU_DEP_1) | instskip(NEXT) | instid1(VALU_DEP_1)
	v_fmac_f32_e32 v8, v4, v7
	v_div_fmas_f32 v4, v8, v5, v7
	s_delay_alu instid0(VALU_DEP_1) | instskip(NEXT) | instid1(VALU_DEP_1)
	v_div_fixup_f32 v4, v4, v2, v3
	v_fmac_f32_e32 v2, v3, v4
	s_delay_alu instid0(VALU_DEP_1) | instskip(SKIP_1) | instid1(VALU_DEP_2)
	v_div_scale_f32 v3, null, v2, v2, 1.0
	v_div_scale_f32 v8, vcc_lo, 1.0, v2, 1.0
	v_rcp_f32_e32 v5, v3
	v_nop
	v_xor_b32_e32 v3, 0x80000000, v3
	s_delay_alu instid0(TRANS32_DEP_1) | instid1(VALU_DEP_1)
	v_fma_f32 v7, v3, v5, 1.0
	s_delay_alu instid0(VALU_DEP_1) | instskip(NEXT) | instid1(VALU_DEP_1)
	v_fmac_f32_e32 v5, v7, v5
	v_mul_f32_e32 v7, v8, v5
	s_delay_alu instid0(VALU_DEP_1) | instskip(NEXT) | instid1(VALU_DEP_1)
	v_fma_f32 v9, v3, v7, v8
	v_fmac_f32_e32 v7, v9, v5
	s_delay_alu instid0(VALU_DEP_1) | instskip(NEXT) | instid1(VALU_DEP_1)
	v_fmac_f32_e32 v8, v3, v7
	v_div_fmas_f32 v3, v8, v5, v7
	v_pk_fma_f32 v[8:9], v[0:1], v[4:5], v[0:1] op_sel:[1,0,0] op_sel_hi:[0,0,1] neg_lo:[1,0,0] neg_hi:[1,0,0]
	v_pk_fma_f32 v[0:1], v[0:1], v[4:5], v[0:1] op_sel:[1,0,0] op_sel_hi:[0,0,1]
	s_delay_alu instid0(VALU_DEP_3) | instskip(NEXT) | instid1(VALU_DEP_3)
	v_div_fixup_f32 v2, v3, v2, 1.0
	v_mov_b32_e32 v1, v9
	s_delay_alu instid0(VALU_DEP_1)
	v_pk_mul_f32 v[4:5], v[0:1], v[2:3] op_sel_hi:[1,0]
	s_branch .LBB157_47
.LBB157_54:                             ;   in Loop: Header=BB157_3 Depth=1
	s_mov_b32 s3, 0
.LBB157_55:                             ;   in Loop: Header=BB157_3 Depth=1
	s_delay_alu instid0(SALU_CYCLE_1)
	s_and_b32 vcc_lo, exec_lo, s3
	s_cbranch_vccz .LBB157_87
; %bb.56:                               ;   in Loop: Header=BB157_3 Depth=1
	s_mov_b32 s30, s38
	s_and_not1_b32 vcc_lo, exec_lo, s42
	s_mov_b32 s3, s1
	s_mov_b32 s18, s38
	s_cbranch_vccnz .LBB157_78
.LBB157_57:                             ;   Parent Loop BB157_3 Depth=1
                                        ; =>  This Loop Header: Depth=2
                                        ;       Child Loop BB157_58 Depth 3
	s_mul_i32 s35, s18, 0xa0
	s_mov_b32 s31, s3
	s_add_co_i32 s30, s35, 0xfffffe20
	s_delay_alu instid0(SALU_CYCLE_1) | instskip(SKIP_2) | instid1(VALU_DEP_1)
	v_dual_add_nc_u32 v30, s35, v26 :: v_dual_add_nc_u32 v24, s30, v26
	s_cmp_le_i32 s38, s18
	s_mov_b32 s34, s38
	v_dual_mov_b32 v4, v13 :: v_dual_add_nc_u32 v29, 0xffffff60, v30
	v_add_nc_u32_e32 v25, 0xfffffec0, v30
	ds_load_b64 v[8:9], v30
	ds_load_b64 v[6:7], v29
	;; [unrolled: 1-line block ×4, first 2 shown]
	s_cbranch_scc1 .LBB157_59
.LBB157_58:                             ;   Parent Loop BB157_3 Depth=1
                                        ;     Parent Loop BB157_57 Depth=2
                                        ; =>    This Inner Loop Header: Depth=3
	s_add_co_i32 s49, s31, 0xffffff50
	s_add_co_i32 s50, s31, 0xffffff40
	s_delay_alu instid0(SALU_CYCLE_1)
	v_dual_mov_b32 v5, s49 :: v_dual_mov_b32 v31, s50
	ds_load_b64 v[10:11], v4
	s_add_co_i32 s34, s34, -1
	s_addk_co_i32 s31, 0xff60
	ds_load_2addr_b64 v[32:35], v5 offset1:1
	ds_load_2addr_b64 v[36:39], v31 offset1:1
	v_add_nc_u32_e32 v4, 0xffffff60, v4
	s_cmp_le_i32 s34, s18
	s_wait_dscnt 0x1
	v_dual_mul_f32 v5, v35, v11 :: v_dual_mul_f32 v31, v34, v11
	v_dual_mul_f32 v44, v33, v11 :: v_dual_mul_f32 v45, v33, v10
	s_wait_dscnt 0x0
	v_pk_mul_f32 v[40:41], v[38:39], v[10:11] op_sel:[0,1]
	v_pk_mul_f32 v[42:43], v[36:37], v[10:11] op_sel:[0,1]
	v_dual_fma_f32 v5, v34, v10, -v5 :: v_dual_fmac_f32 v31, v35, v10
	v_dual_fma_f32 v44, v32, v10, -v44 :: v_dual_fmac_f32 v45, v32, v11
	s_delay_alu instid0(VALU_DEP_4) | instskip(NEXT) | instid1(VALU_DEP_4)
	v_pk_fma_f32 v[32:33], v[38:39], v[10:11], v[40:41] op_sel:[0,0,1] op_sel_hi:[1,0,0]
	v_pk_fma_f32 v[34:35], v[36:37], v[10:11], v[42:43] op_sel:[0,0,1] op_sel_hi:[1,0,0]
	v_pk_fma_f32 v[38:39], v[38:39], v[10:11], v[40:41] op_sel:[0,0,1] op_sel_hi:[1,1,0] neg_lo:[0,0,1] neg_hi:[0,0,1]
	v_pk_fma_f32 v[10:11], v[36:37], v[10:11], v[42:43] op_sel:[0,0,1] op_sel_hi:[1,1,0] neg_lo:[0,0,1] neg_hi:[0,0,1]
	s_delay_alu instid0(VALU_DEP_4) | instskip(NEXT) | instid1(VALU_DEP_4)
	v_dual_sub_f32 v8, v8, v5 :: v_dual_mov_b32 v39, v33
	v_dual_mov_b32 v11, v35 :: v_dual_sub_f32 v9, v9, v31
	v_dual_sub_f32 v6, v6, v44 :: v_dual_sub_f32 v7, v7, v45
	s_delay_alu instid0(VALU_DEP_3) | instskip(NEXT) | instid1(VALU_DEP_3)
	v_pk_add_f32 v[2:3], v[2:3], v[38:39] neg_lo:[0,1] neg_hi:[0,1]
	v_pk_add_f32 v[0:1], v[0:1], v[10:11] neg_lo:[0,1] neg_hi:[0,1]
	s_cbranch_scc0 .LBB157_58
.LBB157_59:                             ;   in Loop: Header=BB157_57 Depth=2
	s_add_co_i32 s34, s18, -3
; %bb.60:                               ;   in Loop: Header=BB157_57 Depth=2
	s_lshl_b32 s31, s18, 3
	s_mov_b32 s49, -1
	s_add_co_i32 s35, s31, s35
	s_delay_alu instid0(SALU_CYCLE_1) | instskip(SKIP_4) | instid1(VALU_DEP_1)
	v_mov_b32_e32 v4, s35
	ds_load_b64 v[10:11], v4
	s_wait_dscnt 0x0
	v_and_b32_e32 v4, 0x7fffffff, v10
	v_and_b32_e32 v5, 0x7fffffff, v11
	v_cmp_ngt_f32_e32 vcc_lo, v4, v5
                                        ; implicit-def: $vgpr5
	s_cbranch_vccz .LBB157_62
; %bb.61:                               ;   in Loop: Header=BB157_57 Depth=2
	v_div_scale_f32 v4, null, v11, v11, v10
	v_div_scale_f32 v32, vcc_lo, v10, v11, v10
	s_mov_b32 s49, 0
	v_rcp_f32_e32 v5, v4
	v_nop
	v_xor_b32_e32 v4, 0x80000000, v4
	s_delay_alu instid0(TRANS32_DEP_1) | instid1(VALU_DEP_1)
	v_fma_f32 v31, v4, v5, 1.0
	s_delay_alu instid0(VALU_DEP_1) | instskip(NEXT) | instid1(VALU_DEP_1)
	v_fmac_f32_e32 v5, v31, v5
	v_mul_f32_e32 v31, v32, v5
	s_delay_alu instid0(VALU_DEP_1) | instskip(NEXT) | instid1(VALU_DEP_1)
	v_fma_f32 v33, v4, v31, v32
	v_fmac_f32_e32 v31, v33, v5
	s_delay_alu instid0(VALU_DEP_1) | instskip(NEXT) | instid1(VALU_DEP_1)
	v_fmac_f32_e32 v32, v4, v31
	v_div_fmas_f32 v4, v32, v5, v31
	s_delay_alu instid0(VALU_DEP_1) | instskip(NEXT) | instid1(VALU_DEP_1)
	v_div_fixup_f32 v4, v4, v11, v10
	v_fma_f32 v5, v10, v4, v11
	s_delay_alu instid0(VALU_DEP_1) | instskip(SKIP_1) | instid1(VALU_DEP_2)
	v_div_scale_f32 v31, null, v5, v5, 1.0
	v_div_scale_f32 v34, vcc_lo, 1.0, v5, 1.0
	v_rcp_f32_e32 v32, v31
	v_nop
	v_xor_b32_e32 v31, 0x80000000, v31
	s_delay_alu instid0(TRANS32_DEP_1) | instid1(VALU_DEP_1)
	v_fma_f32 v33, v31, v32, 1.0
	s_delay_alu instid0(VALU_DEP_1) | instskip(NEXT) | instid1(VALU_DEP_1)
	v_fmac_f32_e32 v32, v33, v32
	v_mul_f32_e32 v33, v34, v32
	s_delay_alu instid0(VALU_DEP_1) | instskip(NEXT) | instid1(VALU_DEP_1)
	v_fma_f32 v35, v31, v33, v34
	v_fmac_f32_e32 v33, v35, v32
	s_delay_alu instid0(VALU_DEP_1) | instskip(NEXT) | instid1(VALU_DEP_1)
	v_fmac_f32_e32 v34, v31, v33
	v_div_fmas_f32 v31, v34, v32, v33
	v_fma_f32 v32, v8, v4, v9
	s_delay_alu instid0(VALU_DEP_2) | instskip(NEXT) | instid1(VALU_DEP_1)
	v_div_fixup_f32 v5, v31, v5, 1.0
	v_dual_fma_f32 v31, v9, v4, -v8 :: v_dual_mul_f32 v4, v32, v5
	s_delay_alu instid0(VALU_DEP_1)
	v_mul_f32_e32 v5, v31, v5
.LBB157_62:                             ;   in Loop: Header=BB157_57 Depth=2
	s_and_not1_b32 vcc_lo, exec_lo, s49
	s_cbranch_vccnz .LBB157_64
; %bb.63:                               ;   in Loop: Header=BB157_57 Depth=2
	v_div_scale_f32 v4, null, v10, v10, v11
	v_div_scale_f32 v32, vcc_lo, v11, v10, v11
	s_delay_alu instid0(VALU_DEP_2)
	v_rcp_f32_e32 v5, v4
	v_nop
	v_xor_b32_e32 v4, 0x80000000, v4
	s_delay_alu instid0(TRANS32_DEP_1) | instid1(VALU_DEP_1)
	v_fma_f32 v31, v4, v5, 1.0
	s_delay_alu instid0(VALU_DEP_1) | instskip(NEXT) | instid1(VALU_DEP_1)
	v_fmac_f32_e32 v5, v31, v5
	v_mul_f32_e32 v31, v32, v5
	s_delay_alu instid0(VALU_DEP_1) | instskip(NEXT) | instid1(VALU_DEP_1)
	v_fma_f32 v33, v4, v31, v32
	v_fmac_f32_e32 v31, v33, v5
	s_delay_alu instid0(VALU_DEP_1) | instskip(NEXT) | instid1(VALU_DEP_1)
	v_fmac_f32_e32 v32, v4, v31
	v_div_fmas_f32 v4, v32, v5, v31
	s_delay_alu instid0(VALU_DEP_1) | instskip(NEXT) | instid1(VALU_DEP_1)
	v_div_fixup_f32 v4, v4, v10, v11
	v_fmac_f32_e32 v10, v11, v4
	s_delay_alu instid0(VALU_DEP_1) | instskip(SKIP_1) | instid1(VALU_DEP_2)
	v_div_scale_f32 v5, null, v10, v10, 1.0
	v_div_scale_f32 v32, vcc_lo, 1.0, v10, 1.0
	v_rcp_f32_e32 v11, v5
	v_nop
	v_xor_b32_e32 v5, 0x80000000, v5
	s_delay_alu instid0(TRANS32_DEP_1) | instid1(VALU_DEP_1)
	v_fma_f32 v31, v5, v11, 1.0
	s_delay_alu instid0(VALU_DEP_1) | instskip(NEXT) | instid1(VALU_DEP_1)
	v_fmac_f32_e32 v11, v31, v11
	v_mul_f32_e32 v31, v32, v11
	s_delay_alu instid0(VALU_DEP_1) | instskip(NEXT) | instid1(VALU_DEP_1)
	v_fma_f32 v33, v5, v31, v32
	v_fmac_f32_e32 v31, v33, v11
	s_delay_alu instid0(VALU_DEP_1) | instskip(NEXT) | instid1(VALU_DEP_1)
	v_fmac_f32_e32 v32, v5, v31
	v_div_fmas_f32 v5, v32, v11, v31
	v_dual_fma_f32 v11, v9, v4, v8 :: v_dual_fma_f32 v8, -v8, v4, v9
	s_delay_alu instid0(VALU_DEP_2) | instskip(NEXT) | instid1(VALU_DEP_1)
	v_div_fixup_f32 v5, v5, v10, 1.0
	v_dual_mul_f32 v4, v11, v5 :: v_dual_mul_f32 v5, v8, v5
.LBB157_64:                             ;   in Loop: Header=BB157_57 Depth=2
	s_add_co_i32 s50, s35, -8
	s_add_co_i32 s49, s35, 0xffffff58
	s_delay_alu instid0(SALU_CYCLE_1)
	v_dual_mov_b32 v8, s50 :: v_dual_mov_b32 v9, s49
	s_mov_b32 s50, -1
	ds_load_b64 v[10:11], v8
	ds_load_b64 v[8:9], v9
	ds_store_b64 v30, v[4:5]
	s_wait_dscnt 0x2
	v_dual_mul_f32 v31, v5, v11 :: v_dual_mul_f32 v11, v4, v11
	s_wait_dscnt 0x1
	v_and_b32_e32 v32, 0x7fffffff, v8
	v_and_b32_e32 v33, 0x7fffffff, v9
	s_delay_alu instid0(VALU_DEP_3) | instskip(SKIP_1) | instid1(VALU_DEP_3)
	v_fmac_f32_e32 v11, v5, v10
	v_fma_f32 v31, v4, v10, -v31
	v_cmp_ngt_f32_e32 vcc_lo, v32, v33
	s_delay_alu instid0(VALU_DEP_3) | instskip(NEXT) | instid1(VALU_DEP_3)
	v_sub_f32_e32 v11, v7, v11
	v_sub_f32_e32 v10, v6, v31
                                        ; implicit-def: $vgpr7
	s_cbranch_vccz .LBB157_66
; %bb.65:                               ;   in Loop: Header=BB157_57 Depth=2
	v_div_scale_f32 v6, null, v9, v9, v8
	v_div_scale_f32 v31, vcc_lo, v8, v9, v8
	s_mov_b32 s50, 0
	v_rcp_f32_e32 v7, v6
	v_nop
	v_xor_b32_e32 v6, 0x80000000, v6
	s_delay_alu instid0(TRANS32_DEP_1) | instid1(VALU_DEP_1)
	v_fma_f32 v30, v6, v7, 1.0
	s_delay_alu instid0(VALU_DEP_1) | instskip(NEXT) | instid1(VALU_DEP_1)
	v_fmac_f32_e32 v7, v30, v7
	v_mul_f32_e32 v30, v31, v7
	s_delay_alu instid0(VALU_DEP_1) | instskip(NEXT) | instid1(VALU_DEP_1)
	v_fma_f32 v32, v6, v30, v31
	v_fmac_f32_e32 v30, v32, v7
	s_delay_alu instid0(VALU_DEP_1) | instskip(NEXT) | instid1(VALU_DEP_1)
	v_fmac_f32_e32 v31, v6, v30
	v_div_fmas_f32 v6, v31, v7, v30
	s_delay_alu instid0(VALU_DEP_1) | instskip(NEXT) | instid1(VALU_DEP_1)
	v_div_fixup_f32 v6, v6, v9, v8
	v_fma_f32 v7, v8, v6, v9
	s_delay_alu instid0(VALU_DEP_1) | instskip(SKIP_1) | instid1(VALU_DEP_2)
	v_div_scale_f32 v30, null, v7, v7, 1.0
	v_div_scale_f32 v33, vcc_lo, 1.0, v7, 1.0
	v_rcp_f32_e32 v31, v30
	v_nop
	v_xor_b32_e32 v30, 0x80000000, v30
	s_delay_alu instid0(TRANS32_DEP_1) | instid1(VALU_DEP_1)
	v_fma_f32 v32, v30, v31, 1.0
	s_delay_alu instid0(VALU_DEP_1) | instskip(NEXT) | instid1(VALU_DEP_1)
	v_fmac_f32_e32 v31, v32, v31
	v_mul_f32_e32 v32, v33, v31
	s_delay_alu instid0(VALU_DEP_1) | instskip(NEXT) | instid1(VALU_DEP_1)
	v_fma_f32 v34, v30, v32, v33
	v_fmac_f32_e32 v32, v34, v31
	s_delay_alu instid0(VALU_DEP_1) | instskip(NEXT) | instid1(VALU_DEP_1)
	v_fmac_f32_e32 v33, v30, v32
	v_div_fmas_f32 v30, v33, v31, v32
	v_fma_f32 v31, v6, v10, v11
	s_delay_alu instid0(VALU_DEP_2) | instskip(SKIP_1) | instid1(VALU_DEP_1)
	v_div_fixup_f32 v7, v30, v7, 1.0
	v_fma_f32 v30, v6, v11, -v10
	v_dual_mul_f32 v6, v31, v7 :: v_dual_mul_f32 v7, v30, v7
.LBB157_66:                             ;   in Loop: Header=BB157_57 Depth=2
	s_and_not1_b32 vcc_lo, exec_lo, s50
	s_cbranch_vccnz .LBB157_68
; %bb.67:                               ;   in Loop: Header=BB157_57 Depth=2
	v_div_scale_f32 v6, null, v8, v8, v9
	v_div_scale_f32 v31, vcc_lo, v9, v8, v9
	s_delay_alu instid0(VALU_DEP_2)
	v_rcp_f32_e32 v7, v6
	v_nop
	v_xor_b32_e32 v6, 0x80000000, v6
	s_delay_alu instid0(TRANS32_DEP_1) | instid1(VALU_DEP_1)
	v_fma_f32 v30, v6, v7, 1.0
	s_delay_alu instid0(VALU_DEP_1) | instskip(NEXT) | instid1(VALU_DEP_1)
	v_fmac_f32_e32 v7, v30, v7
	v_mul_f32_e32 v30, v31, v7
	s_delay_alu instid0(VALU_DEP_1) | instskip(NEXT) | instid1(VALU_DEP_1)
	v_fma_f32 v32, v6, v30, v31
	v_fmac_f32_e32 v30, v32, v7
	s_delay_alu instid0(VALU_DEP_1) | instskip(NEXT) | instid1(VALU_DEP_1)
	v_fmac_f32_e32 v31, v6, v30
	v_div_fmas_f32 v6, v31, v7, v30
	s_delay_alu instid0(VALU_DEP_1) | instskip(NEXT) | instid1(VALU_DEP_1)
	v_div_fixup_f32 v6, v6, v8, v9
	v_fmac_f32_e32 v8, v9, v6
	s_delay_alu instid0(VALU_DEP_1) | instskip(SKIP_1) | instid1(VALU_DEP_2)
	v_div_scale_f32 v7, null, v8, v8, 1.0
	v_div_scale_f32 v31, vcc_lo, 1.0, v8, 1.0
	v_rcp_f32_e32 v9, v7
	v_nop
	v_xor_b32_e32 v7, 0x80000000, v7
	s_delay_alu instid0(TRANS32_DEP_1) | instid1(VALU_DEP_1)
	v_fma_f32 v30, v7, v9, 1.0
	s_delay_alu instid0(VALU_DEP_1) | instskip(NEXT) | instid1(VALU_DEP_1)
	v_fmac_f32_e32 v9, v30, v9
	v_mul_f32_e32 v30, v31, v9
	s_delay_alu instid0(VALU_DEP_1) | instskip(NEXT) | instid1(VALU_DEP_1)
	v_fma_f32 v32, v7, v30, v31
	v_fmac_f32_e32 v30, v32, v9
	s_delay_alu instid0(VALU_DEP_1) | instskip(NEXT) | instid1(VALU_DEP_1)
	v_fmac_f32_e32 v31, v7, v30
	v_div_fmas_f32 v7, v31, v9, v30
	v_fma_f32 v9, v6, v11, v10
	s_delay_alu instid0(VALU_DEP_2) | instskip(NEXT) | instid1(VALU_DEP_1)
	v_div_fixup_f32 v7, v7, v8, 1.0
	v_dual_fma_f32 v8, -v6, v10, v11 :: v_dual_mul_f32 v6, v9, v7
	s_delay_alu instid0(VALU_DEP_1)
	v_mul_f32_e32 v7, v8, v7
.LBB157_68:                             ;   in Loop: Header=BB157_57 Depth=2
	s_add_co_i32 s52, s35, -16
	s_add_co_i32 s50, s18, -1
	v_dual_mov_b32 v8, s52 :: v_dual_mov_b32 v32, v5
	s_add_co_i32 s51, s18, -2
	s_lshl_b32 s50, s50, 3
	s_mov_b32 s52, -1
	ds_load_b64 v[10:11], v8
	s_sub_co_i32 s50, s49, s50
	s_lshl_b32 s49, s51, 3
	v_mov_b32_e32 v34, v7
	s_add_co_i32 s51, s50, s49
	ds_store_b64 v29, v[6:7]
	v_mov_b32_e32 v8, s51
	s_add_co_i32 s51, s35, 0xfffffeb0
	ds_load_b64 v[30:31], v8
	s_wait_dscnt 0x2
	v_pk_mul_f32 v[32:33], v[32:33], v[10:11] op_sel_hi:[0,1]
	s_delay_alu instid0(VALU_DEP_1) | instskip(SKIP_2) | instid1(VALU_DEP_3)
	v_pk_fma_f32 v[36:37], v[4:5], v[10:11], v[32:33] op_sel:[0,0,1] op_sel_hi:[0,1,0]
	v_mov_b32_e32 v8, s51
	v_pk_fma_f32 v[10:11], v[4:5], v[10:11], v[32:33] op_sel:[0,0,1] op_sel_hi:[1,1,0] neg_lo:[0,0,1] neg_hi:[0,0,1]
	v_mov_b32_e32 v11, v37
	ds_load_b64 v[8:9], v8
	s_wait_dscnt 0x1
	v_pk_mul_f32 v[34:35], v[34:35], v[30:31] op_sel_hi:[0,1]
	v_pk_add_f32 v[2:3], v[2:3], v[10:11] neg_lo:[0,1] neg_hi:[0,1]
	s_delay_alu instid0(VALU_DEP_2) | instskip(SKIP_1) | instid1(VALU_DEP_2)
	v_pk_fma_f32 v[32:33], v[6:7], v[30:31], v[34:35] op_sel:[0,0,1] op_sel_hi:[0,1,0]
	v_pk_fma_f32 v[10:11], v[6:7], v[30:31], v[34:35] op_sel:[0,0,1] op_sel_hi:[1,1,0] neg_lo:[0,0,1] neg_hi:[0,0,1]
	v_mov_b32_e32 v11, v33
	s_delay_alu instid0(VALU_DEP_1) | instskip(SKIP_3) | instid1(VALU_DEP_1)
	v_pk_add_f32 v[2:3], v[2:3], v[10:11] neg_lo:[0,1] neg_hi:[0,1]
                                        ; implicit-def: $vgpr10_vgpr11
	s_wait_dscnt 0x0
	v_and_b32_e32 v32, 0x7fffffff, v8
	v_and_b32_e32 v36, 0x7fffffff, v9
	v_cmp_ngt_f32_e32 vcc_lo, v32, v36
	s_cbranch_vccz .LBB157_70
; %bb.69:                               ;   in Loop: Header=BB157_57 Depth=2
	v_div_scale_f32 v10, null, v9, v9, v8
	v_div_scale_f32 v30, vcc_lo, v8, v9, v8
	s_mov_b32 s52, 0
	v_rcp_f32_e32 v11, v10
	v_nop
	v_xor_b32_e32 v10, 0x80000000, v10
	s_delay_alu instid0(TRANS32_DEP_1) | instid1(VALU_DEP_1)
	v_fma_f32 v29, v10, v11, 1.0
	s_delay_alu instid0(VALU_DEP_1) | instskip(NEXT) | instid1(VALU_DEP_1)
	v_fmac_f32_e32 v11, v29, v11
	v_mul_f32_e32 v29, v30, v11
	s_delay_alu instid0(VALU_DEP_1) | instskip(NEXT) | instid1(VALU_DEP_1)
	v_fma_f32 v31, v10, v29, v30
	v_fmac_f32_e32 v29, v31, v11
	s_delay_alu instid0(VALU_DEP_1) | instskip(NEXT) | instid1(VALU_DEP_1)
	v_fmac_f32_e32 v30, v10, v29
	v_div_fmas_f32 v10, v30, v11, v29
	s_delay_alu instid0(VALU_DEP_1) | instskip(NEXT) | instid1(VALU_DEP_1)
	v_div_fixup_f32 v10, v10, v9, v8
	v_fma_f32 v11, v8, v10, v9
	s_delay_alu instid0(VALU_DEP_1) | instskip(SKIP_1) | instid1(VALU_DEP_2)
	v_div_scale_f32 v29, null, v11, v11, 1.0
	v_div_scale_f32 v32, vcc_lo, 1.0, v11, 1.0
	v_rcp_f32_e32 v31, v29
	v_nop
	v_xor_b32_e32 v29, 0x80000000, v29
	s_delay_alu instid0(TRANS32_DEP_1) | instid1(VALU_DEP_1)
	v_fma_f32 v30, v29, v31, 1.0
	s_delay_alu instid0(VALU_DEP_1) | instskip(NEXT) | instid1(VALU_DEP_1)
	v_fmac_f32_e32 v31, v30, v31
	v_mul_f32_e32 v33, v32, v31
	s_delay_alu instid0(VALU_DEP_1) | instskip(NEXT) | instid1(VALU_DEP_1)
	v_fma_f32 v30, v29, v33, v32
	v_dual_fmac_f32 v33, v30, v31 :: v_dual_mov_b32 v30, v3
	s_delay_alu instid0(VALU_DEP_1) | instskip(NEXT) | instid1(VALU_DEP_1)
	v_fmac_f32_e32 v32, v29, v33
	v_div_fmas_f32 v29, v32, v31, v33
	s_delay_alu instid0(VALU_DEP_3) | instskip(NEXT) | instid1(VALU_DEP_2)
	v_pk_fma_f32 v[30:31], v[10:11], v[2:3], v[30:31]
	v_div_fixup_f32 v31, v29, v11, 1.0
	s_delay_alu instid0(VALU_DEP_1) | instskip(NEXT) | instid1(VALU_DEP_1)
	v_dual_fma_f32 v11, v10, v3, -v2 :: v_dual_mov_b32 v10, v31
	v_pk_mul_f32 v[10:11], v[30:31], v[10:11]
.LBB157_70:                             ;   in Loop: Header=BB157_57 Depth=2
	s_and_not1_b32 vcc_lo, exec_lo, s52
	s_cbranch_vccnz .LBB157_72
; %bb.71:                               ;   in Loop: Header=BB157_57 Depth=2
	v_div_scale_f32 v10, null, v8, v8, v9
	v_div_scale_f32 v30, vcc_lo, v9, v8, v9
	s_delay_alu instid0(VALU_DEP_2)
	v_rcp_f32_e32 v11, v10
	v_nop
	v_xor_b32_e32 v10, 0x80000000, v10
	s_delay_alu instid0(TRANS32_DEP_1) | instid1(VALU_DEP_1)
	v_fma_f32 v29, v10, v11, 1.0
	s_delay_alu instid0(VALU_DEP_1) | instskip(NEXT) | instid1(VALU_DEP_1)
	v_fmac_f32_e32 v11, v29, v11
	v_mul_f32_e32 v29, v30, v11
	s_delay_alu instid0(VALU_DEP_1) | instskip(NEXT) | instid1(VALU_DEP_1)
	v_fma_f32 v31, v10, v29, v30
	v_fmac_f32_e32 v29, v31, v11
	s_delay_alu instid0(VALU_DEP_1) | instskip(NEXT) | instid1(VALU_DEP_1)
	v_fmac_f32_e32 v30, v10, v29
	v_div_fmas_f32 v10, v30, v11, v29
	s_delay_alu instid0(VALU_DEP_1) | instskip(NEXT) | instid1(VALU_DEP_1)
	v_div_fixup_f32 v10, v10, v8, v9
	v_fmac_f32_e32 v8, v9, v10
	s_delay_alu instid0(VALU_DEP_1) | instskip(SKIP_1) | instid1(VALU_DEP_2)
	v_div_scale_f32 v9, null, v8, v8, 1.0
	v_div_scale_f32 v30, vcc_lo, 1.0, v8, 1.0
	v_rcp_f32_e32 v11, v9
	v_nop
	v_xor_b32_e32 v9, 0x80000000, v9
	s_delay_alu instid0(TRANS32_DEP_1) | instid1(VALU_DEP_1)
	v_fma_f32 v29, v9, v11, 1.0
	s_delay_alu instid0(VALU_DEP_1) | instskip(NEXT) | instid1(VALU_DEP_1)
	v_fmac_f32_e32 v11, v29, v11
	v_mul_f32_e32 v29, v30, v11
	s_delay_alu instid0(VALU_DEP_1) | instskip(NEXT) | instid1(VALU_DEP_1)
	v_fma_f32 v31, v9, v29, v30
	v_fmac_f32_e32 v29, v31, v11
	s_delay_alu instid0(VALU_DEP_1) | instskip(NEXT) | instid1(VALU_DEP_1)
	v_fmac_f32_e32 v30, v9, v29
	v_div_fmas_f32 v9, v30, v11, v29
	v_pk_fma_f32 v[30:31], v[10:11], v[2:3], v[2:3] op_sel:[0,1,0] op_sel_hi:[0,0,1] neg_lo:[1,0,0] neg_hi:[1,0,0]
	v_pk_fma_f32 v[2:3], v[10:11], v[2:3], v[2:3] op_sel:[0,1,0] op_sel_hi:[1,0,1]
	s_delay_alu instid0(VALU_DEP_3) | instskip(NEXT) | instid1(VALU_DEP_3)
	v_div_fixup_f32 v8, v9, v8, 1.0
	v_mov_b32_e32 v3, v31
	s_delay_alu instid0(VALU_DEP_1)
	v_pk_mul_f32 v[10:11], v[2:3], v[8:9] op_sel_hi:[1,0]
.LBB157_72:                             ;   in Loop: Header=BB157_57 Depth=2
	s_sub_co_i32 s35, s35, 24
	s_lshl_b32 s34, s34, 3
	v_mov_b32_e32 v2, s35
	s_add_co_i32 s35, s50, s34
	s_add_co_i32 s31, s31, s30
	v_mov_b32_e32 v3, s35
	s_sub_co_i32 s35, s51, s49
	ds_load_b64 v[8:9], v2
	s_add_co_i32 s34, s35, s34
	v_mov_b32_e32 v34, v5
	ds_load_b64 v[30:31], v3
	v_mov_b32_e32 v2, s34
	s_sub_co_i32 s30, s31, 24
	v_dual_mov_b32 v37, v7 :: v_dual_mov_b32 v35, v5
	v_dual_mov_b32 v5, v4 :: v_dual_mov_b32 v36, v7
	ds_load_b64 v[32:33], v2
	v_dual_mov_b32 v2, s30 :: v_dual_mov_b32 v7, v6
	s_mov_b32 s30, -1
	ds_store_b64 v25, v[10:11]
	ds_load_b64 v[2:3], v2
	s_wait_dscnt 0x4
	v_pk_mul_f32 v[34:35], v[34:35], v[8:9]
	s_wait_dscnt 0x3
	v_pk_mul_f32 v[36:37], v[36:37], v[30:31]
	s_delay_alu instid0(VALU_DEP_2) | instskip(SKIP_1) | instid1(VALU_DEP_3)
	v_pk_fma_f32 v[38:39], v[4:5], v[8:9], v[34:35] op_sel:[0,0,1] op_sel_hi:[1,1,0]
	v_pk_fma_f32 v[4:5], v[4:5], v[8:9], v[34:35] op_sel:[0,0,1] op_sel_hi:[1,1,0] neg_lo:[0,0,1] neg_hi:[0,0,1]
	v_pk_fma_f32 v[8:9], v[6:7], v[30:31], v[36:37] op_sel:[0,0,1] op_sel_hi:[1,1,0]
	v_pk_fma_f32 v[6:7], v[6:7], v[30:31], v[36:37] op_sel:[0,0,1] op_sel_hi:[1,1,0] neg_lo:[0,0,1] neg_hi:[0,0,1]
	s_delay_alu instid0(VALU_DEP_4) | instskip(SKIP_3) | instid1(VALU_DEP_3)
	v_mov_b32_e32 v5, v39
	s_wait_dscnt 0x2
	v_pk_mul_f32 v[34:35], v[10:11], v[32:33] op_sel:[1,1] op_sel_hi:[1,0]
	v_mov_b32_e32 v7, v9
	v_pk_add_f32 v[0:1], v[0:1], v[4:5] neg_lo:[0,1] neg_hi:[0,1]
	s_delay_alu instid0(VALU_DEP_3)
	v_pk_fma_f32 v[4:5], v[10:11], v[32:33], v[34:35] op_sel_hi:[0,1,1]
	s_wait_dscnt 0x0
	v_and_b32_e32 v4, 0x7fffffff, v2
	v_and_b32_e32 v29, 0x7fffffff, v3
	v_pk_fma_f32 v[8:9], v[10:11], v[32:33], v[34:35] neg_lo:[0,0,1] neg_hi:[0,0,1]
	v_pk_add_f32 v[0:1], v[0:1], v[6:7] neg_lo:[0,1] neg_hi:[0,1]
	v_mov_b32_e32 v9, v5
	s_delay_alu instid0(VALU_DEP_4) | instskip(NEXT) | instid1(VALU_DEP_2)
	v_cmp_ngt_f32_e32 vcc_lo, v4, v29
                                        ; implicit-def: $vgpr4_vgpr5
	v_pk_add_f32 v[0:1], v[0:1], v[8:9] neg_lo:[0,1] neg_hi:[0,1]
	s_cbranch_vccz .LBB157_74
; %bb.73:                               ;   in Loop: Header=BB157_57 Depth=2
	v_div_scale_f32 v4, null, v3, v3, v2
	v_div_scale_f32 v7, vcc_lo, v2, v3, v2
	s_mov_b32 s30, 0
	v_rcp_f32_e32 v5, v4
	v_nop
	v_xor_b32_e32 v4, 0x80000000, v4
	s_delay_alu instid0(TRANS32_DEP_1) | instid1(VALU_DEP_1)
	v_fma_f32 v6, v4, v5, 1.0
	s_delay_alu instid0(VALU_DEP_1) | instskip(NEXT) | instid1(VALU_DEP_1)
	v_fmac_f32_e32 v5, v6, v5
	v_mul_f32_e32 v6, v7, v5
	s_delay_alu instid0(VALU_DEP_1) | instskip(NEXT) | instid1(VALU_DEP_1)
	v_fma_f32 v8, v4, v6, v7
	v_fmac_f32_e32 v6, v8, v5
	s_delay_alu instid0(VALU_DEP_1) | instskip(NEXT) | instid1(VALU_DEP_1)
	v_fmac_f32_e32 v7, v4, v6
	v_div_fmas_f32 v4, v7, v5, v6
	s_delay_alu instid0(VALU_DEP_1) | instskip(NEXT) | instid1(VALU_DEP_1)
	v_div_fixup_f32 v4, v4, v3, v2
	v_fma_f32 v5, v2, v4, v3
	s_delay_alu instid0(VALU_DEP_1) | instskip(NEXT) | instid1(VALU_DEP_1)
	v_div_scale_f32 v6, null, v5, v5, 1.0
	v_rcp_f32_e32 v7, v6
	v_nop
	v_xor_b32_e32 v6, 0x80000000, v6
	s_delay_alu instid0(TRANS32_DEP_1) | instid1(VALU_DEP_1)
	v_fma_f32 v8, v6, v7, 1.0
	s_delay_alu instid0(VALU_DEP_1) | instskip(SKIP_1) | instid1(VALU_DEP_1)
	v_fmac_f32_e32 v7, v8, v7
	v_div_scale_f32 v8, vcc_lo, 1.0, v5, 1.0
	v_mul_f32_e32 v9, v8, v7
	s_delay_alu instid0(VALU_DEP_1) | instskip(NEXT) | instid1(VALU_DEP_1)
	v_fma_f32 v10, v6, v9, v8
	v_fmac_f32_e32 v9, v10, v7
	s_delay_alu instid0(VALU_DEP_1) | instskip(NEXT) | instid1(VALU_DEP_1)
	v_dual_fmac_f32 v8, v6, v9 :: v_dual_mov_b32 v6, v1
	v_div_fmas_f32 v8, v8, v7, v9
	s_delay_alu instid0(VALU_DEP_2) | instskip(NEXT) | instid1(VALU_DEP_2)
	v_pk_fma_f32 v[6:7], v[4:5], v[0:1], v[6:7]
	v_div_fixup_f32 v7, v8, v5, 1.0
	s_delay_alu instid0(VALU_DEP_1) | instskip(NEXT) | instid1(VALU_DEP_1)
	v_dual_fma_f32 v5, v4, v1, -v0 :: v_dual_mov_b32 v4, v7
	v_pk_mul_f32 v[4:5], v[6:7], v[4:5]
.LBB157_74:                             ;   in Loop: Header=BB157_57 Depth=2
	s_and_not1_b32 vcc_lo, exec_lo, s30
	s_cbranch_vccnz .LBB157_76
; %bb.75:                               ;   in Loop: Header=BB157_57 Depth=2
	v_div_scale_f32 v4, null, v2, v2, v3
	v_div_scale_f32 v7, vcc_lo, v3, v2, v3
	s_delay_alu instid0(VALU_DEP_2)
	v_rcp_f32_e32 v5, v4
	v_nop
	v_xor_b32_e32 v4, 0x80000000, v4
	s_delay_alu instid0(TRANS32_DEP_1) | instid1(VALU_DEP_1)
	v_fma_f32 v6, v4, v5, 1.0
	s_delay_alu instid0(VALU_DEP_1) | instskip(NEXT) | instid1(VALU_DEP_1)
	v_fmac_f32_e32 v5, v6, v5
	v_mul_f32_e32 v6, v7, v5
	s_delay_alu instid0(VALU_DEP_1) | instskip(NEXT) | instid1(VALU_DEP_1)
	v_fma_f32 v8, v4, v6, v7
	v_fmac_f32_e32 v6, v8, v5
	s_delay_alu instid0(VALU_DEP_1) | instskip(NEXT) | instid1(VALU_DEP_1)
	v_fmac_f32_e32 v7, v4, v6
	v_div_fmas_f32 v4, v7, v5, v6
	s_delay_alu instid0(VALU_DEP_1) | instskip(NEXT) | instid1(VALU_DEP_1)
	v_div_fixup_f32 v4, v4, v2, v3
	v_fmac_f32_e32 v2, v3, v4
	s_delay_alu instid0(VALU_DEP_1) | instskip(SKIP_1) | instid1(VALU_DEP_2)
	v_div_scale_f32 v3, null, v2, v2, 1.0
	v_div_scale_f32 v7, vcc_lo, 1.0, v2, 1.0
	v_rcp_f32_e32 v5, v3
	v_nop
	v_xor_b32_e32 v3, 0x80000000, v3
	s_delay_alu instid0(TRANS32_DEP_1) | instid1(VALU_DEP_1)
	v_fma_f32 v6, v3, v5, 1.0
	s_delay_alu instid0(VALU_DEP_1) | instskip(NEXT) | instid1(VALU_DEP_1)
	v_fmac_f32_e32 v5, v6, v5
	v_mul_f32_e32 v6, v7, v5
	s_delay_alu instid0(VALU_DEP_1) | instskip(NEXT) | instid1(VALU_DEP_1)
	v_fma_f32 v8, v3, v6, v7
	v_fmac_f32_e32 v6, v8, v5
	s_delay_alu instid0(VALU_DEP_1) | instskip(NEXT) | instid1(VALU_DEP_1)
	v_fmac_f32_e32 v7, v3, v6
	v_div_fmas_f32 v3, v7, v5, v6
	v_pk_fma_f32 v[6:7], v[4:5], v[0:1], v[0:1] op_sel:[0,1,0] op_sel_hi:[0,0,1] neg_lo:[1,0,0] neg_hi:[1,0,0]
	v_pk_fma_f32 v[0:1], v[4:5], v[0:1], v[0:1] op_sel:[0,1,0] op_sel_hi:[1,0,1]
	s_delay_alu instid0(VALU_DEP_3) | instskip(NEXT) | instid1(VALU_DEP_3)
	v_div_fixup_f32 v2, v3, v2, 1.0
	v_mov_b32_e32 v1, v7
	s_delay_alu instid0(VALU_DEP_1)
	v_pk_mul_f32 v[4:5], v[0:1], v[2:3] op_sel_hi:[1,0]
.LBB157_76:                             ;   in Loop: Header=BB157_57 Depth=2
	s_add_co_i32 s30, s18, -4
	s_sub_co_i32 s3, s3, 32
	s_cmp_lt_i32 s18, 7
	ds_store_b64 v24, v[4:5]
	s_cbranch_scc1 .LBB157_78
; %bb.77:                               ;   in Loop: Header=BB157_57 Depth=2
	s_mov_b32 s18, s30
	s_branch .LBB157_57
.LBB157_78:                             ;   in Loop: Header=BB157_3 Depth=1
	s_cmp_lt_i32 s30, 0
	s_cbranch_scc1 .LBB157_87
; %bb.79:                               ;   in Loop: Header=BB157_3 Depth=1
	s_lshl_b32 s3, s30, 3
	s_delay_alu instid0(SALU_CYCLE_1)
	s_add_co_i32 s3, s17, s3
	s_branch .LBB157_81
.LBB157_80:                             ;   in Loop: Header=BB157_81 Depth=2
	s_add_co_i32 s18, s30, -1
	s_add_co_i32 s3, s3, -8
	s_cmp_lt_i32 s30, 1
	s_mov_b32 s30, s18
	ds_store_b64 v6, v[4:5]
	s_cbranch_scc1 .LBB157_87
.LBB157_81:                             ;   Parent Loop BB157_3 Depth=1
                                        ; =>  This Loop Header: Depth=2
                                        ;       Child Loop BB157_82 Depth 3
	s_mul_i32 s18, s30, 0xa0
	s_cmp_le_i32 s38, s30
	v_dual_add_nc_u32 v6, s18, v26 :: v_dual_mov_b32 v2, v13
	s_mov_b32 s31, s3
	s_mov_b32 s34, s38
	ds_load_b64 v[0:1], v6
	s_cbranch_scc1 .LBB157_83
.LBB157_82:                             ;   Parent Loop BB157_3 Depth=1
                                        ;     Parent Loop BB157_81 Depth=2
                                        ; =>    This Inner Loop Header: Depth=3
	v_mov_b32_e32 v3, s31
	s_add_co_i32 s34, s34, -1
	s_addk_co_i32 s31, 0xff60
	s_cmp_le_i32 s34, s30
	ds_load_b64 v[4:5], v2
	ds_load_b64 v[8:9], v3
	v_add_nc_u32_e32 v2, 0xffffff60, v2
	s_wait_dscnt 0x0
	v_pk_mul_f32 v[10:11], v[8:9], v[4:5] op_sel:[1,1] op_sel_hi:[0,1]
	s_delay_alu instid0(VALU_DEP_1) | instskip(SKIP_1) | instid1(VALU_DEP_2)
	v_pk_fma_f32 v[24:25], v[8:9], v[4:5], v[10:11] op_sel_hi:[1,0,1]
	v_pk_fma_f32 v[4:5], v[8:9], v[4:5], v[10:11] op_sel_hi:[1,0,1] neg_lo:[0,0,1] neg_hi:[0,0,1]
	v_mov_b32_e32 v5, v25
	s_delay_alu instid0(VALU_DEP_1)
	v_pk_add_f32 v[0:1], v[0:1], v[4:5] neg_lo:[0,1] neg_hi:[0,1]
	s_cbranch_scc0 .LBB157_82
.LBB157_83:                             ;   in Loop: Header=BB157_81 Depth=2
	s_lshl_b32 s31, s30, 3
	s_delay_alu instid0(SALU_CYCLE_1) | instskip(NEXT) | instid1(SALU_CYCLE_1)
	s_add_co_i32 s18, s31, s18
	v_mov_b32_e32 v2, s18
	s_mov_b32 s18, -1
	ds_load_b64 v[2:3], v2
	s_wait_dscnt 0x0
	v_and_b32_e32 v4, 0x7fffffff, v2
	v_and_b32_e32 v5, 0x7fffffff, v3
	s_delay_alu instid0(VALU_DEP_1)
	v_cmp_ngt_f32_e32 vcc_lo, v4, v5
                                        ; implicit-def: $vgpr4_vgpr5
	s_cbranch_vccz .LBB157_85
; %bb.84:                               ;   in Loop: Header=BB157_81 Depth=2
	v_div_scale_f32 v4, null, v3, v3, v2
	v_div_scale_f32 v8, vcc_lo, v2, v3, v2
	s_mov_b32 s18, 0
	v_rcp_f32_e32 v5, v4
	v_nop
	v_xor_b32_e32 v4, 0x80000000, v4
	s_delay_alu instid0(TRANS32_DEP_1) | instid1(VALU_DEP_1)
	v_fma_f32 v7, v4, v5, 1.0
	s_delay_alu instid0(VALU_DEP_1) | instskip(NEXT) | instid1(VALU_DEP_1)
	v_fmac_f32_e32 v5, v7, v5
	v_mul_f32_e32 v7, v8, v5
	s_delay_alu instid0(VALU_DEP_1) | instskip(NEXT) | instid1(VALU_DEP_1)
	v_fma_f32 v9, v4, v7, v8
	v_fmac_f32_e32 v7, v9, v5
	s_delay_alu instid0(VALU_DEP_1) | instskip(NEXT) | instid1(VALU_DEP_1)
	v_fmac_f32_e32 v8, v4, v7
	v_div_fmas_f32 v4, v8, v5, v7
	s_delay_alu instid0(VALU_DEP_1) | instskip(NEXT) | instid1(VALU_DEP_1)
	v_div_fixup_f32 v4, v4, v3, v2
	v_fma_f32 v7, v2, v4, v3
	s_delay_alu instid0(VALU_DEP_1) | instskip(SKIP_1) | instid1(VALU_DEP_2)
	v_div_scale_f32 v5, null, v7, v7, 1.0
	v_div_scale_f32 v10, vcc_lo, 1.0, v7, 1.0
	v_rcp_f32_e32 v8, v5
	v_nop
	v_xor_b32_e32 v5, 0x80000000, v5
	s_delay_alu instid0(TRANS32_DEP_1) | instid1(VALU_DEP_1)
	v_fma_f32 v9, v5, v8, 1.0
	s_delay_alu instid0(VALU_DEP_1) | instskip(NEXT) | instid1(VALU_DEP_1)
	v_fmac_f32_e32 v8, v9, v8
	v_mul_f32_e32 v9, v10, v8
	s_delay_alu instid0(VALU_DEP_1) | instskip(NEXT) | instid1(VALU_DEP_1)
	v_fma_f32 v11, v5, v9, v10
	v_fmac_f32_e32 v9, v11, v8
	s_delay_alu instid0(VALU_DEP_1) | instskip(NEXT) | instid1(VALU_DEP_1)
	v_fmac_f32_e32 v10, v5, v9
	v_div_fmas_f32 v10, v10, v8, v9
	v_pk_fma_f32 v[8:9], v[0:1], v[4:5], v[0:1] op_sel:[0,0,1] op_sel_hi:[1,0,0] neg_lo:[0,0,1] neg_hi:[0,0,1]
	v_pk_fma_f32 v[4:5], v[0:1], v[4:5], v[0:1] op_sel:[0,0,1] op_sel_hi:[1,0,0]
	s_delay_alu instid0(VALU_DEP_3) | instskip(NEXT) | instid1(VALU_DEP_3)
	v_div_fixup_f32 v8, v10, v7, 1.0
	v_mov_b32_e32 v5, v9
	s_delay_alu instid0(VALU_DEP_1)
	v_pk_mul_f32 v[4:5], v[4:5], v[8:9] op_sel_hi:[1,0]
.LBB157_85:                             ;   in Loop: Header=BB157_81 Depth=2
	s_and_not1_b32 vcc_lo, exec_lo, s18
	s_cbranch_vccnz .LBB157_80
; %bb.86:                               ;   in Loop: Header=BB157_81 Depth=2
	v_div_scale_f32 v4, null, v2, v2, v3
	v_div_scale_f32 v8, vcc_lo, v3, v2, v3
	s_delay_alu instid0(VALU_DEP_2)
	v_rcp_f32_e32 v5, v4
	v_nop
	v_xor_b32_e32 v4, 0x80000000, v4
	s_delay_alu instid0(TRANS32_DEP_1) | instid1(VALU_DEP_1)
	v_fma_f32 v7, v4, v5, 1.0
	s_delay_alu instid0(VALU_DEP_1) | instskip(NEXT) | instid1(VALU_DEP_1)
	v_fmac_f32_e32 v5, v7, v5
	v_mul_f32_e32 v7, v8, v5
	s_delay_alu instid0(VALU_DEP_1) | instskip(NEXT) | instid1(VALU_DEP_1)
	v_fma_f32 v9, v4, v7, v8
	v_fmac_f32_e32 v7, v9, v5
	s_delay_alu instid0(VALU_DEP_1) | instskip(NEXT) | instid1(VALU_DEP_1)
	v_fmac_f32_e32 v8, v4, v7
	v_div_fmas_f32 v4, v8, v5, v7
	s_delay_alu instid0(VALU_DEP_1) | instskip(NEXT) | instid1(VALU_DEP_1)
	v_div_fixup_f32 v4, v4, v2, v3
	v_fmac_f32_e32 v2, v3, v4
	s_delay_alu instid0(VALU_DEP_1) | instskip(SKIP_1) | instid1(VALU_DEP_2)
	v_div_scale_f32 v3, null, v2, v2, 1.0
	v_div_scale_f32 v8, vcc_lo, 1.0, v2, 1.0
	v_rcp_f32_e32 v5, v3
	v_nop
	v_xor_b32_e32 v3, 0x80000000, v3
	s_delay_alu instid0(TRANS32_DEP_1) | instid1(VALU_DEP_1)
	v_fma_f32 v7, v3, v5, 1.0
	s_delay_alu instid0(VALU_DEP_1) | instskip(NEXT) | instid1(VALU_DEP_1)
	v_fmac_f32_e32 v5, v7, v5
	v_mul_f32_e32 v7, v8, v5
	s_delay_alu instid0(VALU_DEP_1) | instskip(NEXT) | instid1(VALU_DEP_1)
	v_fma_f32 v9, v3, v7, v8
	v_fmac_f32_e32 v7, v9, v5
	s_delay_alu instid0(VALU_DEP_1) | instskip(NEXT) | instid1(VALU_DEP_1)
	v_fmac_f32_e32 v8, v3, v7
	v_div_fmas_f32 v3, v8, v5, v7
	v_pk_fma_f32 v[8:9], v[0:1], v[4:5], v[0:1] op_sel:[1,0,0] op_sel_hi:[0,0,1] neg_lo:[1,0,0] neg_hi:[1,0,0]
	v_pk_fma_f32 v[0:1], v[0:1], v[4:5], v[0:1] op_sel:[1,0,0] op_sel_hi:[0,0,1]
	s_delay_alu instid0(VALU_DEP_3) | instskip(NEXT) | instid1(VALU_DEP_3)
	v_div_fixup_f32 v2, v3, v2, 1.0
	v_mov_b32_e32 v1, v9
	s_delay_alu instid0(VALU_DEP_1)
	v_pk_mul_f32 v[4:5], v[0:1], v[2:3] op_sel_hi:[1,0]
	s_branch .LBB157_80
.LBB157_87:                             ;   in Loop: Header=BB157_3 Depth=1
	s_mov_b32 s3, 0
.LBB157_88:                             ;   in Loop: Header=BB157_3 Depth=1
	s_delay_alu instid0(SALU_CYCLE_1)
	s_and_not1_b32 vcc_lo, exec_lo, s3
	s_cbranch_vccnz .LBB157_119
; %bb.89:                               ;   in Loop: Header=BB157_3 Depth=1
	s_mov_b32 s30, s38
	s_and_not1_b32 vcc_lo, exec_lo, s42
	s_mov_b32 s3, s47
	s_mov_b32 s18, s38
	s_cbranch_vccnz .LBB157_110
.LBB157_90:                             ;   Parent Loop BB157_3 Depth=1
                                        ; =>  This Loop Header: Depth=2
                                        ;       Child Loop BB157_91 Depth 3
	s_mul_i32 s30, s18, 20
	s_cmp_le_i32 s38, s18
	v_lshl_add_u32 v30, s30, 3, v26
	s_mov_b32 s31, s3
	s_mov_b32 s34, s38
	s_delay_alu instid0(VALU_DEP_1)
	v_dual_mov_b32 v2, v13 :: v_dual_add_nc_u32 v29, 0xffffff60, v30
	v_add_nc_u32_e32 v25, 0xfffffec0, v30
	v_add_nc_u32_e32 v24, 0xfffffe20, v30
	ds_load_b64 v[0:1], v30
	ds_load_b64 v[10:11], v29
	;; [unrolled: 1-line block ×4, first 2 shown]
	s_cbranch_scc1 .LBB157_92
.LBB157_91:                             ;   Parent Loop BB157_3 Depth=1
                                        ;     Parent Loop BB157_90 Depth=2
                                        ; =>    This Inner Loop Header: Depth=3
	v_mov_b32_e32 v3, s31
	s_add_co_i32 s34, s34, -1
	s_add_co_i32 s31, s31, -8
	s_cmp_le_i32 s34, s18
	ds_load_b64 v[8:9], v2
	ds_load_2addr_b64 v[32:35], v3 offset1:20
	ds_load_2addr_b64 v[36:39], v3 offset0:40 offset1:60
	v_add_nc_u32_e32 v2, 0xffffff60, v2
	s_wait_dscnt 0x1
	v_pk_mul_f32 v[40:41], v[34:35], v[8:9] op_sel:[0,1]
	s_wait_dscnt 0x0
	v_dual_mul_f32 v3, v39, v9 :: v_dual_mul_f32 v31, v38, v9
	v_dual_mul_f32 v44, v37, v9 :: v_dual_mul_f32 v45, v37, v8
	v_pk_mul_f32 v[42:43], v[32:33], v[8:9] op_sel:[0,1]
	s_delay_alu instid0(VALU_DEP_3) | instskip(NEXT) | instid1(VALU_DEP_3)
	v_fma_f32 v3, v38, v8, -v3
	v_dual_fmac_f32 v31, v39, v8 :: v_dual_fma_f32 v44, v36, v8, -v44
	s_delay_alu instid0(VALU_DEP_4) | instskip(SKIP_4) | instid1(VALU_DEP_4)
	v_fmac_f32_e32 v45, v36, v9
	v_pk_fma_f32 v[36:37], v[34:35], v[8:9], v[40:41] op_sel:[0,0,1] op_sel_hi:[1,0,0]
	v_pk_fma_f32 v[38:39], v[32:33], v[8:9], v[42:43] op_sel:[0,0,1] op_sel_hi:[1,0,0]
	v_pk_fma_f32 v[34:35], v[34:35], v[8:9], v[40:41] op_sel:[0,0,1] op_sel_hi:[1,1,0] neg_lo:[0,0,1] neg_hi:[0,0,1]
	v_pk_fma_f32 v[8:9], v[32:33], v[8:9], v[42:43] op_sel:[0,0,1] op_sel_hi:[1,1,0] neg_lo:[0,0,1] neg_hi:[0,0,1]
	v_dual_sub_f32 v0, v0, v3 :: v_dual_mov_b32 v35, v37
	s_delay_alu instid0(VALU_DEP_4) | instskip(SKIP_1) | instid1(VALU_DEP_3)
	v_dual_mov_b32 v9, v39 :: v_dual_sub_f32 v1, v1, v31
	v_dual_sub_f32 v10, v10, v44 :: v_dual_sub_f32 v11, v11, v45
	v_pk_add_f32 v[6:7], v[6:7], v[34:35] neg_lo:[0,1] neg_hi:[0,1]
	s_delay_alu instid0(VALU_DEP_3)
	v_pk_add_f32 v[4:5], v[4:5], v[8:9] neg_lo:[0,1] neg_hi:[0,1]
	s_cbranch_scc0 .LBB157_91
.LBB157_92:                             ;   in Loop: Header=BB157_90 Depth=2
	s_mul_i32 s31, s18, 0xa8
	s_delay_alu instid0(SALU_CYCLE_1)
	v_mov_b32_e32 v2, s31
	s_mov_b32 s31, -1
	ds_load_b64 v[2:3], v2
	s_wait_dscnt 0x0
	v_and_b32_e32 v8, 0x7fffffff, v2
	v_and_b32_e32 v9, 0x7fffffff, v3
	s_delay_alu instid0(VALU_DEP_1)
	v_cmp_ngt_f32_e32 vcc_lo, v8, v9
                                        ; implicit-def: $vgpr9
	s_cbranch_vccz .LBB157_94
; %bb.93:                               ;   in Loop: Header=BB157_90 Depth=2
	v_div_scale_f32 v8, null, v3, v3, v2
	v_div_scale_f32 v32, vcc_lo, v2, v3, v2
	s_mov_b32 s31, 0
	v_rcp_f32_e32 v9, v8
	v_nop
	v_xor_b32_e32 v8, 0x80000000, v8
	s_delay_alu instid0(TRANS32_DEP_1) | instid1(VALU_DEP_1)
	v_fma_f32 v31, v8, v9, 1.0
	s_delay_alu instid0(VALU_DEP_1) | instskip(NEXT) | instid1(VALU_DEP_1)
	v_fmac_f32_e32 v9, v31, v9
	v_mul_f32_e32 v31, v32, v9
	s_delay_alu instid0(VALU_DEP_1) | instskip(NEXT) | instid1(VALU_DEP_1)
	v_fma_f32 v33, v8, v31, v32
	v_fmac_f32_e32 v31, v33, v9
	s_delay_alu instid0(VALU_DEP_1) | instskip(NEXT) | instid1(VALU_DEP_1)
	v_fmac_f32_e32 v32, v8, v31
	v_div_fmas_f32 v8, v32, v9, v31
	s_delay_alu instid0(VALU_DEP_1) | instskip(NEXT) | instid1(VALU_DEP_1)
	v_div_fixup_f32 v8, v8, v3, v2
	v_fma_f32 v9, v2, v8, v3
	s_delay_alu instid0(VALU_DEP_1) | instskip(SKIP_1) | instid1(VALU_DEP_2)
	v_div_scale_f32 v31, null, v9, v9, 1.0
	v_div_scale_f32 v34, vcc_lo, 1.0, v9, 1.0
	v_rcp_f32_e32 v32, v31
	v_nop
	v_xor_b32_e32 v31, 0x80000000, v31
	s_delay_alu instid0(TRANS32_DEP_1) | instid1(VALU_DEP_1)
	v_fma_f32 v33, v31, v32, 1.0
	s_delay_alu instid0(VALU_DEP_1) | instskip(NEXT) | instid1(VALU_DEP_1)
	v_fmac_f32_e32 v32, v33, v32
	v_mul_f32_e32 v33, v34, v32
	s_delay_alu instid0(VALU_DEP_1) | instskip(NEXT) | instid1(VALU_DEP_1)
	v_fma_f32 v35, v31, v33, v34
	v_fmac_f32_e32 v33, v35, v32
	s_delay_alu instid0(VALU_DEP_1) | instskip(NEXT) | instid1(VALU_DEP_1)
	v_fmac_f32_e32 v34, v31, v33
	v_div_fmas_f32 v31, v34, v32, v33
	v_fma_f32 v32, v0, v8, v1
	s_delay_alu instid0(VALU_DEP_2) | instskip(NEXT) | instid1(VALU_DEP_1)
	v_div_fixup_f32 v9, v31, v9, 1.0
	v_dual_fma_f32 v31, v1, v8, -v0 :: v_dual_mul_f32 v8, v32, v9
	s_delay_alu instid0(VALU_DEP_1)
	v_mul_f32_e32 v9, v31, v9
.LBB157_94:                             ;   in Loop: Header=BB157_90 Depth=2
	s_and_not1_b32 vcc_lo, exec_lo, s31
	s_cbranch_vccnz .LBB157_96
; %bb.95:                               ;   in Loop: Header=BB157_90 Depth=2
	v_div_scale_f32 v8, null, v2, v2, v3
	v_div_scale_f32 v32, vcc_lo, v3, v2, v3
	s_delay_alu instid0(VALU_DEP_2)
	v_rcp_f32_e32 v9, v8
	v_nop
	v_xor_b32_e32 v8, 0x80000000, v8
	s_delay_alu instid0(TRANS32_DEP_1) | instid1(VALU_DEP_1)
	v_fma_f32 v31, v8, v9, 1.0
	s_delay_alu instid0(VALU_DEP_1) | instskip(NEXT) | instid1(VALU_DEP_1)
	v_fmac_f32_e32 v9, v31, v9
	v_mul_f32_e32 v31, v32, v9
	s_delay_alu instid0(VALU_DEP_1) | instskip(NEXT) | instid1(VALU_DEP_1)
	v_fma_f32 v33, v8, v31, v32
	v_fmac_f32_e32 v31, v33, v9
	s_delay_alu instid0(VALU_DEP_1) | instskip(NEXT) | instid1(VALU_DEP_1)
	v_fmac_f32_e32 v32, v8, v31
	v_div_fmas_f32 v8, v32, v9, v31
	s_delay_alu instid0(VALU_DEP_1) | instskip(NEXT) | instid1(VALU_DEP_1)
	v_div_fixup_f32 v8, v8, v2, v3
	v_fmac_f32_e32 v2, v3, v8
	s_delay_alu instid0(VALU_DEP_1) | instskip(SKIP_1) | instid1(VALU_DEP_2)
	v_div_scale_f32 v3, null, v2, v2, 1.0
	v_div_scale_f32 v32, vcc_lo, 1.0, v2, 1.0
	v_rcp_f32_e32 v9, v3
	v_nop
	v_xor_b32_e32 v3, 0x80000000, v3
	s_delay_alu instid0(TRANS32_DEP_1) | instid1(VALU_DEP_1)
	v_fma_f32 v31, v3, v9, 1.0
	s_delay_alu instid0(VALU_DEP_1) | instskip(NEXT) | instid1(VALU_DEP_1)
	v_fmac_f32_e32 v9, v31, v9
	v_mul_f32_e32 v31, v32, v9
	s_delay_alu instid0(VALU_DEP_1) | instskip(NEXT) | instid1(VALU_DEP_1)
	v_fma_f32 v33, v3, v31, v32
	v_fmac_f32_e32 v31, v33, v9
	s_delay_alu instid0(VALU_DEP_1) | instskip(NEXT) | instid1(VALU_DEP_1)
	v_fmac_f32_e32 v32, v3, v31
	v_div_fmas_f32 v3, v32, v9, v31
	v_dual_fma_f32 v9, v1, v8, v0 :: v_dual_fma_f32 v0, -v0, v8, v1
	s_delay_alu instid0(VALU_DEP_2) | instskip(NEXT) | instid1(VALU_DEP_1)
	v_div_fixup_f32 v2, v3, v2, 1.0
	v_dual_mul_f32 v8, v9, v2 :: v_dual_mul_f32 v9, v0, v2
.LBB157_96:                             ;   in Loop: Header=BB157_90 Depth=2
	s_lshl_b32 s31, s30, 3
	s_lshl_b32 s30, s18, 3
	s_addk_co_i32 s31, 0xff60
	ds_store_b64 v30, v[8:9]
	s_add_co_i32 s34, s30, s31
	s_delay_alu instid0(SALU_CYCLE_1) | instskip(NEXT) | instid1(SALU_CYCLE_1)
	s_add_co_i32 s34, s34, -8
	v_mov_b32_e32 v0, s34
	s_mov_b32 s34, -1
	ds_load_2addr_b64 v[0:3], v0 offset1:1
	s_wait_dscnt 0x0
	v_dual_mul_f32 v31, v9, v3 :: v_dual_mul_f32 v3, v8, v3
	v_and_b32_e32 v32, 0x7fffffff, v0
	v_and_b32_e32 v33, 0x7fffffff, v1
	s_delay_alu instid0(VALU_DEP_3) | instskip(NEXT) | instid1(VALU_DEP_4)
	v_fma_f32 v31, v8, v2, -v31
	v_fmac_f32_e32 v3, v9, v2
	s_delay_alu instid0(VALU_DEP_3) | instskip(NEXT) | instid1(VALU_DEP_3)
	v_cmp_ngt_f32_e32 vcc_lo, v32, v33
	v_sub_f32_e32 v2, v10, v31
	s_delay_alu instid0(VALU_DEP_3)
	v_sub_f32_e32 v3, v11, v3
                                        ; implicit-def: $vgpr11
	s_cbranch_vccz .LBB157_98
; %bb.97:                               ;   in Loop: Header=BB157_90 Depth=2
	v_div_scale_f32 v10, null, v1, v1, v0
	v_div_scale_f32 v31, vcc_lo, v0, v1, v0
	s_mov_b32 s34, 0
	v_rcp_f32_e32 v11, v10
	v_nop
	v_xor_b32_e32 v10, 0x80000000, v10
	s_delay_alu instid0(TRANS32_DEP_1) | instid1(VALU_DEP_1)
	v_fma_f32 v30, v10, v11, 1.0
	s_delay_alu instid0(VALU_DEP_1) | instskip(NEXT) | instid1(VALU_DEP_1)
	v_fmac_f32_e32 v11, v30, v11
	v_mul_f32_e32 v30, v31, v11
	s_delay_alu instid0(VALU_DEP_1) | instskip(NEXT) | instid1(VALU_DEP_1)
	v_fma_f32 v32, v10, v30, v31
	v_fmac_f32_e32 v30, v32, v11
	s_delay_alu instid0(VALU_DEP_1) | instskip(NEXT) | instid1(VALU_DEP_1)
	v_fmac_f32_e32 v31, v10, v30
	v_div_fmas_f32 v10, v31, v11, v30
	s_delay_alu instid0(VALU_DEP_1) | instskip(NEXT) | instid1(VALU_DEP_1)
	v_div_fixup_f32 v10, v10, v1, v0
	v_fma_f32 v11, v0, v10, v1
	s_delay_alu instid0(VALU_DEP_1) | instskip(SKIP_1) | instid1(VALU_DEP_2)
	v_div_scale_f32 v30, null, v11, v11, 1.0
	v_div_scale_f32 v33, vcc_lo, 1.0, v11, 1.0
	v_rcp_f32_e32 v31, v30
	v_nop
	v_xor_b32_e32 v30, 0x80000000, v30
	s_delay_alu instid0(TRANS32_DEP_1) | instid1(VALU_DEP_1)
	v_fma_f32 v32, v30, v31, 1.0
	s_delay_alu instid0(VALU_DEP_1) | instskip(NEXT) | instid1(VALU_DEP_1)
	v_fmac_f32_e32 v31, v32, v31
	v_mul_f32_e32 v32, v33, v31
	s_delay_alu instid0(VALU_DEP_1) | instskip(NEXT) | instid1(VALU_DEP_1)
	v_fma_f32 v34, v30, v32, v33
	v_fmac_f32_e32 v32, v34, v31
	s_delay_alu instid0(VALU_DEP_1) | instskip(NEXT) | instid1(VALU_DEP_1)
	v_fmac_f32_e32 v33, v30, v32
	v_div_fmas_f32 v30, v33, v31, v32
	v_fma_f32 v31, v10, v2, v3
	s_delay_alu instid0(VALU_DEP_2) | instskip(SKIP_1) | instid1(VALU_DEP_1)
	v_div_fixup_f32 v11, v30, v11, 1.0
	v_fma_f32 v30, v10, v3, -v2
	v_dual_mul_f32 v10, v31, v11 :: v_dual_mul_f32 v11, v30, v11
.LBB157_98:                             ;   in Loop: Header=BB157_90 Depth=2
	s_and_not1_b32 vcc_lo, exec_lo, s34
	s_cbranch_vccnz .LBB157_100
; %bb.99:                               ;   in Loop: Header=BB157_90 Depth=2
	v_div_scale_f32 v10, null, v0, v0, v1
	v_div_scale_f32 v31, vcc_lo, v1, v0, v1
	s_delay_alu instid0(VALU_DEP_2)
	v_rcp_f32_e32 v11, v10
	v_nop
	v_xor_b32_e32 v10, 0x80000000, v10
	s_delay_alu instid0(TRANS32_DEP_1) | instid1(VALU_DEP_1)
	v_fma_f32 v30, v10, v11, 1.0
	s_delay_alu instid0(VALU_DEP_1) | instskip(NEXT) | instid1(VALU_DEP_1)
	v_fmac_f32_e32 v11, v30, v11
	v_mul_f32_e32 v30, v31, v11
	s_delay_alu instid0(VALU_DEP_1) | instskip(NEXT) | instid1(VALU_DEP_1)
	v_fma_f32 v32, v10, v30, v31
	v_fmac_f32_e32 v30, v32, v11
	s_delay_alu instid0(VALU_DEP_1) | instskip(NEXT) | instid1(VALU_DEP_1)
	v_fmac_f32_e32 v31, v10, v30
	v_div_fmas_f32 v10, v31, v11, v30
	s_delay_alu instid0(VALU_DEP_1) | instskip(NEXT) | instid1(VALU_DEP_1)
	v_div_fixup_f32 v10, v10, v0, v1
	v_fmac_f32_e32 v0, v1, v10
	s_delay_alu instid0(VALU_DEP_1) | instskip(SKIP_1) | instid1(VALU_DEP_2)
	v_div_scale_f32 v1, null, v0, v0, 1.0
	v_div_scale_f32 v31, vcc_lo, 1.0, v0, 1.0
	v_rcp_f32_e32 v11, v1
	v_nop
	v_xor_b32_e32 v1, 0x80000000, v1
	s_delay_alu instid0(TRANS32_DEP_1) | instid1(VALU_DEP_1)
	v_fma_f32 v30, v1, v11, 1.0
	s_delay_alu instid0(VALU_DEP_1) | instskip(NEXT) | instid1(VALU_DEP_1)
	v_fmac_f32_e32 v11, v30, v11
	v_mul_f32_e32 v30, v31, v11
	s_delay_alu instid0(VALU_DEP_1) | instskip(NEXT) | instid1(VALU_DEP_1)
	v_fma_f32 v32, v1, v30, v31
	v_fmac_f32_e32 v30, v32, v11
	s_delay_alu instid0(VALU_DEP_1) | instskip(NEXT) | instid1(VALU_DEP_1)
	v_fmac_f32_e32 v31, v1, v30
	v_div_fmas_f32 v1, v31, v11, v30
	v_fma_f32 v11, v10, v3, v2
	s_delay_alu instid0(VALU_DEP_2) | instskip(NEXT) | instid1(VALU_DEP_1)
	v_div_fixup_f32 v0, v1, v0, 1.0
	v_dual_fma_f32 v1, -v10, v2, v3 :: v_dual_mul_f32 v10, v11, v0
	s_delay_alu instid0(VALU_DEP_1)
	v_mul_f32_e32 v11, v1, v0
.LBB157_100:                            ;   in Loop: Header=BB157_90 Depth=2
	s_addk_co_i32 s31, 0xff60
	ds_store_b64 v29, v[10:11]
	s_add_co_i32 s30, s31, s30
	s_delay_alu instid0(SALU_CYCLE_1)
	v_dual_mov_b32 v32, v9 :: v_dual_mov_b32 v0, s30
	s_add_co_i32 s31, s30, -16
	v_mov_b32_e32 v34, v11
	ds_load_b64 v[30:31], v0
	v_mov_b32_e32 v0, s31
	s_mov_b32 s31, -1
	ds_load_2addr_b64 v[0:3], v0 offset1:1
	s_wait_dscnt 0x1
	v_pk_mul_f32 v[32:33], v[32:33], v[30:31] op_sel_hi:[0,1]
	s_delay_alu instid0(VALU_DEP_1) | instskip(SKIP_4) | instid1(VALU_DEP_3)
	v_pk_fma_f32 v[36:37], v[8:9], v[30:31], v[32:33] op_sel:[0,0,1] op_sel_hi:[0,1,0]
	s_wait_dscnt 0x0
	v_pk_mul_f32 v[34:35], v[34:35], v[2:3] op_sel_hi:[0,1]
	v_pk_fma_f32 v[30:31], v[8:9], v[30:31], v[32:33] op_sel:[0,0,1] op_sel_hi:[1,1,0] neg_lo:[0,0,1] neg_hi:[0,0,1]
	v_and_b32_e32 v36, 0x7fffffff, v1
	v_pk_fma_f32 v[32:33], v[10:11], v[2:3], v[34:35] op_sel:[0,0,1] op_sel_hi:[0,1,0]
	v_mov_b32_e32 v31, v37
	v_and_b32_e32 v32, 0x7fffffff, v0
	v_pk_fma_f32 v[2:3], v[10:11], v[2:3], v[34:35] op_sel:[0,0,1] op_sel_hi:[1,1,0] neg_lo:[0,0,1] neg_hi:[0,0,1]
	s_delay_alu instid0(VALU_DEP_4) | instskip(NEXT) | instid1(VALU_DEP_4)
	v_mov_b32_e32 v3, v33
	v_pk_add_f32 v[6:7], v[6:7], v[30:31] neg_lo:[0,1] neg_hi:[0,1]
	s_delay_alu instid0(VALU_DEP_4) | instskip(NEXT) | instid1(VALU_DEP_2)
	v_cmp_ngt_f32_e32 vcc_lo, v32, v36
	v_pk_add_f32 v[2:3], v[6:7], v[2:3] neg_lo:[0,1] neg_hi:[0,1]
                                        ; implicit-def: $vgpr6_vgpr7
	s_cbranch_vccz .LBB157_102
; %bb.101:                              ;   in Loop: Header=BB157_90 Depth=2
	v_div_scale_f32 v6, null, v1, v1, v0
	v_div_scale_f32 v30, vcc_lo, v0, v1, v0
	s_mov_b32 s31, 0
	v_rcp_f32_e32 v7, v6
	v_nop
	v_xor_b32_e32 v6, 0x80000000, v6
	s_delay_alu instid0(TRANS32_DEP_1) | instid1(VALU_DEP_1)
	v_fma_f32 v29, v6, v7, 1.0
	s_delay_alu instid0(VALU_DEP_1) | instskip(NEXT) | instid1(VALU_DEP_1)
	v_fmac_f32_e32 v7, v29, v7
	v_mul_f32_e32 v29, v30, v7
	s_delay_alu instid0(VALU_DEP_1) | instskip(NEXT) | instid1(VALU_DEP_1)
	v_fma_f32 v31, v6, v29, v30
	v_fmac_f32_e32 v29, v31, v7
	s_delay_alu instid0(VALU_DEP_1) | instskip(NEXT) | instid1(VALU_DEP_1)
	v_fmac_f32_e32 v30, v6, v29
	v_div_fmas_f32 v6, v30, v7, v29
	s_delay_alu instid0(VALU_DEP_1) | instskip(NEXT) | instid1(VALU_DEP_1)
	v_div_fixup_f32 v6, v6, v1, v0
	v_fma_f32 v7, v0, v6, v1
	s_delay_alu instid0(VALU_DEP_1) | instskip(SKIP_1) | instid1(VALU_DEP_2)
	v_div_scale_f32 v29, null, v7, v7, 1.0
	v_div_scale_f32 v32, vcc_lo, 1.0, v7, 1.0
	v_rcp_f32_e32 v31, v29
	v_nop
	v_xor_b32_e32 v29, 0x80000000, v29
	s_delay_alu instid0(TRANS32_DEP_1) | instid1(VALU_DEP_1)
	v_fma_f32 v30, v29, v31, 1.0
	s_delay_alu instid0(VALU_DEP_1) | instskip(NEXT) | instid1(VALU_DEP_1)
	v_fmac_f32_e32 v31, v30, v31
	v_mul_f32_e32 v33, v32, v31
	s_delay_alu instid0(VALU_DEP_1) | instskip(NEXT) | instid1(VALU_DEP_1)
	v_fma_f32 v30, v29, v33, v32
	v_dual_fmac_f32 v33, v30, v31 :: v_dual_mov_b32 v30, v3
	s_delay_alu instid0(VALU_DEP_1) | instskip(NEXT) | instid1(VALU_DEP_1)
	v_fmac_f32_e32 v32, v29, v33
	v_div_fmas_f32 v29, v32, v31, v33
	s_delay_alu instid0(VALU_DEP_3) | instskip(NEXT) | instid1(VALU_DEP_2)
	v_pk_fma_f32 v[30:31], v[6:7], v[2:3], v[30:31]
	v_div_fixup_f32 v31, v29, v7, 1.0
	s_delay_alu instid0(VALU_DEP_1) | instskip(NEXT) | instid1(VALU_DEP_1)
	v_dual_fma_f32 v7, v6, v3, -v2 :: v_dual_mov_b32 v6, v31
	v_pk_mul_f32 v[6:7], v[30:31], v[6:7]
.LBB157_102:                            ;   in Loop: Header=BB157_90 Depth=2
	s_and_not1_b32 vcc_lo, exec_lo, s31
	s_cbranch_vccnz .LBB157_104
; %bb.103:                              ;   in Loop: Header=BB157_90 Depth=2
	v_div_scale_f32 v6, null, v0, v0, v1
	v_div_scale_f32 v30, vcc_lo, v1, v0, v1
	s_delay_alu instid0(VALU_DEP_2)
	v_rcp_f32_e32 v7, v6
	v_nop
	v_xor_b32_e32 v6, 0x80000000, v6
	s_delay_alu instid0(TRANS32_DEP_1) | instid1(VALU_DEP_1)
	v_fma_f32 v29, v6, v7, 1.0
	s_delay_alu instid0(VALU_DEP_1) | instskip(NEXT) | instid1(VALU_DEP_1)
	v_fmac_f32_e32 v7, v29, v7
	v_mul_f32_e32 v29, v30, v7
	s_delay_alu instid0(VALU_DEP_1) | instskip(NEXT) | instid1(VALU_DEP_1)
	v_fma_f32 v31, v6, v29, v30
	v_fmac_f32_e32 v29, v31, v7
	s_delay_alu instid0(VALU_DEP_1) | instskip(NEXT) | instid1(VALU_DEP_1)
	v_fmac_f32_e32 v30, v6, v29
	v_div_fmas_f32 v6, v30, v7, v29
	s_delay_alu instid0(VALU_DEP_1) | instskip(NEXT) | instid1(VALU_DEP_1)
	v_div_fixup_f32 v6, v6, v0, v1
	v_fmac_f32_e32 v0, v1, v6
	s_delay_alu instid0(VALU_DEP_1) | instskip(SKIP_1) | instid1(VALU_DEP_2)
	v_div_scale_f32 v1, null, v0, v0, 1.0
	v_div_scale_f32 v30, vcc_lo, 1.0, v0, 1.0
	v_rcp_f32_e32 v7, v1
	v_nop
	v_xor_b32_e32 v1, 0x80000000, v1
	s_delay_alu instid0(TRANS32_DEP_1) | instid1(VALU_DEP_1)
	v_fma_f32 v29, v1, v7, 1.0
	s_delay_alu instid0(VALU_DEP_1) | instskip(NEXT) | instid1(VALU_DEP_1)
	v_fmac_f32_e32 v7, v29, v7
	v_mul_f32_e32 v29, v30, v7
	s_delay_alu instid0(VALU_DEP_1) | instskip(NEXT) | instid1(VALU_DEP_1)
	v_fma_f32 v31, v1, v29, v30
	v_fmac_f32_e32 v29, v31, v7
	s_delay_alu instid0(VALU_DEP_1) | instskip(NEXT) | instid1(VALU_DEP_1)
	v_fmac_f32_e32 v30, v1, v29
	v_div_fmas_f32 v1, v30, v7, v29
	v_pk_fma_f32 v[30:31], v[6:7], v[2:3], v[2:3] op_sel:[0,1,0] op_sel_hi:[0,0,1] neg_lo:[1,0,0] neg_hi:[1,0,0]
	v_pk_fma_f32 v[2:3], v[6:7], v[2:3], v[2:3] op_sel:[0,1,0] op_sel_hi:[1,0,1]
	s_delay_alu instid0(VALU_DEP_3) | instskip(NEXT) | instid1(VALU_DEP_3)
	v_div_fixup_f32 v0, v1, v0, 1.0
	v_mov_b32_e32 v3, v31
	s_delay_alu instid0(VALU_DEP_1)
	v_pk_mul_f32 v[6:7], v[2:3], v[0:1] op_sel_hi:[1,0]
.LBB157_104:                            ;   in Loop: Header=BB157_90 Depth=2
	s_add_co_i32 s31, s30, 0xffffff58
	s_addk_co_i32 s30, 0xff48
	s_delay_alu instid0(SALU_CYCLE_1)
	v_dual_mov_b32 v0, s31 :: v_dual_mov_b32 v1, s30
	v_dual_mov_b32 v34, v9 :: v_dual_mov_b32 v35, v9
	;; [unrolled: 1-line block ×3, first 2 shown]
	ds_load_2addr_b64 v[30:33], v0 offset1:1
	ds_load_2addr_b64 v[0:3], v1 offset1:1
	v_dual_mov_b32 v9, v8 :: v_dual_mov_b32 v11, v10
	s_mov_b32 s30, -1
	ds_store_b64 v25, v[6:7]
	s_wait_dscnt 0x2
	v_pk_mul_f32 v[34:35], v[34:35], v[32:33]
	v_pk_mul_f32 v[36:37], v[36:37], v[30:31]
	s_wait_dscnt 0x1
	v_dual_mov_b32 v38, v3 :: v_dual_mov_b32 v39, v2
	v_and_b32_e32 v29, 0x7fffffff, v1
	v_pk_fma_f32 v[40:41], v[8:9], v[32:33], v[34:35] op_sel:[0,0,1] op_sel_hi:[1,1,0]
	v_pk_fma_f32 v[8:9], v[8:9], v[32:33], v[34:35] op_sel:[0,0,1] op_sel_hi:[1,1,0] neg_lo:[0,0,1] neg_hi:[0,0,1]
	v_pk_fma_f32 v[32:33], v[10:11], v[30:31], v[36:37] op_sel:[0,0,1] op_sel_hi:[1,1,0]
	v_pk_mul_f32 v[34:35], v[6:7], v[38:39] op_sel:[1,0]
	v_pk_fma_f32 v[10:11], v[10:11], v[30:31], v[36:37] op_sel:[0,0,1] op_sel_hi:[1,1,0] neg_lo:[0,0,1] neg_hi:[0,0,1]
	s_delay_alu instid0(VALU_DEP_3) | instskip(NEXT) | instid1(VALU_DEP_1)
	v_dual_mov_b32 v9, v41 :: v_dual_mov_b32 v11, v33
	v_pk_add_f32 v[4:5], v[4:5], v[8:9] neg_lo:[0,1] neg_hi:[0,1]
	s_delay_alu instid0(VALU_DEP_4) | instskip(SKIP_2) | instid1(VALU_DEP_4)
	v_pk_fma_f32 v[8:9], v[6:7], v[2:3], v[34:35] op_sel_hi:[0,1,1]
	v_and_b32_e32 v8, 0x7fffffff, v0
	v_pk_fma_f32 v[2:3], v[6:7], v[2:3], v[34:35] neg_lo:[0,0,1] neg_hi:[0,0,1]
	v_pk_add_f32 v[4:5], v[4:5], v[10:11] neg_lo:[0,1] neg_hi:[0,1]
	s_delay_alu instid0(VALU_DEP_4) | instskip(NEXT) | instid1(VALU_DEP_4)
	v_mov_b32_e32 v3, v9
	v_cmp_ngt_f32_e32 vcc_lo, v8, v29
	s_delay_alu instid0(VALU_DEP_2)
	v_pk_add_f32 v[2:3], v[4:5], v[2:3] neg_lo:[0,1] neg_hi:[0,1]
                                        ; implicit-def: $vgpr4_vgpr5
	s_cbranch_vccz .LBB157_106
; %bb.105:                              ;   in Loop: Header=BB157_90 Depth=2
	v_div_scale_f32 v4, null, v1, v1, v0
	v_div_scale_f32 v7, vcc_lo, v0, v1, v0
	s_mov_b32 s30, 0
	v_rcp_f32_e32 v5, v4
	v_nop
	v_xor_b32_e32 v4, 0x80000000, v4
	s_delay_alu instid0(TRANS32_DEP_1) | instid1(VALU_DEP_1)
	v_fma_f32 v6, v4, v5, 1.0
	s_delay_alu instid0(VALU_DEP_1) | instskip(NEXT) | instid1(VALU_DEP_1)
	v_fmac_f32_e32 v5, v6, v5
	v_mul_f32_e32 v6, v7, v5
	s_delay_alu instid0(VALU_DEP_1) | instskip(NEXT) | instid1(VALU_DEP_1)
	v_fma_f32 v8, v4, v6, v7
	v_fmac_f32_e32 v6, v8, v5
	s_delay_alu instid0(VALU_DEP_1) | instskip(NEXT) | instid1(VALU_DEP_1)
	v_fmac_f32_e32 v7, v4, v6
	v_div_fmas_f32 v4, v7, v5, v6
	s_delay_alu instid0(VALU_DEP_1) | instskip(NEXT) | instid1(VALU_DEP_1)
	v_div_fixup_f32 v4, v4, v1, v0
	v_fma_f32 v5, v0, v4, v1
	s_delay_alu instid0(VALU_DEP_1) | instskip(NEXT) | instid1(VALU_DEP_1)
	v_div_scale_f32 v6, null, v5, v5, 1.0
	v_rcp_f32_e32 v7, v6
	v_nop
	v_xor_b32_e32 v6, 0x80000000, v6
	s_delay_alu instid0(TRANS32_DEP_1) | instid1(VALU_DEP_1)
	v_fma_f32 v8, v6, v7, 1.0
	s_delay_alu instid0(VALU_DEP_1) | instskip(SKIP_1) | instid1(VALU_DEP_1)
	v_fmac_f32_e32 v7, v8, v7
	v_div_scale_f32 v8, vcc_lo, 1.0, v5, 1.0
	v_mul_f32_e32 v9, v8, v7
	s_delay_alu instid0(VALU_DEP_1) | instskip(NEXT) | instid1(VALU_DEP_1)
	v_fma_f32 v10, v6, v9, v8
	v_fmac_f32_e32 v9, v10, v7
	s_delay_alu instid0(VALU_DEP_1) | instskip(NEXT) | instid1(VALU_DEP_1)
	v_dual_fmac_f32 v8, v6, v9 :: v_dual_mov_b32 v6, v3
	v_div_fmas_f32 v8, v8, v7, v9
	s_delay_alu instid0(VALU_DEP_2) | instskip(NEXT) | instid1(VALU_DEP_2)
	v_pk_fma_f32 v[6:7], v[4:5], v[2:3], v[6:7]
	v_div_fixup_f32 v7, v8, v5, 1.0
	s_delay_alu instid0(VALU_DEP_1) | instskip(NEXT) | instid1(VALU_DEP_1)
	v_dual_fma_f32 v5, v4, v3, -v2 :: v_dual_mov_b32 v4, v7
	v_pk_mul_f32 v[4:5], v[6:7], v[4:5]
.LBB157_106:                            ;   in Loop: Header=BB157_90 Depth=2
	s_and_not1_b32 vcc_lo, exec_lo, s30
	s_cbranch_vccnz .LBB157_108
; %bb.107:                              ;   in Loop: Header=BB157_90 Depth=2
	v_div_scale_f32 v4, null, v0, v0, v1
	v_div_scale_f32 v7, vcc_lo, v1, v0, v1
	s_delay_alu instid0(VALU_DEP_2)
	v_rcp_f32_e32 v5, v4
	v_nop
	v_xor_b32_e32 v4, 0x80000000, v4
	s_delay_alu instid0(TRANS32_DEP_1) | instid1(VALU_DEP_1)
	v_fma_f32 v6, v4, v5, 1.0
	s_delay_alu instid0(VALU_DEP_1) | instskip(NEXT) | instid1(VALU_DEP_1)
	v_fmac_f32_e32 v5, v6, v5
	v_mul_f32_e32 v6, v7, v5
	s_delay_alu instid0(VALU_DEP_1) | instskip(NEXT) | instid1(VALU_DEP_1)
	v_fma_f32 v8, v4, v6, v7
	v_fmac_f32_e32 v6, v8, v5
	s_delay_alu instid0(VALU_DEP_1) | instskip(NEXT) | instid1(VALU_DEP_1)
	v_fmac_f32_e32 v7, v4, v6
	v_div_fmas_f32 v4, v7, v5, v6
	s_delay_alu instid0(VALU_DEP_1) | instskip(NEXT) | instid1(VALU_DEP_1)
	v_div_fixup_f32 v4, v4, v0, v1
	v_fmac_f32_e32 v0, v1, v4
	s_delay_alu instid0(VALU_DEP_1) | instskip(SKIP_1) | instid1(VALU_DEP_2)
	v_div_scale_f32 v1, null, v0, v0, 1.0
	v_div_scale_f32 v7, vcc_lo, 1.0, v0, 1.0
	v_rcp_f32_e32 v5, v1
	v_nop
	v_xor_b32_e32 v1, 0x80000000, v1
	s_delay_alu instid0(TRANS32_DEP_1) | instid1(VALU_DEP_1)
	v_fma_f32 v6, v1, v5, 1.0
	s_delay_alu instid0(VALU_DEP_1) | instskip(NEXT) | instid1(VALU_DEP_1)
	v_fmac_f32_e32 v5, v6, v5
	v_mul_f32_e32 v6, v7, v5
	s_delay_alu instid0(VALU_DEP_1) | instskip(NEXT) | instid1(VALU_DEP_1)
	v_fma_f32 v8, v1, v6, v7
	v_fmac_f32_e32 v6, v8, v5
	s_delay_alu instid0(VALU_DEP_1) | instskip(NEXT) | instid1(VALU_DEP_1)
	v_fmac_f32_e32 v7, v1, v6
	v_div_fmas_f32 v1, v7, v5, v6
	v_pk_fma_f32 v[6:7], v[4:5], v[2:3], v[2:3] op_sel:[0,1,0] op_sel_hi:[0,0,1] neg_lo:[1,0,0] neg_hi:[1,0,0]
	v_pk_fma_f32 v[2:3], v[4:5], v[2:3], v[2:3] op_sel:[0,1,0] op_sel_hi:[1,0,1]
	s_delay_alu instid0(VALU_DEP_3) | instskip(NEXT) | instid1(VALU_DEP_3)
	v_div_fixup_f32 v0, v1, v0, 1.0
	v_mov_b32_e32 v3, v7
	s_delay_alu instid0(VALU_DEP_1)
	v_pk_mul_f32 v[4:5], v[2:3], v[0:1] op_sel_hi:[1,0]
.LBB157_108:                            ;   in Loop: Header=BB157_90 Depth=2
	s_add_co_i32 s30, s18, -4
	s_addk_co_i32 s3, 0xfd80
	s_cmp_lt_i32 s18, 7
	ds_store_b64 v24, v[4:5]
	s_cbranch_scc1 .LBB157_110
; %bb.109:                              ;   in Loop: Header=BB157_90 Depth=2
	s_mov_b32 s18, s30
	s_branch .LBB157_90
.LBB157_110:                            ;   in Loop: Header=BB157_3 Depth=1
	s_cmp_lt_i32 s30, 0
	s_cbranch_scc1 .LBB157_119
; %bb.111:                              ;   in Loop: Header=BB157_3 Depth=1
	s_mul_i32 s3, s30, 0xa0
	s_delay_alu instid0(SALU_CYCLE_1)
	s_add_co_i32 s3, s48, s3
	s_branch .LBB157_113
.LBB157_112:                            ;   in Loop: Header=BB157_113 Depth=2
	v_sub_co_u32 v0, s18, s30, 1
	s_and_b32 vcc_lo, exec_lo, s18
	s_addk_co_i32 s3, 0xff60
	ds_store_b64 v6, v[4:5]
	v_readfirstlane_b32 s30, v0
	s_cbranch_vccnz .LBB157_119
.LBB157_113:                            ;   Parent Loop BB157_3 Depth=1
                                        ; =>  This Loop Header: Depth=2
                                        ;       Child Loop BB157_114 Depth 3
	v_mad_u32 v6, 0xa0, s30, v26
	v_mov_b32_e32 v2, v13
	s_cmp_le_i32 s38, s30
	s_mov_b32 s18, s3
	s_mov_b32 s31, s38
	ds_load_b64 v[0:1], v6
	s_cbranch_scc1 .LBB157_115
.LBB157_114:                            ;   Parent Loop BB157_3 Depth=1
                                        ;     Parent Loop BB157_113 Depth=2
                                        ; =>    This Inner Loop Header: Depth=3
	v_mov_b32_e32 v3, s18
	s_add_co_i32 s31, s31, -1
	s_add_co_i32 s18, s18, -8
	s_cmp_le_u32 s31, s30
	ds_load_b64 v[4:5], v2
	ds_load_b64 v[8:9], v3
	v_add_nc_u32_e32 v2, 0xffffff60, v2
	s_wait_dscnt 0x0
	v_pk_mul_f32 v[10:11], v[8:9], v[4:5] op_sel:[1,1] op_sel_hi:[0,1]
	s_delay_alu instid0(VALU_DEP_1) | instskip(SKIP_1) | instid1(VALU_DEP_2)
	v_pk_fma_f32 v[24:25], v[8:9], v[4:5], v[10:11] op_sel_hi:[1,0,1]
	v_pk_fma_f32 v[4:5], v[8:9], v[4:5], v[10:11] op_sel_hi:[1,0,1] neg_lo:[0,0,1] neg_hi:[0,0,1]
	v_mov_b32_e32 v5, v25
	s_delay_alu instid0(VALU_DEP_1)
	v_pk_add_f32 v[0:1], v[0:1], v[4:5] neg_lo:[0,1] neg_hi:[0,1]
	s_cbranch_scc0 .LBB157_114
.LBB157_115:                            ;   in Loop: Header=BB157_113 Depth=2
	s_mul_i32 s18, s30, 0xa8
	s_delay_alu instid0(SALU_CYCLE_1)
	v_mov_b32_e32 v2, s18
	s_mov_b32 s18, -1
	ds_load_b64 v[2:3], v2
	s_wait_dscnt 0x0
	v_and_b32_e32 v4, 0x7fffffff, v2
	v_and_b32_e32 v5, 0x7fffffff, v3
	s_delay_alu instid0(VALU_DEP_1)
	v_cmp_ngt_f32_e32 vcc_lo, v4, v5
                                        ; implicit-def: $vgpr4_vgpr5
	s_cbranch_vccz .LBB157_117
; %bb.116:                              ;   in Loop: Header=BB157_113 Depth=2
	v_div_scale_f32 v4, null, v3, v3, v2
	v_div_scale_f32 v8, vcc_lo, v2, v3, v2
	s_mov_b32 s18, 0
	v_rcp_f32_e32 v5, v4
	v_nop
	v_xor_b32_e32 v4, 0x80000000, v4
	s_delay_alu instid0(TRANS32_DEP_1) | instid1(VALU_DEP_1)
	v_fma_f32 v7, v4, v5, 1.0
	s_delay_alu instid0(VALU_DEP_1) | instskip(NEXT) | instid1(VALU_DEP_1)
	v_fmac_f32_e32 v5, v7, v5
	v_mul_f32_e32 v7, v8, v5
	s_delay_alu instid0(VALU_DEP_1) | instskip(NEXT) | instid1(VALU_DEP_1)
	v_fma_f32 v9, v4, v7, v8
	v_fmac_f32_e32 v7, v9, v5
	s_delay_alu instid0(VALU_DEP_1) | instskip(NEXT) | instid1(VALU_DEP_1)
	v_fmac_f32_e32 v8, v4, v7
	v_div_fmas_f32 v4, v8, v5, v7
	s_delay_alu instid0(VALU_DEP_1) | instskip(NEXT) | instid1(VALU_DEP_1)
	v_div_fixup_f32 v4, v4, v3, v2
	v_fma_f32 v7, v2, v4, v3
	s_delay_alu instid0(VALU_DEP_1) | instskip(SKIP_1) | instid1(VALU_DEP_2)
	v_div_scale_f32 v5, null, v7, v7, 1.0
	v_div_scale_f32 v10, vcc_lo, 1.0, v7, 1.0
	v_rcp_f32_e32 v8, v5
	v_nop
	v_xor_b32_e32 v5, 0x80000000, v5
	s_delay_alu instid0(TRANS32_DEP_1) | instid1(VALU_DEP_1)
	v_fma_f32 v9, v5, v8, 1.0
	s_delay_alu instid0(VALU_DEP_1) | instskip(NEXT) | instid1(VALU_DEP_1)
	v_fmac_f32_e32 v8, v9, v8
	v_mul_f32_e32 v9, v10, v8
	s_delay_alu instid0(VALU_DEP_1) | instskip(NEXT) | instid1(VALU_DEP_1)
	v_fma_f32 v11, v5, v9, v10
	v_fmac_f32_e32 v9, v11, v8
	s_delay_alu instid0(VALU_DEP_1) | instskip(NEXT) | instid1(VALU_DEP_1)
	v_fmac_f32_e32 v10, v5, v9
	v_div_fmas_f32 v10, v10, v8, v9
	v_pk_fma_f32 v[8:9], v[0:1], v[4:5], v[0:1] op_sel:[0,0,1] op_sel_hi:[1,0,0] neg_lo:[0,0,1] neg_hi:[0,0,1]
	v_pk_fma_f32 v[4:5], v[0:1], v[4:5], v[0:1] op_sel:[0,0,1] op_sel_hi:[1,0,0]
	s_delay_alu instid0(VALU_DEP_3) | instskip(NEXT) | instid1(VALU_DEP_3)
	v_div_fixup_f32 v8, v10, v7, 1.0
	v_mov_b32_e32 v5, v9
	s_delay_alu instid0(VALU_DEP_1)
	v_pk_mul_f32 v[4:5], v[4:5], v[8:9] op_sel_hi:[1,0]
.LBB157_117:                            ;   in Loop: Header=BB157_113 Depth=2
	s_and_not1_b32 vcc_lo, exec_lo, s18
	s_cbranch_vccnz .LBB157_112
; %bb.118:                              ;   in Loop: Header=BB157_113 Depth=2
	v_div_scale_f32 v4, null, v2, v2, v3
	v_div_scale_f32 v8, vcc_lo, v3, v2, v3
	s_delay_alu instid0(VALU_DEP_2)
	v_rcp_f32_e32 v5, v4
	v_nop
	v_xor_b32_e32 v4, 0x80000000, v4
	s_delay_alu instid0(TRANS32_DEP_1) | instid1(VALU_DEP_1)
	v_fma_f32 v7, v4, v5, 1.0
	s_delay_alu instid0(VALU_DEP_1) | instskip(NEXT) | instid1(VALU_DEP_1)
	v_fmac_f32_e32 v5, v7, v5
	v_mul_f32_e32 v7, v8, v5
	s_delay_alu instid0(VALU_DEP_1) | instskip(NEXT) | instid1(VALU_DEP_1)
	v_fma_f32 v9, v4, v7, v8
	v_fmac_f32_e32 v7, v9, v5
	s_delay_alu instid0(VALU_DEP_1) | instskip(NEXT) | instid1(VALU_DEP_1)
	v_fmac_f32_e32 v8, v4, v7
	v_div_fmas_f32 v4, v8, v5, v7
	s_delay_alu instid0(VALU_DEP_1) | instskip(NEXT) | instid1(VALU_DEP_1)
	v_div_fixup_f32 v4, v4, v2, v3
	v_fmac_f32_e32 v2, v3, v4
	s_delay_alu instid0(VALU_DEP_1) | instskip(SKIP_1) | instid1(VALU_DEP_2)
	v_div_scale_f32 v3, null, v2, v2, 1.0
	v_div_scale_f32 v8, vcc_lo, 1.0, v2, 1.0
	v_rcp_f32_e32 v5, v3
	v_nop
	v_xor_b32_e32 v3, 0x80000000, v3
	s_delay_alu instid0(TRANS32_DEP_1) | instid1(VALU_DEP_1)
	v_fma_f32 v7, v3, v5, 1.0
	s_delay_alu instid0(VALU_DEP_1) | instskip(NEXT) | instid1(VALU_DEP_1)
	v_fmac_f32_e32 v5, v7, v5
	v_mul_f32_e32 v7, v8, v5
	s_delay_alu instid0(VALU_DEP_1) | instskip(NEXT) | instid1(VALU_DEP_1)
	v_fma_f32 v9, v3, v7, v8
	v_fmac_f32_e32 v7, v9, v5
	s_delay_alu instid0(VALU_DEP_1) | instskip(NEXT) | instid1(VALU_DEP_1)
	v_fmac_f32_e32 v8, v3, v7
	v_div_fmas_f32 v3, v8, v5, v7
	v_pk_fma_f32 v[8:9], v[0:1], v[4:5], v[0:1] op_sel:[1,0,0] op_sel_hi:[0,0,1] neg_lo:[1,0,0] neg_hi:[1,0,0]
	v_pk_fma_f32 v[0:1], v[0:1], v[4:5], v[0:1] op_sel:[1,0,0] op_sel_hi:[0,0,1]
	s_delay_alu instid0(VALU_DEP_3) | instskip(NEXT) | instid1(VALU_DEP_3)
	v_div_fixup_f32 v2, v3, v2, 1.0
	v_mov_b32_e32 v1, v9
	s_delay_alu instid0(VALU_DEP_1)
	v_pk_mul_f32 v[4:5], v[0:1], v[2:3] op_sel_hi:[1,0]
	s_branch .LBB157_112
.LBB157_119:                            ;   in Loop: Header=BB157_3 Depth=1
	s_mov_b32 s3, 0
.LBB157_120:                            ;   in Loop: Header=BB157_3 Depth=1
	s_delay_alu instid0(SALU_CYCLE_1)
	s_and_not1_b32 vcc_lo, exec_lo, s3
	s_cbranch_vccnz .LBB157_152
; %bb.121:                              ;   in Loop: Header=BB157_3 Depth=1
	s_and_not1_b32 vcc_lo, exec_lo, s42
	s_mov_b32 s30, 0
	s_cbranch_vccnz .LBB157_143
; %bb.122:                              ;   in Loop: Header=BB157_3 Depth=1
	s_mov_b32 s3, 0
	s_mov_b32 s18, 0
.LBB157_123:                            ;   Parent Loop BB157_3 Depth=1
                                        ; =>  This Loop Header: Depth=2
                                        ;       Child Loop BB157_124 Depth 3
	s_delay_alu instid0(SALU_CYCLE_1)
	s_mul_i32 s30, s18, 20
	v_mov_b32_e32 v8, v26
	v_lshl_add_u32 v29, s30, 3, v26
	s_cmp_eq_u32 s18, 0
	s_mov_b32 s31, s3
	s_mov_b32 s34, s18
	ds_load_2addr_b64 v[4:7], v29 offset1:20
	ds_load_2addr_b64 v[0:3], v29 offset0:40 offset1:60
	s_cbranch_scc1 .LBB157_125
.LBB157_124:                            ;   Parent Loop BB157_3 Depth=1
                                        ;     Parent Loop BB157_123 Depth=2
                                        ; =>    This Inner Loop Header: Depth=3
	v_mov_b32_e32 v9, s31
	s_add_co_i32 s34, s34, -1
	s_add_co_i32 s31, s31, 8
	s_cmp_eq_u32 s34, 0
	ds_load_b64 v[10:11], v8
	ds_load_2addr_b64 v[30:33], v9 offset0:40 offset1:60
	ds_load_2addr_b64 v[34:37], v9 offset1:20
	v_add_nc_u32_e32 v8, 0xa0, v8
	s_wait_dscnt 0x1
	v_pk_mul_f32 v[24:25], v[30:31], v[10:11] op_sel:[0,1]
	s_wait_dscnt 0x0
	v_dual_mul_f32 v9, v35, v11 :: v_dual_mul_f32 v40, v34, v11
	v_dual_mul_f32 v41, v37, v11 :: v_dual_mul_f32 v42, v37, v10
	v_pk_mul_f32 v[38:39], v[32:33], v[10:11] op_sel:[0,1]
	s_delay_alu instid0(VALU_DEP_3) | instskip(NEXT) | instid1(VALU_DEP_3)
	v_dual_fma_f32 v9, v34, v10, -v9 :: v_dual_fmac_f32 v40, v35, v10
	v_dual_fma_f32 v41, v36, v10, -v41 :: v_dual_fmac_f32 v42, v36, v11
	v_pk_fma_f32 v[34:35], v[30:31], v[10:11], v[24:25] op_sel:[0,0,1] op_sel_hi:[1,0,0]
	s_delay_alu instid0(VALU_DEP_4) | instskip(SKIP_2) | instid1(VALU_DEP_4)
	v_pk_fma_f32 v[36:37], v[32:33], v[10:11], v[38:39] op_sel:[0,0,1] op_sel_hi:[1,0,0]
	v_pk_fma_f32 v[24:25], v[30:31], v[10:11], v[24:25] op_sel:[0,0,1] op_sel_hi:[1,1,0] neg_lo:[0,0,1] neg_hi:[0,0,1]
	v_pk_fma_f32 v[10:11], v[32:33], v[10:11], v[38:39] op_sel:[0,0,1] op_sel_hi:[1,1,0] neg_lo:[0,0,1] neg_hi:[0,0,1]
	v_dual_sub_f32 v4, v4, v9 :: v_dual_mov_b32 v25, v35
	s_delay_alu instid0(VALU_DEP_4) | instskip(SKIP_1) | instid1(VALU_DEP_3)
	v_dual_mov_b32 v11, v37 :: v_dual_sub_f32 v6, v6, v41
	v_dual_sub_f32 v5, v5, v40 :: v_dual_sub_f32 v7, v7, v42
	v_pk_add_f32 v[0:1], v[0:1], v[24:25] neg_lo:[0,1] neg_hi:[0,1]
	s_delay_alu instid0(VALU_DEP_3)
	v_pk_add_f32 v[2:3], v[2:3], v[10:11] neg_lo:[0,1] neg_hi:[0,1]
	s_cbranch_scc0 .LBB157_124
.LBB157_125:                            ;   in Loop: Header=BB157_123 Depth=2
	s_mul_i32 s31, s18, 0xa8
                                        ; implicit-def: $vgpr25
	s_delay_alu instid0(SALU_CYCLE_1)
	v_mov_b32_e32 v8, s31
	s_mov_b32 s31, -1
	ds_load_b64 v[8:9], v8
	s_wait_dscnt 0x0
	v_and_b32_e32 v10, 0x7fffffff, v8
	v_and_b32_e32 v11, 0x7fffffff, v9
	s_delay_alu instid0(VALU_DEP_1)
	v_cmp_ngt_f32_e32 vcc_lo, v10, v11
	s_cbranch_vccz .LBB157_127
; %bb.126:                              ;   in Loop: Header=BB157_123 Depth=2
	v_div_scale_f32 v10, null, v9, v9, v8
	v_div_scale_f32 v25, vcc_lo, v8, v9, v8
	s_mov_b32 s31, 0
	v_rcp_f32_e32 v11, v10
	v_nop
	v_xor_b32_e32 v10, 0x80000000, v10
	s_delay_alu instid0(TRANS32_DEP_1) | instid1(VALU_DEP_1)
	v_fma_f32 v24, v10, v11, 1.0
	s_delay_alu instid0(VALU_DEP_1) | instskip(NEXT) | instid1(VALU_DEP_1)
	v_fmac_f32_e32 v11, v24, v11
	v_mul_f32_e32 v24, v25, v11
	s_delay_alu instid0(VALU_DEP_1) | instskip(NEXT) | instid1(VALU_DEP_1)
	v_fma_f32 v30, v10, v24, v25
	v_fmac_f32_e32 v24, v30, v11
	s_delay_alu instid0(VALU_DEP_1) | instskip(NEXT) | instid1(VALU_DEP_1)
	v_fmac_f32_e32 v25, v10, v24
	v_div_fmas_f32 v10, v25, v11, v24
	s_delay_alu instid0(VALU_DEP_1) | instskip(NEXT) | instid1(VALU_DEP_1)
	v_div_fixup_f32 v10, v10, v9, v8
	v_fma_f32 v11, v8, v10, v9
	s_delay_alu instid0(VALU_DEP_1) | instskip(SKIP_1) | instid1(VALU_DEP_2)
	v_div_scale_f32 v24, null, v11, v11, 1.0
	v_div_scale_f32 v31, vcc_lo, 1.0, v11, 1.0
	v_rcp_f32_e32 v25, v24
	v_nop
	v_xor_b32_e32 v24, 0x80000000, v24
	s_delay_alu instid0(TRANS32_DEP_1) | instid1(VALU_DEP_1)
	v_fma_f32 v30, v24, v25, 1.0
	s_delay_alu instid0(VALU_DEP_1) | instskip(NEXT) | instid1(VALU_DEP_1)
	v_fmac_f32_e32 v25, v30, v25
	v_mul_f32_e32 v30, v31, v25
	s_delay_alu instid0(VALU_DEP_1) | instskip(NEXT) | instid1(VALU_DEP_1)
	v_fma_f32 v32, v24, v30, v31
	v_fmac_f32_e32 v30, v32, v25
	s_delay_alu instid0(VALU_DEP_1) | instskip(NEXT) | instid1(VALU_DEP_1)
	v_fmac_f32_e32 v31, v24, v30
	v_div_fmas_f32 v24, v31, v25, v30
	v_dual_fma_f32 v25, v4, v10, v5 :: v_dual_fma_f32 v10, v5, v10, -v4
	s_delay_alu instid0(VALU_DEP_2) | instskip(NEXT) | instid1(VALU_DEP_1)
	v_div_fixup_f32 v11, v24, v11, 1.0
	v_dual_mul_f32 v24, v25, v11 :: v_dual_mul_f32 v25, v10, v11
.LBB157_127:                            ;   in Loop: Header=BB157_123 Depth=2
	s_and_not1_b32 vcc_lo, exec_lo, s31
	s_cbranch_vccnz .LBB157_129
; %bb.128:                              ;   in Loop: Header=BB157_123 Depth=2
	v_div_scale_f32 v10, null, v8, v8, v9
	v_div_scale_f32 v25, vcc_lo, v9, v8, v9
	s_delay_alu instid0(VALU_DEP_2)
	v_rcp_f32_e32 v11, v10
	v_nop
	v_xor_b32_e32 v10, 0x80000000, v10
	s_delay_alu instid0(TRANS32_DEP_1) | instid1(VALU_DEP_1)
	v_fma_f32 v24, v10, v11, 1.0
	s_delay_alu instid0(VALU_DEP_1) | instskip(NEXT) | instid1(VALU_DEP_1)
	v_fmac_f32_e32 v11, v24, v11
	v_mul_f32_e32 v24, v25, v11
	s_delay_alu instid0(VALU_DEP_1) | instskip(NEXT) | instid1(VALU_DEP_1)
	v_fma_f32 v30, v10, v24, v25
	v_fmac_f32_e32 v24, v30, v11
	s_delay_alu instid0(VALU_DEP_1) | instskip(NEXT) | instid1(VALU_DEP_1)
	v_fmac_f32_e32 v25, v10, v24
	v_div_fmas_f32 v10, v25, v11, v24
	s_delay_alu instid0(VALU_DEP_1) | instskip(NEXT) | instid1(VALU_DEP_1)
	v_div_fixup_f32 v10, v10, v8, v9
	v_fmac_f32_e32 v8, v9, v10
	s_delay_alu instid0(VALU_DEP_1) | instskip(SKIP_1) | instid1(VALU_DEP_2)
	v_div_scale_f32 v9, null, v8, v8, 1.0
	v_div_scale_f32 v25, vcc_lo, 1.0, v8, 1.0
	v_rcp_f32_e32 v11, v9
	v_nop
	v_xor_b32_e32 v9, 0x80000000, v9
	s_delay_alu instid0(TRANS32_DEP_1) | instid1(VALU_DEP_1)
	v_fma_f32 v24, v9, v11, 1.0
	s_delay_alu instid0(VALU_DEP_1) | instskip(NEXT) | instid1(VALU_DEP_1)
	v_fmac_f32_e32 v11, v24, v11
	v_mul_f32_e32 v24, v25, v11
	s_delay_alu instid0(VALU_DEP_1) | instskip(NEXT) | instid1(VALU_DEP_1)
	v_fma_f32 v30, v9, v24, v25
	v_fmac_f32_e32 v24, v30, v11
	s_delay_alu instid0(VALU_DEP_1) | instskip(NEXT) | instid1(VALU_DEP_1)
	v_fmac_f32_e32 v25, v9, v24
	v_div_fmas_f32 v9, v25, v11, v24
	v_dual_fma_f32 v11, v5, v10, v4 :: v_dual_fma_f32 v4, -v4, v10, v5
	s_delay_alu instid0(VALU_DEP_2) | instskip(NEXT) | instid1(VALU_DEP_1)
	v_div_fixup_f32 v8, v9, v8, 1.0
	v_dual_mul_f32 v24, v11, v8 :: v_dual_mul_f32 v25, v4, v8
.LBB157_129:                            ;   in Loop: Header=BB157_123 Depth=2
	s_lshl_b32 s31, s30, 3
	s_lshl_b32 s30, s18, 3
	s_addk_co_i32 s31, 0xa0
	ds_store_b64 v29, v[24:25]
	s_add_co_i32 s34, s31, s30
	s_delay_alu instid0(SALU_CYCLE_1)
	v_mov_b32_e32 v4, s34
	s_mov_b32 s34, -1
	ds_load_b128 v[8:11], v4
	s_wait_dscnt 0x0
	v_dual_mul_f32 v5, v24, v9 :: v_dual_mul_f32 v4, v25, v9
	v_and_b32_e32 v9, 0x7fffffff, v10
	v_and_b32_e32 v30, 0x7fffffff, v11
	s_delay_alu instid0(VALU_DEP_3) | instskip(NEXT) | instid1(VALU_DEP_2)
	v_dual_fmac_f32 v5, v25, v8 :: v_dual_fma_f32 v4, v24, v8, -v4
	v_cmp_ngt_f32_e32 vcc_lo, v9, v30
                                        ; implicit-def: $vgpr9
	s_delay_alu instid0(VALU_DEP_2)
	v_dual_sub_f32 v5, v7, v5 :: v_dual_sub_f32 v4, v6, v4
	s_cbranch_vccz .LBB157_131
; %bb.130:                              ;   in Loop: Header=BB157_123 Depth=2
	v_div_scale_f32 v6, null, v11, v11, v10
	v_div_scale_f32 v9, vcc_lo, v10, v11, v10
	s_mov_b32 s34, 0
	v_rcp_f32_e32 v7, v6
	v_nop
	v_xor_b32_e32 v6, 0x80000000, v6
	s_delay_alu instid0(TRANS32_DEP_1) | instid1(VALU_DEP_1)
	v_fma_f32 v8, v6, v7, 1.0
	s_delay_alu instid0(VALU_DEP_1) | instskip(NEXT) | instid1(VALU_DEP_1)
	v_fmac_f32_e32 v7, v8, v7
	v_mul_f32_e32 v8, v9, v7
	s_delay_alu instid0(VALU_DEP_1) | instskip(NEXT) | instid1(VALU_DEP_1)
	v_fma_f32 v30, v6, v8, v9
	v_fmac_f32_e32 v8, v30, v7
	s_delay_alu instid0(VALU_DEP_1) | instskip(NEXT) | instid1(VALU_DEP_1)
	v_fmac_f32_e32 v9, v6, v8
	v_div_fmas_f32 v6, v9, v7, v8
	s_delay_alu instid0(VALU_DEP_1) | instskip(NEXT) | instid1(VALU_DEP_1)
	v_div_fixup_f32 v6, v6, v11, v10
	v_fma_f32 v7, v10, v6, v11
	s_delay_alu instid0(VALU_DEP_1) | instskip(SKIP_1) | instid1(VALU_DEP_2)
	v_div_scale_f32 v8, null, v7, v7, 1.0
	v_div_scale_f32 v31, vcc_lo, 1.0, v7, 1.0
	v_rcp_f32_e32 v9, v8
	v_nop
	v_xor_b32_e32 v8, 0x80000000, v8
	s_delay_alu instid0(TRANS32_DEP_1) | instid1(VALU_DEP_1)
	v_fma_f32 v30, v8, v9, 1.0
	s_delay_alu instid0(VALU_DEP_1) | instskip(NEXT) | instid1(VALU_DEP_1)
	v_fmac_f32_e32 v9, v30, v9
	v_mul_f32_e32 v30, v31, v9
	s_delay_alu instid0(VALU_DEP_1) | instskip(NEXT) | instid1(VALU_DEP_1)
	v_fma_f32 v32, v8, v30, v31
	v_fmac_f32_e32 v30, v32, v9
	s_delay_alu instid0(VALU_DEP_1) | instskip(NEXT) | instid1(VALU_DEP_1)
	v_fmac_f32_e32 v31, v8, v30
	v_div_fmas_f32 v8, v31, v9, v30
	v_dual_fma_f32 v9, v6, v4, v5 :: v_dual_fma_f32 v6, v6, v5, -v4
	s_delay_alu instid0(VALU_DEP_2) | instskip(NEXT) | instid1(VALU_DEP_1)
	v_div_fixup_f32 v7, v8, v7, 1.0
	v_dual_mul_f32 v8, v9, v7 :: v_dual_mul_f32 v9, v6, v7
.LBB157_131:                            ;   in Loop: Header=BB157_123 Depth=2
	s_and_not1_b32 vcc_lo, exec_lo, s34
	s_cbranch_vccnz .LBB157_133
; %bb.132:                              ;   in Loop: Header=BB157_123 Depth=2
	v_div_scale_f32 v6, null, v10, v10, v11
	v_div_scale_f32 v9, vcc_lo, v11, v10, v11
	s_delay_alu instid0(VALU_DEP_2)
	v_rcp_f32_e32 v7, v6
	v_nop
	v_xor_b32_e32 v6, 0x80000000, v6
	s_delay_alu instid0(TRANS32_DEP_1) | instid1(VALU_DEP_1)
	v_fma_f32 v8, v6, v7, 1.0
	s_delay_alu instid0(VALU_DEP_1) | instskip(NEXT) | instid1(VALU_DEP_1)
	v_fmac_f32_e32 v7, v8, v7
	v_mul_f32_e32 v8, v9, v7
	s_delay_alu instid0(VALU_DEP_1) | instskip(NEXT) | instid1(VALU_DEP_1)
	v_fma_f32 v30, v6, v8, v9
	v_fmac_f32_e32 v8, v30, v7
	s_delay_alu instid0(VALU_DEP_1) | instskip(NEXT) | instid1(VALU_DEP_1)
	v_fmac_f32_e32 v9, v6, v8
	v_div_fmas_f32 v6, v9, v7, v8
	s_delay_alu instid0(VALU_DEP_1) | instskip(NEXT) | instid1(VALU_DEP_1)
	v_div_fixup_f32 v6, v6, v10, v11
	v_fmac_f32_e32 v10, v11, v6
	s_delay_alu instid0(VALU_DEP_1) | instskip(SKIP_1) | instid1(VALU_DEP_2)
	v_div_scale_f32 v7, null, v10, v10, 1.0
	v_div_scale_f32 v11, vcc_lo, 1.0, v10, 1.0
	v_rcp_f32_e32 v8, v7
	v_nop
	v_xor_b32_e32 v7, 0x80000000, v7
	s_delay_alu instid0(TRANS32_DEP_1) | instid1(VALU_DEP_1)
	v_fma_f32 v9, v7, v8, 1.0
	s_delay_alu instid0(VALU_DEP_1) | instskip(NEXT) | instid1(VALU_DEP_1)
	v_fmac_f32_e32 v8, v9, v8
	v_mul_f32_e32 v9, v11, v8
	s_delay_alu instid0(VALU_DEP_1) | instskip(NEXT) | instid1(VALU_DEP_1)
	v_fma_f32 v30, v7, v9, v11
	v_fmac_f32_e32 v9, v30, v8
	s_delay_alu instid0(VALU_DEP_1) | instskip(NEXT) | instid1(VALU_DEP_1)
	v_fmac_f32_e32 v11, v7, v9
	v_div_fmas_f32 v7, v11, v8, v9
	v_dual_fma_f32 v8, v6, v5, v4 :: v_dual_fma_f32 v4, -v6, v4, v5
	s_delay_alu instid0(VALU_DEP_2) | instskip(NEXT) | instid1(VALU_DEP_1)
	v_div_fixup_f32 v7, v7, v10, 1.0
	v_mul_f32_e32 v8, v8, v7
	s_delay_alu instid0(VALU_DEP_3)
	v_mul_f32_e32 v9, v4, v7
.LBB157_133:                            ;   in Loop: Header=BB157_123 Depth=2
	s_addk_co_i32 s31, 0xa0
	v_mov_b32_e32 v6, v25
	s_add_co_i32 s30, s31, s30
	s_mov_b32 s31, -1
	v_mov_b32_e32 v4, s30
	ds_load_b128 v[30:33], v4
	ds_load_b64 v[4:5], v4 offset:16
	ds_store_b64 v29, v[8:9] offset:160
	s_wait_dscnt 0x2
	v_pk_mul_f32 v[6:7], v[6:7], v[30:31] op_sel_hi:[0,1]
	s_delay_alu instid0(VALU_DEP_1)
	v_pk_fma_f32 v[34:35], v[24:25], v[30:31], v[6:7] op_sel:[0,0,1] op_sel_hi:[0,1,0]
	v_mov_b32_e32 v10, v9
	v_pk_fma_f32 v[6:7], v[24:25], v[30:31], v[6:7] op_sel:[0,0,1] op_sel_hi:[1,1,0] neg_lo:[0,0,1] neg_hi:[0,0,1]
	s_wait_dscnt 0x1
	v_and_b32_e32 v34, 0x7fffffff, v5
	v_mov_b32_e32 v7, v35
	v_pk_mul_f32 v[10:11], v[10:11], v[32:33] op_sel_hi:[0,1]
	s_delay_alu instid0(VALU_DEP_2) | instskip(NEXT) | instid1(VALU_DEP_2)
	v_pk_add_f32 v[0:1], v[0:1], v[6:7] neg_lo:[0,1] neg_hi:[0,1]
	v_pk_fma_f32 v[30:31], v[8:9], v[32:33], v[10:11] op_sel:[0,0,1] op_sel_hi:[0,1,0]
	v_and_b32_e32 v30, 0x7fffffff, v4
	v_pk_fma_f32 v[10:11], v[8:9], v[32:33], v[10:11] op_sel:[0,0,1] op_sel_hi:[1,1,0] neg_lo:[0,0,1] neg_hi:[0,0,1]
	s_delay_alu instid0(VALU_DEP_3) | instskip(NEXT) | instid1(VALU_DEP_3)
	v_mov_b32_e32 v11, v31
	v_cmp_ngt_f32_e32 vcc_lo, v30, v34
	s_delay_alu instid0(VALU_DEP_2)
	v_pk_add_f32 v[0:1], v[0:1], v[10:11] neg_lo:[0,1] neg_hi:[0,1]
                                        ; implicit-def: $vgpr10_vgpr11
	s_cbranch_vccz .LBB157_135
; %bb.134:                              ;   in Loop: Header=BB157_123 Depth=2
	v_div_scale_f32 v6, null, v5, v5, v4
	v_div_scale_f32 v11, vcc_lo, v4, v5, v4
	s_mov_b32 s31, 0
	v_rcp_f32_e32 v7, v6
	v_nop
	v_xor_b32_e32 v6, 0x80000000, v6
	s_delay_alu instid0(TRANS32_DEP_1) | instid1(VALU_DEP_1)
	v_fma_f32 v10, v6, v7, 1.0
	s_delay_alu instid0(VALU_DEP_1) | instskip(NEXT) | instid1(VALU_DEP_1)
	v_fmac_f32_e32 v7, v10, v7
	v_mul_f32_e32 v10, v11, v7
	s_delay_alu instid0(VALU_DEP_1) | instskip(NEXT) | instid1(VALU_DEP_1)
	v_fma_f32 v30, v6, v10, v11
	v_fmac_f32_e32 v10, v30, v7
	s_delay_alu instid0(VALU_DEP_1) | instskip(NEXT) | instid1(VALU_DEP_1)
	v_fmac_f32_e32 v11, v6, v10
	v_div_fmas_f32 v6, v11, v7, v10
	s_delay_alu instid0(VALU_DEP_1) | instskip(NEXT) | instid1(VALU_DEP_1)
	v_div_fixup_f32 v6, v6, v5, v4
	v_fma_f32 v7, v4, v6, v5
	s_delay_alu instid0(VALU_DEP_1) | instskip(NEXT) | instid1(VALU_DEP_1)
	v_div_scale_f32 v10, null, v7, v7, 1.0
	v_rcp_f32_e32 v11, v10
	v_nop
	v_xor_b32_e32 v10, 0x80000000, v10
	s_delay_alu instid0(TRANS32_DEP_1) | instid1(VALU_DEP_1)
	v_fma_f32 v30, v10, v11, 1.0
	s_delay_alu instid0(VALU_DEP_1) | instskip(SKIP_1) | instid1(VALU_DEP_1)
	v_fmac_f32_e32 v11, v30, v11
	v_div_scale_f32 v30, vcc_lo, 1.0, v7, 1.0
	v_mul_f32_e32 v31, v30, v11
	s_delay_alu instid0(VALU_DEP_1) | instskip(NEXT) | instid1(VALU_DEP_1)
	v_fma_f32 v32, v10, v31, v30
	v_fmac_f32_e32 v31, v32, v11
	s_delay_alu instid0(VALU_DEP_1) | instskip(NEXT) | instid1(VALU_DEP_1)
	v_dual_fmac_f32 v30, v10, v31 :: v_dual_mov_b32 v10, v1
	v_div_fmas_f32 v30, v30, v11, v31
	s_delay_alu instid0(VALU_DEP_2) | instskip(NEXT) | instid1(VALU_DEP_2)
	v_pk_fma_f32 v[10:11], v[6:7], v[0:1], v[10:11]
	v_div_fixup_f32 v11, v30, v7, 1.0
	s_delay_alu instid0(VALU_DEP_1) | instskip(NEXT) | instid1(VALU_DEP_1)
	v_dual_fma_f32 v7, v6, v1, -v0 :: v_dual_mov_b32 v6, v11
	v_pk_mul_f32 v[10:11], v[10:11], v[6:7]
.LBB157_135:                            ;   in Loop: Header=BB157_123 Depth=2
	s_and_not1_b32 vcc_lo, exec_lo, s31
	s_cbranch_vccnz .LBB157_137
; %bb.136:                              ;   in Loop: Header=BB157_123 Depth=2
	v_div_scale_f32 v6, null, v4, v4, v5
	v_div_scale_f32 v11, vcc_lo, v5, v4, v5
	s_delay_alu instid0(VALU_DEP_2)
	v_rcp_f32_e32 v7, v6
	v_nop
	v_xor_b32_e32 v6, 0x80000000, v6
	s_delay_alu instid0(TRANS32_DEP_1) | instid1(VALU_DEP_1)
	v_fma_f32 v10, v6, v7, 1.0
	s_delay_alu instid0(VALU_DEP_1) | instskip(NEXT) | instid1(VALU_DEP_1)
	v_fmac_f32_e32 v7, v10, v7
	v_mul_f32_e32 v10, v11, v7
	s_delay_alu instid0(VALU_DEP_1) | instskip(NEXT) | instid1(VALU_DEP_1)
	v_fma_f32 v30, v6, v10, v11
	v_fmac_f32_e32 v10, v30, v7
	s_delay_alu instid0(VALU_DEP_1) | instskip(NEXT) | instid1(VALU_DEP_1)
	v_fmac_f32_e32 v11, v6, v10
	v_div_fmas_f32 v6, v11, v7, v10
	s_delay_alu instid0(VALU_DEP_1) | instskip(NEXT) | instid1(VALU_DEP_1)
	v_div_fixup_f32 v6, v6, v4, v5
	v_fmac_f32_e32 v4, v5, v6
	s_delay_alu instid0(VALU_DEP_1) | instskip(SKIP_1) | instid1(VALU_DEP_2)
	v_div_scale_f32 v5, null, v4, v4, 1.0
	v_div_scale_f32 v11, vcc_lo, 1.0, v4, 1.0
	v_rcp_f32_e32 v7, v5
	v_nop
	v_xor_b32_e32 v5, 0x80000000, v5
	s_delay_alu instid0(TRANS32_DEP_1) | instid1(VALU_DEP_1)
	v_fma_f32 v10, v5, v7, 1.0
	s_delay_alu instid0(VALU_DEP_1) | instskip(NEXT) | instid1(VALU_DEP_1)
	v_fmac_f32_e32 v7, v10, v7
	v_mul_f32_e32 v10, v11, v7
	s_delay_alu instid0(VALU_DEP_1) | instskip(NEXT) | instid1(VALU_DEP_1)
	v_fma_f32 v30, v5, v10, v11
	v_fmac_f32_e32 v10, v30, v7
	s_delay_alu instid0(VALU_DEP_1) | instskip(NEXT) | instid1(VALU_DEP_1)
	v_fmac_f32_e32 v11, v5, v10
	v_div_fmas_f32 v5, v11, v7, v10
	v_pk_fma_f32 v[10:11], v[6:7], v[0:1], v[0:1] op_sel:[0,1,0] op_sel_hi:[0,0,1] neg_lo:[1,0,0] neg_hi:[1,0,0]
	v_pk_fma_f32 v[0:1], v[6:7], v[0:1], v[0:1] op_sel:[0,1,0] op_sel_hi:[1,0,1]
	s_delay_alu instid0(VALU_DEP_3) | instskip(NEXT) | instid1(VALU_DEP_3)
	v_div_fixup_f32 v4, v5, v4, 1.0
	v_mov_b32_e32 v1, v11
	s_delay_alu instid0(VALU_DEP_1)
	v_pk_mul_f32 v[10:11], v[0:1], v[4:5] op_sel_hi:[1,0]
.LBB157_137:                            ;   in Loop: Header=BB157_123 Depth=2
	v_dual_mov_b32 v0, s30 :: v_dual_mov_b32 v1, v25
	v_dual_mov_b32 v34, v9 :: v_dual_mov_b32 v35, v9
	s_mov_b32 s30, -1
	ds_load_b128 v[30:33], v0 offset:160
	ds_load_b128 v[4:7], v0 offset:176
	v_dual_mov_b32 v0, v25 :: v_dual_mov_b32 v25, v24
	ds_store_b64 v29, v[10:11] offset:320
	s_wait_dscnt 0x2
	v_pk_mul_f32 v[0:1], v[0:1], v[30:31]
	v_pk_mul_f32 v[34:35], v[34:35], v[32:33]
	s_delay_alu instid0(VALU_DEP_2)
	v_pk_fma_f32 v[36:37], v[24:25], v[30:31], v[0:1] op_sel:[0,0,1] op_sel_hi:[1,1,0]
	v_mov_b32_e32 v9, v8
	v_pk_fma_f32 v[0:1], v[24:25], v[30:31], v[0:1] op_sel:[0,0,1] op_sel_hi:[1,1,0] neg_lo:[0,0,1] neg_hi:[0,0,1]
	s_wait_dscnt 0x1
	v_pk_mul_f32 v[30:31], v[10:11], v[4:5] op_sel:[1,1] op_sel_hi:[1,0]
	v_mov_b32_e32 v1, v37
	v_pk_fma_f32 v[24:25], v[8:9], v[32:33], v[34:35] op_sel:[0,0,1] op_sel_hi:[1,1,0]
	v_pk_fma_f32 v[8:9], v[8:9], v[32:33], v[34:35] op_sel:[0,0,1] op_sel_hi:[1,1,0] neg_lo:[0,0,1] neg_hi:[0,0,1]
	v_and_b32_e32 v24, 0x7fffffff, v7
	s_delay_alu instid0(VALU_DEP_4) | instskip(SKIP_4) | instid1(VALU_DEP_4)
	v_pk_add_f32 v[0:1], v[2:3], v[0:1] neg_lo:[0,1] neg_hi:[0,1]
	v_pk_fma_f32 v[2:3], v[10:11], v[4:5], v[30:31] op_sel_hi:[0,1,1]
	v_mov_b32_e32 v9, v25
	v_and_b32_e32 v2, 0x7fffffff, v6
	v_pk_fma_f32 v[4:5], v[10:11], v[4:5], v[30:31] neg_lo:[0,0,1] neg_hi:[0,0,1]
	v_mov_b32_e32 v5, v3
	s_delay_alu instid0(VALU_DEP_4) | instskip(NEXT) | instid1(VALU_DEP_4)
	v_pk_add_f32 v[0:1], v[0:1], v[8:9] neg_lo:[0,1] neg_hi:[0,1]
	v_cmp_ngt_f32_e32 vcc_lo, v2, v24
                                        ; implicit-def: $vgpr2_vgpr3
	s_delay_alu instid0(VALU_DEP_2)
	v_pk_add_f32 v[0:1], v[0:1], v[4:5] neg_lo:[0,1] neg_hi:[0,1]
	s_cbranch_vccz .LBB157_139
; %bb.138:                              ;   in Loop: Header=BB157_123 Depth=2
	v_div_scale_f32 v2, null, v7, v7, v6
	v_div_scale_f32 v5, vcc_lo, v6, v7, v6
	s_mov_b32 s30, 0
	v_rcp_f32_e32 v3, v2
	v_nop
	v_xor_b32_e32 v2, 0x80000000, v2
	s_delay_alu instid0(TRANS32_DEP_1) | instid1(VALU_DEP_1)
	v_fma_f32 v4, v2, v3, 1.0
	s_delay_alu instid0(VALU_DEP_1) | instskip(NEXT) | instid1(VALU_DEP_1)
	v_fmac_f32_e32 v3, v4, v3
	v_mul_f32_e32 v4, v5, v3
	s_delay_alu instid0(VALU_DEP_1) | instskip(NEXT) | instid1(VALU_DEP_1)
	v_fma_f32 v8, v2, v4, v5
	v_fmac_f32_e32 v4, v8, v3
	s_delay_alu instid0(VALU_DEP_1) | instskip(NEXT) | instid1(VALU_DEP_1)
	v_fmac_f32_e32 v5, v2, v4
	v_div_fmas_f32 v2, v5, v3, v4
	s_delay_alu instid0(VALU_DEP_1) | instskip(NEXT) | instid1(VALU_DEP_1)
	v_div_fixup_f32 v2, v2, v7, v6
	v_fma_f32 v3, v6, v2, v7
	s_delay_alu instid0(VALU_DEP_1) | instskip(NEXT) | instid1(VALU_DEP_1)
	v_div_scale_f32 v4, null, v3, v3, 1.0
	v_rcp_f32_e32 v5, v4
	v_nop
	v_xor_b32_e32 v4, 0x80000000, v4
	s_delay_alu instid0(TRANS32_DEP_1) | instid1(VALU_DEP_1)
	v_fma_f32 v8, v4, v5, 1.0
	s_delay_alu instid0(VALU_DEP_1) | instskip(SKIP_1) | instid1(VALU_DEP_1)
	v_fmac_f32_e32 v5, v8, v5
	v_div_scale_f32 v8, vcc_lo, 1.0, v3, 1.0
	v_mul_f32_e32 v9, v8, v5
	s_delay_alu instid0(VALU_DEP_1) | instskip(NEXT) | instid1(VALU_DEP_1)
	v_fma_f32 v10, v4, v9, v8
	v_fmac_f32_e32 v9, v10, v5
	s_delay_alu instid0(VALU_DEP_1) | instskip(NEXT) | instid1(VALU_DEP_1)
	v_dual_fmac_f32 v8, v4, v9 :: v_dual_mov_b32 v4, v1
	v_div_fmas_f32 v8, v8, v5, v9
	s_delay_alu instid0(VALU_DEP_2) | instskip(NEXT) | instid1(VALU_DEP_2)
	v_pk_fma_f32 v[4:5], v[2:3], v[0:1], v[4:5]
	v_div_fixup_f32 v5, v8, v3, 1.0
	s_delay_alu instid0(VALU_DEP_1) | instskip(NEXT) | instid1(VALU_DEP_1)
	v_dual_fma_f32 v3, v2, v1, -v0 :: v_dual_mov_b32 v2, v5
	v_pk_mul_f32 v[2:3], v[4:5], v[2:3]
.LBB157_139:                            ;   in Loop: Header=BB157_123 Depth=2
	s_and_not1_b32 vcc_lo, exec_lo, s30
	s_cbranch_vccnz .LBB157_141
; %bb.140:                              ;   in Loop: Header=BB157_123 Depth=2
	v_div_scale_f32 v2, null, v6, v6, v7
	v_div_scale_f32 v5, vcc_lo, v7, v6, v7
	s_delay_alu instid0(VALU_DEP_2)
	v_rcp_f32_e32 v3, v2
	v_nop
	v_xor_b32_e32 v2, 0x80000000, v2
	s_delay_alu instid0(TRANS32_DEP_1) | instid1(VALU_DEP_1)
	v_fma_f32 v4, v2, v3, 1.0
	s_delay_alu instid0(VALU_DEP_1) | instskip(NEXT) | instid1(VALU_DEP_1)
	v_fmac_f32_e32 v3, v4, v3
	v_mul_f32_e32 v4, v5, v3
	s_delay_alu instid0(VALU_DEP_1) | instskip(NEXT) | instid1(VALU_DEP_1)
	v_fma_f32 v8, v2, v4, v5
	v_fmac_f32_e32 v4, v8, v3
	s_delay_alu instid0(VALU_DEP_1) | instskip(NEXT) | instid1(VALU_DEP_1)
	v_fmac_f32_e32 v5, v2, v4
	v_div_fmas_f32 v2, v5, v3, v4
	s_delay_alu instid0(VALU_DEP_1) | instskip(NEXT) | instid1(VALU_DEP_1)
	v_div_fixup_f32 v2, v2, v6, v7
	v_fmac_f32_e32 v6, v7, v2
	s_delay_alu instid0(VALU_DEP_1) | instskip(SKIP_1) | instid1(VALU_DEP_2)
	v_div_scale_f32 v3, null, v6, v6, 1.0
	v_div_scale_f32 v7, vcc_lo, 1.0, v6, 1.0
	v_rcp_f32_e32 v4, v3
	v_nop
	v_xor_b32_e32 v3, 0x80000000, v3
	s_delay_alu instid0(TRANS32_DEP_1) | instid1(VALU_DEP_1)
	v_fma_f32 v5, v3, v4, 1.0
	s_delay_alu instid0(VALU_DEP_1) | instskip(NEXT) | instid1(VALU_DEP_1)
	v_fmac_f32_e32 v4, v5, v4
	v_mul_f32_e32 v5, v7, v4
	s_delay_alu instid0(VALU_DEP_1) | instskip(NEXT) | instid1(VALU_DEP_1)
	v_fma_f32 v8, v3, v5, v7
	v_fmac_f32_e32 v5, v8, v4
	s_delay_alu instid0(VALU_DEP_1) | instskip(NEXT) | instid1(VALU_DEP_1)
	v_fmac_f32_e32 v7, v3, v5
	v_div_fmas_f32 v3, v7, v4, v5
	s_delay_alu instid0(VALU_DEP_1) | instskip(SKIP_2) | instid1(VALU_DEP_3)
	v_pk_fma_f32 v[4:5], v[2:3], v[0:1], v[0:1] op_sel:[0,1,0] op_sel_hi:[0,0,1] neg_lo:[1,0,0] neg_hi:[1,0,0]
	v_pk_fma_f32 v[0:1], v[2:3], v[0:1], v[0:1] op_sel:[0,1,0] op_sel_hi:[1,0,1]
	v_div_fixup_f32 v2, v3, v6, 1.0
	v_mov_b32_e32 v1, v5
	s_delay_alu instid0(VALU_DEP_1)
	v_pk_mul_f32 v[2:3], v[0:1], v[2:3] op_sel_hi:[1,0]
.LBB157_141:                            ;   in Loop: Header=BB157_123 Depth=2
	s_add_co_i32 s30, s18, 4
	s_add_co_i32 s18, s18, 7
	s_addk_co_i32 s3, 0x280
	s_cmp_ge_i32 s18, s37
	ds_store_b64 v29, v[2:3] offset:480
	s_cbranch_scc1 .LBB157_143
; %bb.142:                              ;   in Loop: Header=BB157_123 Depth=2
	s_mov_b32 s18, s30
	s_branch .LBB157_123
.LBB157_143:                            ;   in Loop: Header=BB157_3 Depth=1
	s_cmp_ge_i32 s30, s37
	s_cbranch_scc1 .LBB157_152
; %bb.144:                              ;   in Loop: Header=BB157_3 Depth=1
	s_mul_i32 s3, s30, 0xa0
	s_branch .LBB157_146
.LBB157_145:                            ;   in Loop: Header=BB157_146 Depth=2
	s_add_co_i32 s30, s30, 1
	s_addk_co_i32 s3, 0xa0
	s_cmp_ge_i32 s30, s37
	ds_store_b64 v6, v[4:5]
	s_cbranch_scc1 .LBB157_152
.LBB157_146:                            ;   Parent Loop BB157_3 Depth=1
                                        ; =>  This Loop Header: Depth=2
                                        ;       Child Loop BB157_147 Depth 3
	v_mad_u32 v6, 0xa0, s30, v26
	v_mov_b32_e32 v2, v26
	s_cmp_eq_u32 s30, 0
	s_mov_b32 s18, s3
	s_mov_b32 s31, s30
	ds_load_b64 v[0:1], v6
	s_cbranch_scc1 .LBB157_148
.LBB157_147:                            ;   Parent Loop BB157_3 Depth=1
                                        ;     Parent Loop BB157_146 Depth=2
                                        ; =>    This Inner Loop Header: Depth=3
	v_mov_b32_e32 v3, s18
	s_add_co_i32 s31, s31, -1
	s_add_co_i32 s18, s18, 8
	s_cmp_eq_u32 s31, 0
	ds_load_b64 v[4:5], v2
	ds_load_b64 v[8:9], v3
	v_add_nc_u32_e32 v2, 0xa0, v2
	s_wait_dscnt 0x0
	v_pk_mul_f32 v[10:11], v[8:9], v[4:5] op_sel:[1,1] op_sel_hi:[0,1]
	s_delay_alu instid0(VALU_DEP_1) | instskip(SKIP_1) | instid1(VALU_DEP_2)
	v_pk_fma_f32 v[24:25], v[8:9], v[4:5], v[10:11] op_sel_hi:[1,0,1]
	v_pk_fma_f32 v[4:5], v[8:9], v[4:5], v[10:11] op_sel_hi:[1,0,1] neg_lo:[0,0,1] neg_hi:[0,0,1]
	v_mov_b32_e32 v5, v25
	s_delay_alu instid0(VALU_DEP_1)
	v_pk_add_f32 v[0:1], v[0:1], v[4:5] neg_lo:[0,1] neg_hi:[0,1]
	s_cbranch_scc0 .LBB157_147
.LBB157_148:                            ;   in Loop: Header=BB157_146 Depth=2
	s_mul_i32 s18, s30, 0xa8
	s_delay_alu instid0(SALU_CYCLE_1)
	v_mov_b32_e32 v2, s18
	s_mov_b32 s18, -1
	ds_load_b64 v[2:3], v2
	s_wait_dscnt 0x0
	v_and_b32_e32 v4, 0x7fffffff, v2
	v_and_b32_e32 v5, 0x7fffffff, v3
	s_delay_alu instid0(VALU_DEP_1)
	v_cmp_ngt_f32_e32 vcc_lo, v4, v5
                                        ; implicit-def: $vgpr4_vgpr5
	s_cbranch_vccz .LBB157_150
; %bb.149:                              ;   in Loop: Header=BB157_146 Depth=2
	v_div_scale_f32 v4, null, v3, v3, v2
	v_div_scale_f32 v8, vcc_lo, v2, v3, v2
	s_mov_b32 s18, 0
	v_rcp_f32_e32 v5, v4
	v_nop
	v_xor_b32_e32 v4, 0x80000000, v4
	s_delay_alu instid0(TRANS32_DEP_1) | instid1(VALU_DEP_1)
	v_fma_f32 v7, v4, v5, 1.0
	s_delay_alu instid0(VALU_DEP_1) | instskip(NEXT) | instid1(VALU_DEP_1)
	v_fmac_f32_e32 v5, v7, v5
	v_mul_f32_e32 v7, v8, v5
	s_delay_alu instid0(VALU_DEP_1) | instskip(NEXT) | instid1(VALU_DEP_1)
	v_fma_f32 v9, v4, v7, v8
	v_fmac_f32_e32 v7, v9, v5
	s_delay_alu instid0(VALU_DEP_1) | instskip(NEXT) | instid1(VALU_DEP_1)
	v_fmac_f32_e32 v8, v4, v7
	v_div_fmas_f32 v4, v8, v5, v7
	s_delay_alu instid0(VALU_DEP_1) | instskip(NEXT) | instid1(VALU_DEP_1)
	v_div_fixup_f32 v4, v4, v3, v2
	v_fma_f32 v7, v2, v4, v3
	s_delay_alu instid0(VALU_DEP_1) | instskip(SKIP_1) | instid1(VALU_DEP_2)
	v_div_scale_f32 v5, null, v7, v7, 1.0
	v_div_scale_f32 v10, vcc_lo, 1.0, v7, 1.0
	v_rcp_f32_e32 v8, v5
	v_nop
	v_xor_b32_e32 v5, 0x80000000, v5
	s_delay_alu instid0(TRANS32_DEP_1) | instid1(VALU_DEP_1)
	v_fma_f32 v9, v5, v8, 1.0
	s_delay_alu instid0(VALU_DEP_1) | instskip(NEXT) | instid1(VALU_DEP_1)
	v_fmac_f32_e32 v8, v9, v8
	v_mul_f32_e32 v9, v10, v8
	s_delay_alu instid0(VALU_DEP_1) | instskip(NEXT) | instid1(VALU_DEP_1)
	v_fma_f32 v11, v5, v9, v10
	v_fmac_f32_e32 v9, v11, v8
	s_delay_alu instid0(VALU_DEP_1) | instskip(NEXT) | instid1(VALU_DEP_1)
	v_fmac_f32_e32 v10, v5, v9
	v_div_fmas_f32 v10, v10, v8, v9
	v_pk_fma_f32 v[8:9], v[0:1], v[4:5], v[0:1] op_sel:[0,0,1] op_sel_hi:[1,0,0] neg_lo:[0,0,1] neg_hi:[0,0,1]
	v_pk_fma_f32 v[4:5], v[0:1], v[4:5], v[0:1] op_sel:[0,0,1] op_sel_hi:[1,0,0]
	s_delay_alu instid0(VALU_DEP_3) | instskip(NEXT) | instid1(VALU_DEP_3)
	v_div_fixup_f32 v8, v10, v7, 1.0
	v_mov_b32_e32 v5, v9
	s_delay_alu instid0(VALU_DEP_1)
	v_pk_mul_f32 v[4:5], v[4:5], v[8:9] op_sel_hi:[1,0]
.LBB157_150:                            ;   in Loop: Header=BB157_146 Depth=2
	s_and_not1_b32 vcc_lo, exec_lo, s18
	s_cbranch_vccnz .LBB157_145
; %bb.151:                              ;   in Loop: Header=BB157_146 Depth=2
	v_div_scale_f32 v4, null, v2, v2, v3
	v_div_scale_f32 v8, vcc_lo, v3, v2, v3
	s_delay_alu instid0(VALU_DEP_2)
	v_rcp_f32_e32 v5, v4
	v_nop
	v_xor_b32_e32 v4, 0x80000000, v4
	s_delay_alu instid0(TRANS32_DEP_1) | instid1(VALU_DEP_1)
	v_fma_f32 v7, v4, v5, 1.0
	s_delay_alu instid0(VALU_DEP_1) | instskip(NEXT) | instid1(VALU_DEP_1)
	v_fmac_f32_e32 v5, v7, v5
	v_mul_f32_e32 v7, v8, v5
	s_delay_alu instid0(VALU_DEP_1) | instskip(NEXT) | instid1(VALU_DEP_1)
	v_fma_f32 v9, v4, v7, v8
	v_fmac_f32_e32 v7, v9, v5
	s_delay_alu instid0(VALU_DEP_1) | instskip(NEXT) | instid1(VALU_DEP_1)
	v_fmac_f32_e32 v8, v4, v7
	v_div_fmas_f32 v4, v8, v5, v7
	s_delay_alu instid0(VALU_DEP_1) | instskip(NEXT) | instid1(VALU_DEP_1)
	v_div_fixup_f32 v4, v4, v2, v3
	v_fmac_f32_e32 v2, v3, v4
	s_delay_alu instid0(VALU_DEP_1) | instskip(SKIP_1) | instid1(VALU_DEP_2)
	v_div_scale_f32 v3, null, v2, v2, 1.0
	v_div_scale_f32 v8, vcc_lo, 1.0, v2, 1.0
	v_rcp_f32_e32 v5, v3
	v_nop
	v_xor_b32_e32 v3, 0x80000000, v3
	s_delay_alu instid0(TRANS32_DEP_1) | instid1(VALU_DEP_1)
	v_fma_f32 v7, v3, v5, 1.0
	s_delay_alu instid0(VALU_DEP_1) | instskip(NEXT) | instid1(VALU_DEP_1)
	v_fmac_f32_e32 v5, v7, v5
	v_mul_f32_e32 v7, v8, v5
	s_delay_alu instid0(VALU_DEP_1) | instskip(NEXT) | instid1(VALU_DEP_1)
	v_fma_f32 v9, v3, v7, v8
	v_fmac_f32_e32 v7, v9, v5
	s_delay_alu instid0(VALU_DEP_1) | instskip(NEXT) | instid1(VALU_DEP_1)
	v_fmac_f32_e32 v8, v3, v7
	v_div_fmas_f32 v3, v8, v5, v7
	v_pk_fma_f32 v[8:9], v[0:1], v[4:5], v[0:1] op_sel:[1,0,0] op_sel_hi:[0,0,1] neg_lo:[1,0,0] neg_hi:[1,0,0]
	v_pk_fma_f32 v[0:1], v[0:1], v[4:5], v[0:1] op_sel:[1,0,0] op_sel_hi:[0,0,1]
	s_delay_alu instid0(VALU_DEP_3) | instskip(NEXT) | instid1(VALU_DEP_3)
	v_div_fixup_f32 v2, v3, v2, 1.0
	v_mov_b32_e32 v1, v9
	s_delay_alu instid0(VALU_DEP_1)
	v_pk_mul_f32 v[4:5], v[0:1], v[2:3] op_sel_hi:[1,0]
	s_branch .LBB157_145
.LBB157_152:                            ;   in Loop: Header=BB157_3 Depth=1
	s_and_saveexec_b32 s3, s43
	s_cbranch_execz .LBB157_2
; %bb.153:                              ;   in Loop: Header=BB157_3 Depth=1
	v_add_nc_u64_e32 v[0:1], s[28:29], v[16:17]
	v_mov_b32_e32 v2, v26
	s_mov_b32 s18, s16
.LBB157_154:                            ;   Parent Loop BB157_3 Depth=1
                                        ; =>  This Inner Loop Header: Depth=2
	ds_load_b64 v[4:5], v2
	v_add_nc_u32_e32 v2, 0xa0, v2
	s_add_co_i32 s18, s18, -1
	s_delay_alu instid0(SALU_CYCLE_1)
	s_cmp_lg_u32 s18, 0
	s_wait_dscnt 0x0
	global_store_b64 v[0:1], v[4:5], off
	s_wait_xcnt 0x0
	v_add_nc_u64_e32 v[0:1], s[10:11], v[0:1]
	s_cbranch_scc1 .LBB157_154
	s_branch .LBB157_2
.LBB157_155:
	s_endpgm
	.section	.rodata,"a",@progbits
	.p2align	6, 0x0
	.amdhsa_kernel _ZL31rocblas_trsm_small_right_deviceI19rocblas_complex_numIfES1_PKS1_PS1_Li20EEv13rocblas_fill_18rocblas_operation_17rocblas_diagonal_iiT0_T1_lilT2_lili
		.amdhsa_group_segment_fixed_size 6400
		.amdhsa_private_segment_fixed_size 0
		.amdhsa_kernarg_size 360
		.amdhsa_user_sgpr_count 2
		.amdhsa_user_sgpr_dispatch_ptr 0
		.amdhsa_user_sgpr_queue_ptr 0
		.amdhsa_user_sgpr_kernarg_segment_ptr 1
		.amdhsa_user_sgpr_dispatch_id 0
		.amdhsa_user_sgpr_kernarg_preload_length 0
		.amdhsa_user_sgpr_kernarg_preload_offset 0
		.amdhsa_user_sgpr_private_segment_size 0
		.amdhsa_wavefront_size32 1
		.amdhsa_uses_dynamic_stack 0
		.amdhsa_enable_private_segment 0
		.amdhsa_system_sgpr_workgroup_id_x 1
		.amdhsa_system_sgpr_workgroup_id_y 0
		.amdhsa_system_sgpr_workgroup_id_z 1
		.amdhsa_system_sgpr_workgroup_info 0
		.amdhsa_system_vgpr_workitem_id 0
		.amdhsa_next_free_vgpr 46
		.amdhsa_next_free_sgpr 53
		.amdhsa_named_barrier_count 0
		.amdhsa_reserve_vcc 1
		.amdhsa_float_round_mode_32 0
		.amdhsa_float_round_mode_16_64 0
		.amdhsa_float_denorm_mode_32 3
		.amdhsa_float_denorm_mode_16_64 3
		.amdhsa_fp16_overflow 0
		.amdhsa_memory_ordered 1
		.amdhsa_forward_progress 1
		.amdhsa_inst_pref_size 126
		.amdhsa_round_robin_scheduling 0
		.amdhsa_exception_fp_ieee_invalid_op 0
		.amdhsa_exception_fp_denorm_src 0
		.amdhsa_exception_fp_ieee_div_zero 0
		.amdhsa_exception_fp_ieee_overflow 0
		.amdhsa_exception_fp_ieee_underflow 0
		.amdhsa_exception_fp_ieee_inexact 0
		.amdhsa_exception_int_div_zero 0
	.end_amdhsa_kernel
	.section	.text._ZL31rocblas_trsm_small_right_deviceI19rocblas_complex_numIfES1_PKS1_PS1_Li20EEv13rocblas_fill_18rocblas_operation_17rocblas_diagonal_iiT0_T1_lilT2_lili,"axG",@progbits,_ZL31rocblas_trsm_small_right_deviceI19rocblas_complex_numIfES1_PKS1_PS1_Li20EEv13rocblas_fill_18rocblas_operation_17rocblas_diagonal_iiT0_T1_lilT2_lili,comdat
.Lfunc_end157:
	.size	_ZL31rocblas_trsm_small_right_deviceI19rocblas_complex_numIfES1_PKS1_PS1_Li20EEv13rocblas_fill_18rocblas_operation_17rocblas_diagonal_iiT0_T1_lilT2_lili, .Lfunc_end157-_ZL31rocblas_trsm_small_right_deviceI19rocblas_complex_numIfES1_PKS1_PS1_Li20EEv13rocblas_fill_18rocblas_operation_17rocblas_diagonal_iiT0_T1_lilT2_lili
                                        ; -- End function
	.set _ZL31rocblas_trsm_small_right_deviceI19rocblas_complex_numIfES1_PKS1_PS1_Li20EEv13rocblas_fill_18rocblas_operation_17rocblas_diagonal_iiT0_T1_lilT2_lili.num_vgpr, 46
	.set _ZL31rocblas_trsm_small_right_deviceI19rocblas_complex_numIfES1_PKS1_PS1_Li20EEv13rocblas_fill_18rocblas_operation_17rocblas_diagonal_iiT0_T1_lilT2_lili.num_agpr, 0
	.set _ZL31rocblas_trsm_small_right_deviceI19rocblas_complex_numIfES1_PKS1_PS1_Li20EEv13rocblas_fill_18rocblas_operation_17rocblas_diagonal_iiT0_T1_lilT2_lili.numbered_sgpr, 53
	.set _ZL31rocblas_trsm_small_right_deviceI19rocblas_complex_numIfES1_PKS1_PS1_Li20EEv13rocblas_fill_18rocblas_operation_17rocblas_diagonal_iiT0_T1_lilT2_lili.num_named_barrier, 0
	.set _ZL31rocblas_trsm_small_right_deviceI19rocblas_complex_numIfES1_PKS1_PS1_Li20EEv13rocblas_fill_18rocblas_operation_17rocblas_diagonal_iiT0_T1_lilT2_lili.private_seg_size, 0
	.set _ZL31rocblas_trsm_small_right_deviceI19rocblas_complex_numIfES1_PKS1_PS1_Li20EEv13rocblas_fill_18rocblas_operation_17rocblas_diagonal_iiT0_T1_lilT2_lili.uses_vcc, 1
	.set _ZL31rocblas_trsm_small_right_deviceI19rocblas_complex_numIfES1_PKS1_PS1_Li20EEv13rocblas_fill_18rocblas_operation_17rocblas_diagonal_iiT0_T1_lilT2_lili.uses_flat_scratch, 0
	.set _ZL31rocblas_trsm_small_right_deviceI19rocblas_complex_numIfES1_PKS1_PS1_Li20EEv13rocblas_fill_18rocblas_operation_17rocblas_diagonal_iiT0_T1_lilT2_lili.has_dyn_sized_stack, 0
	.set _ZL31rocblas_trsm_small_right_deviceI19rocblas_complex_numIfES1_PKS1_PS1_Li20EEv13rocblas_fill_18rocblas_operation_17rocblas_diagonal_iiT0_T1_lilT2_lili.has_recursion, 0
	.set _ZL31rocblas_trsm_small_right_deviceI19rocblas_complex_numIfES1_PKS1_PS1_Li20EEv13rocblas_fill_18rocblas_operation_17rocblas_diagonal_iiT0_T1_lilT2_lili.has_indirect_call, 0
	.section	.AMDGPU.csdata,"",@progbits
; Kernel info:
; codeLenInByte = 16096
; TotalNumSgprs: 55
; NumVgprs: 46
; ScratchSize: 0
; MemoryBound: 0
; FloatMode: 240
; IeeeMode: 1
; LDSByteSize: 6400 bytes/workgroup (compile time only)
; SGPRBlocks: 0
; VGPRBlocks: 2
; NumSGPRsForWavesPerEU: 55
; NumVGPRsForWavesPerEU: 46
; NamedBarCnt: 0
; Occupancy: 13
; WaveLimiterHint : 0
; COMPUTE_PGM_RSRC2:SCRATCH_EN: 0
; COMPUTE_PGM_RSRC2:USER_SGPR: 2
; COMPUTE_PGM_RSRC2:TRAP_HANDLER: 0
; COMPUTE_PGM_RSRC2:TGID_X_EN: 1
; COMPUTE_PGM_RSRC2:TGID_Y_EN: 0
; COMPUTE_PGM_RSRC2:TGID_Z_EN: 1
; COMPUTE_PGM_RSRC2:TIDIG_COMP_CNT: 0
	.section	.text._ZL38rocblas_trsm_small_left_device_sharedBILi24ELi24ELb0E19rocblas_complex_numIfES1_PKS1_PS1_Ev13rocblas_fill_18rocblas_operation_17rocblas_diagonal_iiT3_T4_lilT5_lili,"axG",@progbits,_ZL38rocblas_trsm_small_left_device_sharedBILi24ELi24ELb0E19rocblas_complex_numIfES1_PKS1_PS1_Ev13rocblas_fill_18rocblas_operation_17rocblas_diagonal_iiT3_T4_lilT5_lili,comdat
	.globl	_ZL38rocblas_trsm_small_left_device_sharedBILi24ELi24ELb0E19rocblas_complex_numIfES1_PKS1_PS1_Ev13rocblas_fill_18rocblas_operation_17rocblas_diagonal_iiT3_T4_lilT5_lili ; -- Begin function _ZL38rocblas_trsm_small_left_device_sharedBILi24ELi24ELb0E19rocblas_complex_numIfES1_PKS1_PS1_Ev13rocblas_fill_18rocblas_operation_17rocblas_diagonal_iiT3_T4_lilT5_lili
	.p2align	8
	.type	_ZL38rocblas_trsm_small_left_device_sharedBILi24ELi24ELb0E19rocblas_complex_numIfES1_PKS1_PS1_Ev13rocblas_fill_18rocblas_operation_17rocblas_diagonal_iiT3_T4_lilT5_lili,@function
_ZL38rocblas_trsm_small_left_device_sharedBILi24ELi24ELb0E19rocblas_complex_numIfES1_PKS1_PS1_Ev13rocblas_fill_18rocblas_operation_17rocblas_diagonal_iiT3_T4_lilT5_lili: ; @_ZL38rocblas_trsm_small_left_device_sharedBILi24ELi24ELb0E19rocblas_complex_numIfES1_PKS1_PS1_Ev13rocblas_fill_18rocblas_operation_17rocblas_diagonal_iiT3_T4_lilT5_lili
; %bb.0:
	s_load_b32 s30, s[0:1], 0x60
	s_bfe_u32 s2, ttmp6, 0x40014
	s_lshr_b32 s4, ttmp7, 16
	s_add_co_i32 s2, s2, 1
	s_bfe_u32 s5, ttmp6, 0x40008
	s_mul_i32 s2, s4, s2
	s_getreg_b32 s3, hwreg(HW_REG_IB_STS2, 6, 4)
	s_add_co_i32 s5, s5, s2
	s_cmp_eq_u32 s3, 0
	s_mov_b32 s19, 0
	s_cselect_b32 s2, s4, s5
	s_wait_kmcnt 0x0
	s_cmp_ge_u32 s2, s30
	s_cbranch_scc1 .LBB158_86
; %bb.1:
	s_clause 0x7
	s_load_b32 s24, s[0:1], 0x30
	s_load_b96 s[16:18], s[0:1], 0x48
	s_load_b128 s[4:7], s[0:1], 0x4
	s_load_b32 s26, s[0:1], 0x68
	s_load_b128 s[12:15], s[0:1], 0x20
	s_load_b128 s[8:11], s[0:1], 0x38
	s_load_b64 s[20:21], s[0:1], 0x58
	s_load_b64 s[22:23], s[0:1], 0x14
	v_dual_mov_b32 v1, 0 :: v_dual_lshlrev_b32 v2, 3, v0
	v_mul_u32_u24_e32 v6, 0xc0, v0
	v_mov_b64_e32 v[4:5], 0xbf80000000000000
	v_mov_b64_e32 v[12:13], 0x3f800000
	s_delay_alu instid0(VALU_DEP_4) | instskip(NEXT) | instid1(VALU_DEP_4)
	v_or_b32_e32 v22, 0x1200, v2
	v_dual_mov_b32 v3, v1 :: v_dual_add_nc_u32 v23, v2, v6
	s_wait_kmcnt 0x0
	s_ashr_i32 s25, s24, 31
	s_ashr_i32 s27, s18, 31
	s_cmp_lg_u32 s4, 0x71
	s_cselect_b32 s1, -1, 0
	s_bfe_u32 s0, ttmp6, 0x4000c
	s_lshl_b64 s[28:29], s[16:17], 3
	s_add_co_i32 s0, s0, 1
	s_min_i32 s31, s6, 24
	s_and_b32 s16, ttmp6, 15
	s_mul_i32 s0, ttmp9, s0
	s_add_co_i32 s26, s26, -1
	s_add_co_i32 s33, s31, -1
	s_add_co_i32 s16, s16, s0
	s_cmp_eq_u32 s3, 0
	s_add_nc_u64 s[10:11], s[10:11], s[28:29]
	s_cselect_b32 s0, ttmp9, s16
	s_mul_i32 s41, s31, 0xc0
	s_mul_i32 s3, s0, 0xffffffe8
	;; [unrolled: 1-line block ×3, first 2 shown]
	s_add_co_i32 s3, s7, s3
	s_cmp_ge_u32 s0, s26
	s_mov_b32 s26, s18
	s_cselect_b32 s0, s3, 24
	s_ashr_i32 s35, s34, 31
	v_mul_u64_e32 v[8:9], s[26:27], v[0:1]
	v_lshl_add_u64 v[10:11], s[34:35], 3, v[2:3]
	s_mul_u64 s[28:29], s[26:27], s[34:35]
	v_cmp_gt_i32_e32 vcc_lo, s0, v0
	s_lshl_b64 s[28:29], s[28:29], 3
	s_cmp_lg_u32 s5, 0x84
	v_mad_nc_u64_u32 v[6:7], v10, s18, s[10:11]
	s_cselect_b32 s34, -1, 0
	s_cmp_gt_i32 s6, 0
	s_mov_b32 s16, s22
	s_cselect_b32 s0, -1, 0
	s_cmp_lg_u32 s4, 0x6f
	s_mov_b32 s17, s22
	s_cselect_b32 s35, -1, 0
	s_and_b32 s36, vcc_lo, s0
	s_cmp_gt_i32 s6, 1
	v_cmp_gt_i32_e64 s0, s31, v0
	v_mad_u32 v1, v11, s18, v7
	s_cselect_b32 s37, -1, 0
	s_and_b32 s38, s31, 30
	s_mov_b32 s4, s23
	s_cmp_lg_u32 s31, s38
	s_mov_b32 s5, s23
	s_cselect_b32 s39, -1, 0
	s_lshl_b64 s[14:15], s[14:15], 3
	s_mov_b32 s6, s23
	s_add_nc_u64 s[12:13], s[12:13], s[14:15]
	s_mov_b32 s7, s22
	v_mad_u32 v7, v10, s27, v1
	v_add_nc_u64_e32 v[10:11], s[12:13], v[2:3]
	s_add_nc_u64 s[10:11], s[10:11], s[28:29]
	s_lshl_b64 s[8:9], s[8:9], 3
	s_lshl_b64 s[12:13], s[24:25], 3
	;; [unrolled: 1-line block ×3, first 2 shown]
	s_or_b32 s40, 0, 8
	s_addk_co_i32 s41, 0xff40
	v_add_nc_u64_e32 v[0:1], 4, v[10:11]
	s_get_pc_i64 s[24:25]
	s_add_nc_u64 s[24:25], s[24:25], __const._ZL38rocblas_trsm_small_left_device_sharedBILi24ELi24ELb0E19rocblas_complex_numIfES1_PKS1_PS1_Ev13rocblas_fill_18rocblas_operation_17rocblas_diagonal_iiT3_T4_lilT5_lili.step_sizes@rel64+4
	v_add_nc_u64_e32 v[10:11], 4, v[6:7]
	s_branch .LBB158_3
.LBB158_2:                              ;   in Loop: Header=BB158_3 Depth=1
	s_or_b32 exec_lo, exec_lo, s3
	s_add_co_i32 s2, s2, 0x10000
	s_delay_alu instid0(SALU_CYCLE_1)
	s_cmp_lt_u32 s2, s30
	s_cbranch_scc0 .LBB158_86
.LBB158_3:                              ; =>This Loop Header: Depth=1
                                        ;     Child Loop BB158_6 Depth 2
                                        ;     Child Loop BB158_21 Depth 2
	;; [unrolled: 1-line block ×4, first 2 shown]
                                        ;       Child Loop BB158_32 Depth 3
                                        ;         Child Loop BB158_33 Depth 4
                                        ;         Child Loop BB158_37 Depth 4
                                        ;           Child Loop BB158_39 Depth 5
                                        ;           Child Loop BB158_45 Depth 5
                                        ;         Child Loop BB158_48 Depth 4
                                        ;           Child Loop BB158_50 Depth 5
                                        ;     Child Loop BB158_58 Depth 2
                                        ;       Child Loop BB158_61 Depth 3
                                        ;         Child Loop BB158_62 Depth 4
                                        ;         Child Loop BB158_66 Depth 4
                                        ;           Child Loop BB158_68 Depth 5
                                        ;           Child Loop BB158_74 Depth 5
                                        ;         Child Loop BB158_77 Depth 4
                                        ;           Child Loop BB158_79 Depth 5
                                        ;     Child Loop BB158_85 Depth 2
	s_mov_b32 s3, s19
	s_and_saveexec_b32 s18, s0
	s_cbranch_execz .LBB158_18
; %bb.4:                                ;   in Loop: Header=BB158_3 Depth=1
	v_mad_nc_u64_u32 v[14:15], s8, s2, v[0:1]
	v_mov_b32_e32 v3, v2
	s_mov_b32 s26, s31
	s_delay_alu instid0(VALU_DEP_2)
	v_mad_u32 v15, s9, s2, v15
	s_branch .LBB158_6
.LBB158_5:                              ;   in Loop: Header=BB158_6 Depth=2
	global_load_b32 v16, v[14:15], off offset:-4
	s_wait_xcnt 0x0
	v_add_nc_u64_e32 v[14:15], s[12:13], v[14:15]
	s_add_co_i32 s26, s26, -1
	s_delay_alu instid0(SALU_CYCLE_1)
	s_cmp_eq_u32 s26, 0
	s_wait_loadcnt 0x0
	ds_store_b64 v3, v[16:17]
	v_add_nc_u32_e32 v3, 0xc0, v3
	s_cbranch_scc1 .LBB158_10
.LBB158_6:                              ;   Parent Loop BB158_3 Depth=1
                                        ; =>  This Inner Loop Header: Depth=2
	s_and_b32 vcc_lo, exec_lo, s1
	s_mov_b32 s27, -1
                                        ; implicit-def: $vgpr17
	s_cbranch_vccz .LBB158_8
; %bb.7:                                ;   in Loop: Header=BB158_6 Depth=2
	global_load_b32 v17, v[14:15], off
	s_mov_b32 s27, 0
.LBB158_8:                              ;   in Loop: Header=BB158_6 Depth=2
	s_delay_alu instid0(SALU_CYCLE_1)
	s_and_not1_b32 vcc_lo, exec_lo, s27
	s_cbranch_vccnz .LBB158_5
; %bb.9:                                ;   in Loop: Header=BB158_6 Depth=2
	global_load_b32 v16, v[14:15], off
	s_wait_loadcnt 0x0
	v_xor_b32_e32 v17, 0x80000000, v16
	s_branch .LBB158_5
.LBB158_10:                             ;   in Loop: Header=BB158_3 Depth=1
	s_and_b32 vcc_lo, exec_lo, s34
	s_mov_b32 s26, -1
	s_cbranch_vccz .LBB158_16
; %bb.11:                               ;   in Loop: Header=BB158_3 Depth=1
	ds_load_b64 v[14:15], v23
                                        ; implicit-def: $vgpr16_vgpr17
	s_wait_dscnt 0x0
	v_cmp_ngt_f32_e64 s26, |v14|, |v15|
	s_and_saveexec_b32 s27, s26
	s_delay_alu instid0(SALU_CYCLE_1)
	s_xor_b32 s26, exec_lo, s27
	s_cbranch_execz .LBB158_13
; %bb.12:                               ;   in Loop: Header=BB158_3 Depth=1
	v_div_scale_f32 v3, null, v15, v15, v14
	v_div_scale_f32 v18, vcc_lo, v14, v15, v14
	s_delay_alu instid0(VALU_DEP_2) | instskip(SKIP_1) | instid1(TRANS32_DEP_1)
	v_rcp_f32_e32 v16, v3
	v_nop
	v_fma_f32 v17, -v3, v16, 1.0
	s_delay_alu instid0(VALU_DEP_1) | instskip(NEXT) | instid1(VALU_DEP_1)
	v_fmac_f32_e32 v16, v17, v16
	v_mul_f32_e32 v17, v18, v16
	s_delay_alu instid0(VALU_DEP_1) | instskip(NEXT) | instid1(VALU_DEP_1)
	v_fma_f32 v19, -v3, v17, v18
	v_fmac_f32_e32 v17, v19, v16
	s_delay_alu instid0(VALU_DEP_1) | instskip(NEXT) | instid1(VALU_DEP_1)
	v_fma_f32 v3, -v3, v17, v18
	v_div_fmas_f32 v3, v3, v16, v17
	s_delay_alu instid0(VALU_DEP_1) | instskip(NEXT) | instid1(VALU_DEP_1)
	v_div_fixup_f32 v16, v3, v15, v14
	v_fmac_f32_e32 v15, v14, v16
	s_delay_alu instid0(VALU_DEP_1) | instskip(SKIP_1) | instid1(VALU_DEP_2)
	v_div_scale_f32 v3, null, v15, v15, 1.0
	v_div_scale_f32 v18, vcc_lo, 1.0, v15, 1.0
	v_rcp_f32_e32 v14, v3
	v_nop
	s_delay_alu instid0(TRANS32_DEP_1) | instskip(NEXT) | instid1(VALU_DEP_1)
	v_fma_f32 v17, -v3, v14, 1.0
	v_fmac_f32_e32 v14, v17, v14
	s_delay_alu instid0(VALU_DEP_1) | instskip(NEXT) | instid1(VALU_DEP_1)
	v_mul_f32_e32 v17, v18, v14
	v_fma_f32 v19, -v3, v17, v18
	s_delay_alu instid0(VALU_DEP_1) | instskip(NEXT) | instid1(VALU_DEP_1)
	v_fmac_f32_e32 v17, v19, v14
	v_fma_f32 v3, -v3, v17, v18
	s_delay_alu instid0(VALU_DEP_1) | instskip(SKIP_1) | instid1(VALU_DEP_2)
	v_div_fmas_f32 v3, v3, v14, v17
	v_mul_f32_e32 v17, 0, v16
	v_div_fixup_f32 v14, v3, v15, 1.0
	s_delay_alu instid0(VALU_DEP_2) | instskip(NEXT) | instid1(VALU_DEP_1)
	v_pk_add_f32 v[16:17], v[16:17], v[4:5]
	v_pk_mul_f32 v[16:17], v[16:17], v[14:15] op_sel_hi:[1,0]
                                        ; implicit-def: $vgpr14_vgpr15
.LBB158_13:                             ;   in Loop: Header=BB158_3 Depth=1
	s_and_not1_saveexec_b32 s26, s26
	s_cbranch_execz .LBB158_15
; %bb.14:                               ;   in Loop: Header=BB158_3 Depth=1
	v_div_scale_f32 v3, null, v14, v14, v15
	v_div_scale_f32 v18, vcc_lo, v15, v14, v15
	s_delay_alu instid0(VALU_DEP_2) | instskip(SKIP_1) | instid1(TRANS32_DEP_1)
	v_rcp_f32_e32 v16, v3
	v_nop
	v_fma_f32 v17, -v3, v16, 1.0
	s_delay_alu instid0(VALU_DEP_1) | instskip(NEXT) | instid1(VALU_DEP_1)
	v_fmac_f32_e32 v16, v17, v16
	v_mul_f32_e32 v17, v18, v16
	s_delay_alu instid0(VALU_DEP_1) | instskip(NEXT) | instid1(VALU_DEP_1)
	v_fma_f32 v19, -v3, v17, v18
	v_fmac_f32_e32 v17, v19, v16
	s_delay_alu instid0(VALU_DEP_1) | instskip(NEXT) | instid1(VALU_DEP_1)
	v_fma_f32 v3, -v3, v17, v18
	v_div_fmas_f32 v3, v3, v16, v17
	s_delay_alu instid0(VALU_DEP_1) | instskip(NEXT) | instid1(VALU_DEP_1)
	v_div_fixup_f32 v3, v3, v14, v15
	v_fmac_f32_e32 v14, v15, v3
	s_delay_alu instid0(VALU_DEP_1) | instskip(SKIP_1) | instid1(VALU_DEP_2)
	v_div_scale_f32 v15, null, v14, v14, 1.0
	v_div_scale_f32 v18, vcc_lo, 1.0, v14, 1.0
	v_rcp_f32_e32 v16, v15
	v_nop
	s_delay_alu instid0(TRANS32_DEP_1) | instskip(NEXT) | instid1(VALU_DEP_1)
	v_fma_f32 v17, -v15, v16, 1.0
	v_fmac_f32_e32 v16, v17, v16
	s_delay_alu instid0(VALU_DEP_1) | instskip(NEXT) | instid1(VALU_DEP_1)
	v_mul_f32_e32 v17, v18, v16
	v_fma_f32 v19, -v15, v17, v18
	s_delay_alu instid0(VALU_DEP_1) | instskip(NEXT) | instid1(VALU_DEP_1)
	v_fmac_f32_e32 v17, v19, v16
	v_dual_fma_f32 v15, -v15, v17, v18 :: v_dual_mul_f32 v18, 0, v3
	s_delay_alu instid0(VALU_DEP_1) | instskip(NEXT) | instid1(VALU_DEP_2)
	v_div_fmas_f32 v15, v15, v16, v17
	v_dual_add_f32 v16, 1.0, v18 :: v_dual_sub_f32 v17, 0, v3
	s_delay_alu instid0(VALU_DEP_2) | instskip(NEXT) | instid1(VALU_DEP_1)
	v_div_fixup_f32 v14, v15, v14, 1.0
	v_pk_mul_f32 v[16:17], v[16:17], v[14:15] op_sel_hi:[1,0]
.LBB158_15:                             ;   in Loop: Header=BB158_3 Depth=1
	s_or_b32 exec_lo, exec_lo, s26
	s_mov_b32 s26, 0
	ds_store_b64 v23, v[16:17]
.LBB158_16:                             ;   in Loop: Header=BB158_3 Depth=1
	s_and_b32 vcc_lo, exec_lo, s26
	s_cbranch_vccz .LBB158_18
; %bb.17:                               ;   in Loop: Header=BB158_3 Depth=1
	ds_store_b64 v23, v[12:13]
.LBB158_18:                             ;   in Loop: Header=BB158_3 Depth=1
	s_or_b32 exec_lo, exec_lo, s18
	s_mul_u64 s[26:27], s[14:15], s[2:3]
	s_and_saveexec_b32 s42, s36
	s_cbranch_execz .LBB158_26
; %bb.19:                               ;   in Loop: Header=BB158_3 Depth=1
	s_and_not1_b32 vcc_lo, exec_lo, s37
	s_cbranch_vccnz .LBB158_23
; %bb.20:                               ;   in Loop: Header=BB158_3 Depth=1
	s_mul_u64 s[28:29], s[20:21], s[2:3]
	s_mov_b32 s18, 0
	s_lshl_b64 s[28:29], s[28:29], 3
	s_mov_b32 s3, s38
	s_add_nc_u64 s[28:29], s[10:11], s[28:29]
	s_delay_alu instid0(SALU_CYCLE_1)
	v_lshl_add_u64 v[14:15], v[8:9], 3, s[28:29]
	s_mov_b32 s28, 1
.LBB158_21:                             ;   Parent Loop BB158_3 Depth=1
                                        ; =>  This Inner Loop Header: Depth=2
	s_mov_b32 s29, s19
	s_delay_alu instid0(VALU_DEP_1)
	v_lshl_add_u64 v[16:17], s[18:19], 3, v[14:15]
	v_lshl_add_u64 v[18:19], s[28:29], 3, v[14:15]
	v_mad_u32 v3, 0xc0, s18, v22
	v_mad_u32 v28, 0xc0, s28, v22
	s_add_co_i32 s3, s3, -2
	s_clause 0x1
	global_load_b64 v[20:21], v[16:17], off
	global_load_b64 v[24:25], v[18:19], off
	s_wait_xcnt 0x1
	v_mov_b64_e32 v[16:17], s[4:5]
	s_wait_xcnt 0x0
	v_mov_b64_e32 v[18:19], s[16:17]
	s_add_co_i32 s18, s18, 2
	s_add_co_i32 s28, s28, 2
	s_mov_b32 s29, s38
	s_mov_b32 s43, s39
	s_cmp_lg_u32 s3, 0
	s_wait_loadcnt 0x0
	v_dual_mov_b32 v26, v20 :: v_dual_mov_b32 v27, v24
	v_mov_b32_e32 v24, v21
	s_delay_alu instid0(VALU_DEP_1) | instskip(SKIP_1) | instid1(VALU_DEP_2)
	v_pk_mul_f32 v[20:21], v[16:17], v[24:25]
	v_pk_mul_f32 v[24:25], v[18:19], v[24:25]
	v_pk_fma_f32 v[18:19], v[18:19], v[26:27], v[20:21] neg_lo:[0,0,1] neg_hi:[0,0,1]
	s_delay_alu instid0(VALU_DEP_2)
	v_pk_fma_f32 v[16:17], v[16:17], v[26:27], v[24:25]
	ds_store_b32 v3, v18
	ds_store_b32 v28, v19
	ds_store_b32 v3, v16 offset:4
	ds_store_b32 v28, v17 offset:4
	s_cbranch_scc1 .LBB158_21
; %bb.22:                               ;   in Loop: Header=BB158_3 Depth=1
	s_and_b32 vcc_lo, exec_lo, s43
	s_cbranch_vccnz .LBB158_24
	s_branch .LBB158_26
.LBB158_23:                             ;   in Loop: Header=BB158_3 Depth=1
	s_mov_b32 s29, 0
	s_cbranch_execz .LBB158_26
.LBB158_24:                             ;   in Loop: Header=BB158_3 Depth=1
	s_lshl_b32 s18, s29, 3
	v_mad_u32 v3, 0xc0, s29, v22
	s_add_nc_u64 s[44:45], s[26:27], s[18:19]
	s_sub_co_i32 s3, s31, s29
	v_add_nc_u64_e32 v[14:15], s[44:45], v[10:11]
.LBB158_25:                             ;   Parent Loop BB158_3 Depth=1
                                        ; =>  This Inner Loop Header: Depth=2
	global_load_b64 v[16:17], v[14:15], off offset:-4
	v_mov_b64_e32 v[18:19], s[6:7]
	v_mov_b64_e32 v[20:21], s[22:23]
	s_wait_xcnt 0x0
	v_add_nc_u64_e32 v[14:15], 8, v[14:15]
	s_add_co_i32 s3, s3, -1
	s_delay_alu instid0(SALU_CYCLE_1) | instskip(SKIP_2) | instid1(VALU_DEP_1)
	s_cmp_lg_u32 s3, 0
	s_wait_loadcnt 0x0
	v_pk_mul_f32 v[18:19], v[18:19], v[16:17] op_sel:[0,1]
	v_pk_fma_f32 v[24:25], v[20:21], v[16:17], v[18:19] op_sel_hi:[1,0,1]
	v_pk_fma_f32 v[16:17], v[20:21], v[16:17], v[18:19] neg_lo:[0,0,1] neg_hi:[0,0,1]
	s_delay_alu instid0(VALU_DEP_2)
	v_mov_b32_e32 v17, v25
	ds_store_b64 v3, v[16:17]
	v_add_nc_u32_e32 v3, 0xc0, v3
	s_cbranch_scc1 .LBB158_25
.LBB158_26:                             ;   in Loop: Header=BB158_3 Depth=1
	s_or_b32 exec_lo, exec_lo, s42
	s_delay_alu instid0(SALU_CYCLE_1)
	s_and_not1_b32 vcc_lo, exec_lo, s35
	s_mov_b32 s3, -1
	s_wait_dscnt 0x0
	; wave barrier
	s_cbranch_vccnz .LBB158_55
; %bb.27:                               ;   in Loop: Header=BB158_3 Depth=1
	s_mov_b32 s18, 0
	s_mov_b32 s3, 0
	s_branch .LBB158_29
.LBB158_28:                             ;   in Loop: Header=BB158_29 Depth=2
	s_cmp_lt_i32 s3, s31
	s_cselect_b32 s28, -1, 0
	s_add_co_i32 s29, s18, 1
	s_cmp_lt_u32 s18, 2
	s_wait_xcnt 0x0
	s_cselect_b32 s18, -1, 0
	s_delay_alu instid0(SALU_CYCLE_1) | instskip(NEXT) | instid1(SALU_CYCLE_1)
	s_and_b32 s18, s28, s18
	s_and_b32 vcc_lo, exec_lo, s18
	s_mov_b32 s18, s29
	s_cbranch_vccz .LBB158_54
.LBB158_29:                             ;   Parent Loop BB158_3 Depth=1
                                        ; =>  This Loop Header: Depth=2
                                        ;       Child Loop BB158_32 Depth 3
                                        ;         Child Loop BB158_33 Depth 4
                                        ;         Child Loop BB158_37 Depth 4
                                        ;           Child Loop BB158_39 Depth 5
                                        ;           Child Loop BB158_45 Depth 5
                                        ;         Child Loop BB158_48 Depth 4
                                        ;           Child Loop BB158_50 Depth 5
	s_load_b32 s28, s[24:25], s18 offset:0x0 scale_offset
	s_wait_kmcnt 0x0
	s_add_co_i32 s29, s28, -1
	s_delay_alu instid0(SALU_CYCLE_1) | instskip(NEXT) | instid1(SALU_CYCLE_1)
	s_add_co_i32 s42, s29, s3
	s_cmp_ge_i32 s42, s31
	s_cbranch_scc1 .LBB158_28
; %bb.30:                               ;   in Loop: Header=BB158_29 Depth=2
	v_mad_u32 v3, 0xc0, s3, v22
	s_max_i32 s42, s28, 1
	s_cmp_lg_u32 s18, 2
	s_mul_i32 s46, s28, 0xc0
	s_cselect_b32 s43, -1, 0
	s_and_b32 s44, s42, 0x7ffffffe
	s_mul_i32 s47, s3, 0xc8
	s_cmp_lg_u32 s42, s44
	s_mul_i32 s48, s28, 0xc8
	s_cselect_b32 s45, -1, 0
	s_branch .LBB158_32
.LBB158_31:                             ;   in Loop: Header=BB158_32 Depth=3
	s_add_co_i32 s3, s3, s28
	v_add_nc_u32_e32 v3, s46, v3
	s_add_co_i32 s49, s29, s3
	s_add_co_i32 s47, s47, s48
	s_cmp_ge_i32 s49, s31
	s_cbranch_scc1 .LBB158_28
.LBB158_32:                             ;   Parent Loop BB158_3 Depth=1
                                        ;     Parent Loop BB158_29 Depth=2
                                        ; =>    This Loop Header: Depth=3
                                        ;         Child Loop BB158_33 Depth 4
                                        ;         Child Loop BB158_37 Depth 4
                                        ;           Child Loop BB158_39 Depth 5
                                        ;           Child Loop BB158_45 Depth 5
                                        ;         Child Loop BB158_48 Depth 4
                                        ;           Child Loop BB158_50 Depth 5
	s_wait_xcnt 0x0
	v_mov_b32_e32 v14, v3
	s_mov_b32 s49, 0
	s_mov_b32 s50, s42
.LBB158_33:                             ;   Parent Loop BB158_3 Depth=1
                                        ;     Parent Loop BB158_29 Depth=2
                                        ;       Parent Loop BB158_32 Depth=3
                                        ; =>      This Inner Loop Header: Depth=4
	ds_load_b64 v[16:17], v14
	v_add_nc_u32_e32 v14, 0xc0, v14
	s_add_co_i32 s50, s50, -1
	s_wait_dscnt 0x0
	scratch_store_b64 off, v[16:17], s49
	s_wait_xcnt 0x0
	s_add_co_i32 s49, s49, 8
	s_cmp_eq_u32 s50, 0
	s_cbranch_scc0 .LBB158_33
; %bb.34:                               ;   in Loop: Header=BB158_32 Depth=3
	s_cmp_lt_i32 s3, 1
	s_cbranch_scc1 .LBB158_46
; %bb.35:                               ;   in Loop: Header=BB158_32 Depth=3
	s_mov_b32 s49, s3
	s_mov_b32 s50, 0
	;; [unrolled: 1-line block ×3, first 2 shown]
	s_branch .LBB158_37
.LBB158_36:                             ;   in Loop: Header=BB158_37 Depth=4
	s_add_co_i32 s51, s51, 1
	s_add_co_i32 s50, s50, 8
	s_cmp_eq_u32 s51, s3
	s_cbranch_scc1 .LBB158_46
.LBB158_37:                             ;   Parent Loop BB158_3 Depth=1
                                        ;     Parent Loop BB158_29 Depth=2
                                        ;       Parent Loop BB158_32 Depth=3
                                        ; =>      This Loop Header: Depth=4
                                        ;           Child Loop BB158_39 Depth 5
                                        ;           Child Loop BB158_45 Depth 5
	v_mad_u32 v14, 0xc0, s51, v22
	s_and_b32 vcc_lo, exec_lo, s43
	ds_load_b64 v[14:15], v14
	s_cbranch_vccz .LBB158_41
; %bb.38:                               ;   in Loop: Header=BB158_37 Depth=4
	s_wait_dscnt 0x0
	v_dual_mov_b32 v18, v14 :: v_dual_mov_b32 v19, v14
	v_dual_mov_b32 v16, v15 :: v_dual_mov_b32 v20, v15
	v_mov_b32_e32 v21, v15
	s_lshl_b32 s52, s51, 3
	s_mov_b32 s53, 1
	s_mov_b32 s54, 0
	;; [unrolled: 1-line block ×4, first 2 shown]
.LBB158_39:                             ;   Parent Loop BB158_3 Depth=1
                                        ;     Parent Loop BB158_29 Depth=2
                                        ;       Parent Loop BB158_32 Depth=3
                                        ;         Parent Loop BB158_37 Depth=4
                                        ; =>        This Inner Loop Header: Depth=5
	scratch_load_b128 v[24:27], off, s56 offset:-8
	s_add_co_i32 s57, s53, s49
	s_add_co_i32 s58, s54, s3
	s_mulk_i32 s57, 0xc0
	s_mulk_i32 s58, 0xc0
	s_add_co_i32 s57, s52, s57
	s_add_co_i32 s58, s52, s58
	s_delay_alu instid0(SALU_CYCLE_1)
	v_dual_mov_b32 v17, s57 :: v_dual_mov_b32 v30, s58
	s_add_co_i32 s55, s55, -2
	s_add_co_i32 s54, s54, 2
	ds_load_b64 v[28:29], v17
	ds_load_b64 v[30:31], v30
	s_add_co_i32 s53, s53, 2
	s_wait_dscnt 0x0
	v_dual_mov_b32 v33, v28 :: v_dual_mov_b32 v28, v31
	v_mov_b32_e32 v32, v30
	s_delay_alu instid0(VALU_DEP_2) | instskip(SKIP_1) | instid1(VALU_DEP_2)
	v_pk_mul_f32 v[30:31], v[28:29], v[20:21]
	v_pk_mul_f32 v[28:29], v[28:29], v[18:19]
	v_pk_fma_f32 v[30:31], v[32:33], v[18:19], v[30:31] neg_lo:[0,0,1] neg_hi:[0,0,1]
	s_delay_alu instid0(VALU_DEP_2) | instskip(SKIP_3) | instid1(VALU_DEP_2)
	v_pk_fma_f32 v[28:29], v[32:33], v[20:21], v[28:29]
	s_wait_loadcnt 0x0
	v_dual_mov_b32 v32, v24 :: v_dual_mov_b32 v33, v26
	v_mov_b32_e32 v26, v25
	v_pk_add_f32 v[30:31], v[32:33], v[30:31] neg_lo:[0,1] neg_hi:[0,1]
	s_delay_alu instid0(VALU_DEP_2) | instskip(NEXT) | instid1(VALU_DEP_1)
	v_pk_add_f32 v[26:27], v[26:27], v[28:29] neg_lo:[0,1] neg_hi:[0,1]
	v_dual_mov_b32 v24, v30 :: v_dual_mov_b32 v25, v26
	s_delay_alu instid0(VALU_DEP_3)
	v_mov_b32_e32 v26, v31
	scratch_store_b128 off, v[24:27], s56 offset:-8
	s_wait_xcnt 0x0
	s_add_co_i32 s56, s56, 16
	s_cmp_lg_u32 s55, 0
	s_cbranch_scc1 .LBB158_39
; %bb.40:                               ;   in Loop: Header=BB158_37 Depth=4
	s_mov_b32 s52, s45
	s_mov_b32 s53, s44
	s_branch .LBB158_43
.LBB158_41:                             ;   in Loop: Header=BB158_37 Depth=4
	s_wait_dscnt 0x0
	v_mov_b32_e32 v16, v15
	s_mov_b32 s52, 0
	s_mov_b32 s53, s44
	s_cbranch_execz .LBB158_43
; %bb.42:                               ;   in Loop: Header=BB158_37 Depth=4
	s_mov_b32 s52, -1
	s_mov_b32 s53, 0
.LBB158_43:                             ;   in Loop: Header=BB158_37 Depth=4
	s_and_not1_b32 vcc_lo, exec_lo, s52
	s_cbranch_vccnz .LBB158_36
; %bb.44:                               ;   in Loop: Header=BB158_37 Depth=4
	s_add_co_i32 s54, s3, s53
	v_dual_mov_b32 v17, v15 :: v_dual_mov_b32 v15, v14
	s_mulk_i32 s54, 0xc0
	s_lshl_b32 s55, s53, 3
	s_sub_co_i32 s52, s42, s53
	s_add_co_i32 s53, s50, s54
	s_mov_b32 s54, s55
.LBB158_45:                             ;   Parent Loop BB158_3 Depth=1
                                        ;     Parent Loop BB158_29 Depth=2
                                        ;       Parent Loop BB158_32 Depth=3
                                        ;         Parent Loop BB158_37 Depth=4
                                        ; =>        This Inner Loop Header: Depth=5
	scratch_load_b64 v[18:19], off, s54
	v_mov_b32_e32 v20, s53
	s_add_co_i32 s52, s52, -1
	s_addk_co_i32 s53, 0xc0
	ds_load_b64 v[20:21], v20
	s_wait_dscnt 0x0
	v_pk_mul_f32 v[24:25], v[20:21], v[16:17] op_sel:[1,0] op_sel_hi:[0,1]
	s_delay_alu instid0(VALU_DEP_1) | instskip(SKIP_1) | instid1(VALU_DEP_2)
	v_pk_fma_f32 v[26:27], v[20:21], v[14:15], v[24:25]
	v_pk_fma_f32 v[20:21], v[20:21], v[14:15], v[24:25] neg_lo:[0,0,1] neg_hi:[0,0,1]
	v_mov_b32_e32 v21, v27
	s_wait_loadcnt 0x0
	s_delay_alu instid0(VALU_DEP_1)
	v_pk_add_f32 v[18:19], v[18:19], v[20:21] neg_lo:[0,1] neg_hi:[0,1]
	scratch_store_b64 off, v[18:19], s54
	s_wait_xcnt 0x0
	s_add_co_i32 s54, s54, 8
	s_cmp_eq_u32 s52, 0
	s_cbranch_scc0 .LBB158_45
	s_branch .LBB158_36
.LBB158_46:                             ;   in Loop: Header=BB158_32 Depth=3
	s_mul_i32 s49, s3, 0xc0
	s_mov_b32 s50, 0
	s_mov_b32 s51, s47
	s_branch .LBB158_48
.LBB158_47:                             ;   in Loop: Header=BB158_48 Depth=4
	s_wait_xcnt 0x0
	s_mulk_i32 s53, 0xc8
	s_addk_co_i32 s51, 0xc0
	v_mov_b32_e32 v15, s53
	s_lshl_b32 s53, s50, 3
	s_add_co_i32 s50, s50, 1
	s_delay_alu instid0(SALU_CYCLE_1) | instskip(SKIP_3) | instid1(VALU_DEP_1)
	s_cmp_eq_u32 s50, s42
	ds_load_b64 v[18:19], v15
	s_wait_dscnt 0x0
	v_pk_mul_f32 v[16:17], v[18:19], v[16:17] op_sel:[1,0] op_sel_hi:[0,0]
	v_pk_fma_f32 v[20:21], v[18:19], v[14:15], v[16:17] op_sel_hi:[1,0,1]
	v_add_nc_u32_e32 v20, s52, v22
	v_pk_fma_f32 v[14:15], v[18:19], v[14:15], v[16:17] neg_lo:[0,0,1] neg_hi:[0,0,1]
	s_delay_alu instid0(VALU_DEP_3)
	v_mov_b32_e32 v15, v21
	scratch_store_b64 off, v[14:15], s53
	ds_store_b64 v20, v[14:15]
	s_cbranch_scc1 .LBB158_31
.LBB158_48:                             ;   Parent Loop BB158_3 Depth=1
                                        ;     Parent Loop BB158_29 Depth=2
                                        ;       Parent Loop BB158_32 Depth=3
                                        ; =>      This Loop Header: Depth=4
                                        ;           Child Loop BB158_50 Depth 5
	s_cmp_lg_u32 s50, 0
	s_cbranch_scc0 .LBB158_52
; %bb.49:                               ;   in Loop: Header=BB158_48 Depth=4
	s_lshl_b32 s52, s50, 3
	s_wait_xcnt 0x0
	s_mov_b32 s53, 0
	scratch_load_b64 v[14:15], off, s52
	s_mov_b32 s54, s51
	s_mov_b32 s55, s50
.LBB158_50:                             ;   Parent Loop BB158_3 Depth=1
                                        ;     Parent Loop BB158_29 Depth=2
                                        ;       Parent Loop BB158_32 Depth=3
                                        ;         Parent Loop BB158_48 Depth=4
                                        ; =>        This Inner Loop Header: Depth=5
	scratch_load_b64 v[16:17], off, s53
	v_mov_b32_e32 v18, s54
	s_add_co_i32 s55, s55, -1
	s_wait_xcnt 0x0
	s_add_co_i32 s53, s53, 8
	s_add_co_i32 s54, s54, 8
	s_cmp_eq_u32 s55, 0
	ds_load_b64 v[18:19], v18
	s_wait_loadcnt_dscnt 0x0
	v_pk_mul_f32 v[20:21], v[18:19], v[16:17] op_sel:[1,1] op_sel_hi:[0,1]
	s_delay_alu instid0(VALU_DEP_1) | instskip(SKIP_1) | instid1(VALU_DEP_2)
	v_pk_fma_f32 v[24:25], v[18:19], v[16:17], v[20:21] op_sel_hi:[1,0,1]
	v_pk_fma_f32 v[16:17], v[18:19], v[16:17], v[20:21] neg_lo:[0,0,1] neg_hi:[0,0,1]
	v_mov_b32_e32 v17, v25
	s_delay_alu instid0(VALU_DEP_1)
	v_pk_add_f32 v[14:15], v[14:15], v[16:17] neg_lo:[0,1] neg_hi:[0,1]
	scratch_store_b64 off, v[14:15], s52
	s_cbranch_scc0 .LBB158_50
; %bb.51:                               ;   in Loop: Header=BB158_48 Depth=4
	v_mov_b32_e32 v16, v15
	s_add_co_i32 s53, s50, s3
	s_wait_xcnt 0x0
	s_mul_i32 s52, s53, 0xc0
	s_branch .LBB158_47
.LBB158_52:                             ;   in Loop: Header=BB158_48 Depth=4
                                        ; implicit-def: $vgpr14
                                        ; implicit-def: $vgpr16
                                        ; implicit-def: $sgpr53
                                        ; implicit-def: $sgpr52
	s_cbranch_execz .LBB158_47
; %bb.53:                               ;   in Loop: Header=BB158_48 Depth=4
	scratch_load_b64 v[14:15], off, off
	s_mov_b32 s52, s49
	s_mov_b32 s53, s3
	s_wait_loadcnt 0x0
	v_mov_b32_e32 v16, v15
	s_branch .LBB158_47
.LBB158_54:                             ;   in Loop: Header=BB158_3 Depth=1
	s_mov_b32 s3, 0
.LBB158_55:                             ;   in Loop: Header=BB158_3 Depth=1
	s_delay_alu instid0(SALU_CYCLE_1)
	s_and_b32 vcc_lo, exec_lo, s3
	s_cbranch_vccz .LBB158_83
; %bb.56:                               ;   in Loop: Header=BB158_3 Depth=1
	s_mov_b32 s18, 0
	s_mov_b32 s3, s33
	s_branch .LBB158_58
.LBB158_57:                             ;   in Loop: Header=BB158_58 Depth=2
	s_cmp_gt_i32 s3, -1
	s_cselect_b32 s28, -1, 0
	s_add_co_i32 s29, s18, 1
	s_cmp_lt_u32 s18, 2
	s_cselect_b32 s18, -1, 0
	s_delay_alu instid0(SALU_CYCLE_1) | instskip(NEXT) | instid1(SALU_CYCLE_1)
	s_and_b32 s18, s28, s18
	s_and_not1_b32 vcc_lo, exec_lo, s18
	s_mov_b32 s18, s29
	s_cbranch_vccnz .LBB158_83
.LBB158_58:                             ;   Parent Loop BB158_3 Depth=1
                                        ; =>  This Loop Header: Depth=2
                                        ;       Child Loop BB158_61 Depth 3
                                        ;         Child Loop BB158_62 Depth 4
                                        ;         Child Loop BB158_66 Depth 4
                                        ;           Child Loop BB158_68 Depth 5
                                        ;           Child Loop BB158_74 Depth 5
                                        ;         Child Loop BB158_77 Depth 4
                                        ;           Child Loop BB158_79 Depth 5
	s_load_b32 s28, s[24:25], s18 offset:0x0 scale_offset
	s_wait_kmcnt 0x0
	s_add_co_i32 s29, s28, -1
	s_delay_alu instid0(SALU_CYCLE_1)
	s_cmp_lt_i32 s3, s29
	s_cbranch_scc1 .LBB158_57
; %bb.59:                               ;   in Loop: Header=BB158_58 Depth=2
	s_max_i32 s42, s28, 1
	v_mad_u32 v3, 0xc0, s3, v22
	s_cmp_lg_u32 s18, 2
	s_mul_i32 s45, s28, 0xffffff40
	s_cselect_b32 s43, -1, 0
	s_and_b32 s44, s42, 0x7ffffffe
	s_mul_i32 s49, s3, 0xc8
	s_cmp_lg_u32 s42, s44
	s_mul_i32 s50, s28, 0xffffff38
	s_cselect_b32 s46, -1, 0
	s_lshl_b32 s47, s3, 3
	s_lshl_b32 s48, s28, 3
	s_add_co_i32 s47, s41, s47
	s_sub_co_i32 s48, 0, s48
	s_branch .LBB158_61
.LBB158_60:                             ;   in Loop: Header=BB158_61 Depth=3
	v_add_nc_u32_e32 v3, s45, v3
	s_sub_co_i32 s3, s3, s28
	s_add_co_i32 s47, s47, s48
	s_add_co_i32 s49, s49, s50
	s_cmp_lt_i32 s3, s29
	s_cbranch_scc1 .LBB158_57
.LBB158_61:                             ;   Parent Loop BB158_3 Depth=1
                                        ;     Parent Loop BB158_58 Depth=2
                                        ; =>    This Loop Header: Depth=3
                                        ;         Child Loop BB158_62 Depth 4
                                        ;         Child Loop BB158_66 Depth 4
                                        ;           Child Loop BB158_68 Depth 5
                                        ;           Child Loop BB158_74 Depth 5
                                        ;         Child Loop BB158_77 Depth 4
                                        ;           Child Loop BB158_79 Depth 5
	s_wait_xcnt 0x0
	v_mov_b32_e32 v14, v3
	s_mov_b32 s51, 0
	s_mov_b32 s52, s42
.LBB158_62:                             ;   Parent Loop BB158_3 Depth=1
                                        ;     Parent Loop BB158_58 Depth=2
                                        ;       Parent Loop BB158_61 Depth=3
                                        ; =>      This Inner Loop Header: Depth=4
	ds_load_b64 v[16:17], v14
	v_add_nc_u32_e32 v14, 0xffffff40, v14
	s_add_co_i32 s52, s52, -1
	s_wait_dscnt 0x0
	scratch_store_b64 off, v[16:17], s51
	s_wait_xcnt 0x0
	s_add_co_i32 s51, s51, 8
	s_cmp_eq_u32 s52, 0
	s_cbranch_scc0 .LBB158_62
; %bb.63:                               ;   in Loop: Header=BB158_61 Depth=3
	s_cmp_le_i32 s33, s3
	s_cbranch_scc1 .LBB158_75
; %bb.64:                               ;   in Loop: Header=BB158_61 Depth=3
	s_mov_b32 s51, s3
	s_mov_b32 s52, s47
	s_mov_b32 s53, s33
	s_branch .LBB158_66
.LBB158_65:                             ;   in Loop: Header=BB158_66 Depth=4
	s_add_co_i32 s53, s53, -1
	s_addk_co_i32 s52, 0xff40
	s_cmp_le_i32 s53, s3
	s_cbranch_scc1 .LBB158_75
.LBB158_66:                             ;   Parent Loop BB158_3 Depth=1
                                        ;     Parent Loop BB158_58 Depth=2
                                        ;       Parent Loop BB158_61 Depth=3
                                        ; =>      This Loop Header: Depth=4
                                        ;           Child Loop BB158_68 Depth 5
                                        ;           Child Loop BB158_74 Depth 5
	s_mul_i32 s54, s53, 24
	s_and_b32 vcc_lo, exec_lo, s43
	v_lshl_add_u32 v14, s54, 3, v22
	ds_load_b64 v[14:15], v14
	s_cbranch_vccz .LBB158_70
; %bb.67:                               ;   in Loop: Header=BB158_66 Depth=4
	s_wait_dscnt 0x0
	v_dual_mov_b32 v18, v14 :: v_dual_mov_b32 v19, v14
	v_dual_mov_b32 v16, v15 :: v_dual_mov_b32 v20, v15
	v_mov_b32_e32 v21, v15
	s_lshl_b32 s54, s54, 3
	s_mov_b32 s55, 1
	s_mov_b32 s56, 0
	;; [unrolled: 1-line block ×4, first 2 shown]
.LBB158_68:                             ;   Parent Loop BB158_3 Depth=1
                                        ;     Parent Loop BB158_58 Depth=2
                                        ;       Parent Loop BB158_61 Depth=3
                                        ;         Parent Loop BB158_66 Depth=4
                                        ; =>        This Inner Loop Header: Depth=5
	scratch_load_b128 v[24:27], off, s58 offset:-8
	s_sub_co_i32 s59, s51, s55
	s_sub_co_i32 s60, s3, s56
	s_lshl_b32 s59, s59, 3
	s_lshl_b32 s60, s60, 3
	s_add_co_i32 s59, s54, s59
	s_add_co_i32 s60, s54, s60
	s_delay_alu instid0(SALU_CYCLE_1)
	v_dual_mov_b32 v17, s59 :: v_dual_mov_b32 v30, s60
	s_add_co_i32 s57, s57, -2
	s_add_co_i32 s56, s56, 2
	ds_load_b64 v[28:29], v17
	ds_load_b64 v[30:31], v30
	s_add_co_i32 s55, s55, 2
	s_wait_dscnt 0x0
	v_dual_mov_b32 v33, v28 :: v_dual_mov_b32 v28, v31
	v_mov_b32_e32 v32, v30
	s_delay_alu instid0(VALU_DEP_2) | instskip(SKIP_1) | instid1(VALU_DEP_2)
	v_pk_mul_f32 v[30:31], v[28:29], v[20:21]
	v_pk_mul_f32 v[28:29], v[28:29], v[18:19]
	v_pk_fma_f32 v[30:31], v[32:33], v[18:19], v[30:31] neg_lo:[0,0,1] neg_hi:[0,0,1]
	s_delay_alu instid0(VALU_DEP_2) | instskip(SKIP_3) | instid1(VALU_DEP_2)
	v_pk_fma_f32 v[28:29], v[32:33], v[20:21], v[28:29]
	s_wait_loadcnt 0x0
	v_dual_mov_b32 v32, v24 :: v_dual_mov_b32 v33, v26
	v_mov_b32_e32 v26, v25
	v_pk_add_f32 v[30:31], v[32:33], v[30:31] neg_lo:[0,1] neg_hi:[0,1]
	s_delay_alu instid0(VALU_DEP_2) | instskip(NEXT) | instid1(VALU_DEP_1)
	v_pk_add_f32 v[26:27], v[26:27], v[28:29] neg_lo:[0,1] neg_hi:[0,1]
	v_dual_mov_b32 v24, v30 :: v_dual_mov_b32 v25, v26
	s_delay_alu instid0(VALU_DEP_3)
	v_mov_b32_e32 v26, v31
	scratch_store_b128 off, v[24:27], s58 offset:-8
	s_wait_xcnt 0x0
	s_add_co_i32 s58, s58, 16
	s_cmp_lg_u32 s57, 0
	s_cbranch_scc1 .LBB158_68
; %bb.69:                               ;   in Loop: Header=BB158_66 Depth=4
	s_mov_b32 s54, s46
	s_mov_b32 s55, s44
	s_branch .LBB158_72
.LBB158_70:                             ;   in Loop: Header=BB158_66 Depth=4
	s_wait_dscnt 0x0
	v_mov_b32_e32 v16, v15
	s_mov_b32 s54, 0
	s_mov_b32 s55, s44
	s_cbranch_execz .LBB158_72
; %bb.71:                               ;   in Loop: Header=BB158_66 Depth=4
	s_mov_b32 s54, -1
	s_mov_b32 s55, 0
.LBB158_72:                             ;   in Loop: Header=BB158_66 Depth=4
	s_and_not1_b32 vcc_lo, exec_lo, s54
	s_cbranch_vccnz .LBB158_65
; %bb.73:                               ;   in Loop: Header=BB158_66 Depth=4
	v_dual_mov_b32 v17, v15 :: v_dual_mov_b32 v15, v14
	s_lshl_b32 s56, s55, 3
	s_sub_co_i32 s54, s42, s55
	s_sub_co_i32 s55, s52, s56
.LBB158_74:                             ;   Parent Loop BB158_3 Depth=1
                                        ;     Parent Loop BB158_58 Depth=2
                                        ;       Parent Loop BB158_61 Depth=3
                                        ;         Parent Loop BB158_66 Depth=4
                                        ; =>        This Inner Loop Header: Depth=5
	scratch_load_b64 v[18:19], off, s56
	v_mov_b32_e32 v20, s55
	s_add_co_i32 s54, s54, -1
	s_add_co_i32 s55, s55, -8
	ds_load_b64 v[20:21], v20
	s_wait_dscnt 0x0
	v_pk_mul_f32 v[24:25], v[20:21], v[16:17] op_sel:[1,0] op_sel_hi:[0,1]
	s_delay_alu instid0(VALU_DEP_1) | instskip(SKIP_1) | instid1(VALU_DEP_2)
	v_pk_fma_f32 v[26:27], v[20:21], v[14:15], v[24:25]
	v_pk_fma_f32 v[20:21], v[20:21], v[14:15], v[24:25] neg_lo:[0,0,1] neg_hi:[0,0,1]
	v_mov_b32_e32 v21, v27
	s_wait_loadcnt 0x0
	s_delay_alu instid0(VALU_DEP_1)
	v_pk_add_f32 v[18:19], v[18:19], v[20:21] neg_lo:[0,1] neg_hi:[0,1]
	scratch_store_b64 off, v[18:19], s56
	s_wait_xcnt 0x0
	s_add_co_i32 s56, s56, 8
	s_cmp_eq_u32 s54, 0
	s_cbranch_scc0 .LBB158_74
	s_branch .LBB158_65
.LBB158_75:                             ;   in Loop: Header=BB158_61 Depth=3
	s_mov_b32 s51, 0
	s_mov_b32 s52, s49
	s_branch .LBB158_77
.LBB158_76:                             ;   in Loop: Header=BB158_77 Depth=4
	s_mul_i32 s54, s53, 0xc8
	v_mad_u32 v24, 0xc0, s53, v22
	s_wait_xcnt 0x0
	v_mov_b32_e32 v15, s54
	s_lshl_b32 s53, s51, 3
	s_add_co_i32 s51, s51, 1
	s_add_co_i32 s52, s52, -8
	s_cmp_eq_u32 s51, s42
	ds_load_b64 v[18:19], v15
	s_wait_dscnt 0x0
	v_pk_mul_f32 v[16:17], v[18:19], v[16:17] op_sel:[1,0] op_sel_hi:[0,0]
	s_delay_alu instid0(VALU_DEP_1) | instskip(SKIP_1) | instid1(VALU_DEP_2)
	v_pk_fma_f32 v[20:21], v[18:19], v[14:15], v[16:17] op_sel_hi:[1,0,1]
	v_pk_fma_f32 v[14:15], v[18:19], v[14:15], v[16:17] neg_lo:[0,0,1] neg_hi:[0,0,1]
	v_mov_b32_e32 v15, v21
	scratch_store_b64 off, v[14:15], s53
	ds_store_b64 v24, v[14:15]
	s_cbranch_scc1 .LBB158_60
.LBB158_77:                             ;   Parent Loop BB158_3 Depth=1
                                        ;     Parent Loop BB158_58 Depth=2
                                        ;       Parent Loop BB158_61 Depth=3
                                        ; =>      This Loop Header: Depth=4
                                        ;           Child Loop BB158_79 Depth 5
	s_cmp_lg_u32 s51, 0
	s_cbranch_scc0 .LBB158_81
; %bb.78:                               ;   in Loop: Header=BB158_77 Depth=4
	s_wait_xcnt 0x0
	s_lshl_b32 s53, s51, 3
	s_mov_b32 s54, 0
	scratch_load_b64 v[14:15], off, s53
	s_mov_b32 s55, s52
	s_mov_b32 s56, s51
.LBB158_79:                             ;   Parent Loop BB158_3 Depth=1
                                        ;     Parent Loop BB158_58 Depth=2
                                        ;       Parent Loop BB158_61 Depth=3
                                        ;         Parent Loop BB158_77 Depth=4
                                        ; =>        This Inner Loop Header: Depth=5
	scratch_load_b64 v[16:17], off, s54
	v_mov_b32_e32 v18, s55
	s_add_co_i32 s56, s56, -1
	s_addk_co_i32 s55, 0xff40
	s_wait_xcnt 0x0
	s_add_co_i32 s54, s54, 8
	s_cmp_eq_u32 s56, 0
	ds_load_b64 v[18:19], v18
	s_wait_loadcnt_dscnt 0x0
	v_pk_mul_f32 v[20:21], v[18:19], v[16:17] op_sel:[1,1] op_sel_hi:[0,1]
	s_delay_alu instid0(VALU_DEP_1) | instskip(SKIP_1) | instid1(VALU_DEP_2)
	v_pk_fma_f32 v[24:25], v[18:19], v[16:17], v[20:21] op_sel_hi:[1,0,1]
	v_pk_fma_f32 v[16:17], v[18:19], v[16:17], v[20:21] neg_lo:[0,0,1] neg_hi:[0,0,1]
	v_mov_b32_e32 v17, v25
	s_delay_alu instid0(VALU_DEP_1)
	v_pk_add_f32 v[14:15], v[14:15], v[16:17] neg_lo:[0,1] neg_hi:[0,1]
	scratch_store_b64 off, v[14:15], s53
	s_cbranch_scc0 .LBB158_79
; %bb.80:                               ;   in Loop: Header=BB158_77 Depth=4
	v_mov_b32_e32 v16, v15
	s_wait_xcnt 0x0
	s_sub_co_i32 s53, s3, s51
	s_branch .LBB158_76
.LBB158_81:                             ;   in Loop: Header=BB158_77 Depth=4
                                        ; implicit-def: $vgpr14
                                        ; implicit-def: $vgpr16
                                        ; implicit-def: $sgpr53
	s_cbranch_execz .LBB158_76
; %bb.82:                               ;   in Loop: Header=BB158_77 Depth=4
	scratch_load_b64 v[14:15], off, off
	s_mov_b32 s53, s3
	s_wait_loadcnt 0x0
	v_mov_b32_e32 v16, v15
	s_branch .LBB158_76
.LBB158_83:                             ;   in Loop: Header=BB158_3 Depth=1
	; wave barrier
	s_wait_storecnt_dscnt 0x0
	s_wait_xcnt 0x0
	s_and_saveexec_b32 s3, s36
	s_cbranch_execz .LBB158_2
; %bb.84:                               ;   in Loop: Header=BB158_3 Depth=1
	v_add_nc_u64_e32 v[14:15], s[26:27], v[6:7]
	v_mov_b32_e32 v3, v22
	s_mov_b32 s18, s31
.LBB158_85:                             ;   Parent Loop BB158_3 Depth=1
                                        ; =>  This Inner Loop Header: Depth=2
	ds_load_b64 v[16:17], v3
	v_add_nc_u32_e32 v3, 0xc0, v3
	s_add_co_i32 s18, s18, -1
	s_delay_alu instid0(SALU_CYCLE_1)
	s_cmp_lg_u32 s18, 0
	s_wait_dscnt 0x0
	global_store_b64 v[14:15], v[16:17], off
	s_wait_xcnt 0x0
	v_add_nc_u64_e32 v[14:15], 8, v[14:15]
	s_cbranch_scc1 .LBB158_85
	s_branch .LBB158_2
.LBB158_86:
	s_endpgm
	.section	.rodata,"a",@progbits
	.p2align	6, 0x0
	.amdhsa_kernel _ZL38rocblas_trsm_small_left_device_sharedBILi24ELi24ELb0E19rocblas_complex_numIfES1_PKS1_PS1_Ev13rocblas_fill_18rocblas_operation_17rocblas_diagonal_iiT3_T4_lilT5_lili
		.amdhsa_group_segment_fixed_size 9216
		.amdhsa_private_segment_fixed_size 208
		.amdhsa_kernarg_size 360
		.amdhsa_user_sgpr_count 2
		.amdhsa_user_sgpr_dispatch_ptr 0
		.amdhsa_user_sgpr_queue_ptr 0
		.amdhsa_user_sgpr_kernarg_segment_ptr 1
		.amdhsa_user_sgpr_dispatch_id 0
		.amdhsa_user_sgpr_kernarg_preload_length 0
		.amdhsa_user_sgpr_kernarg_preload_offset 0
		.amdhsa_user_sgpr_private_segment_size 0
		.amdhsa_wavefront_size32 1
		.amdhsa_uses_dynamic_stack 0
		.amdhsa_enable_private_segment 1
		.amdhsa_system_sgpr_workgroup_id_x 1
		.amdhsa_system_sgpr_workgroup_id_y 0
		.amdhsa_system_sgpr_workgroup_id_z 1
		.amdhsa_system_sgpr_workgroup_info 0
		.amdhsa_system_vgpr_workitem_id 0
		.amdhsa_next_free_vgpr 97
		.amdhsa_next_free_sgpr 61
		.amdhsa_named_barrier_count 0
		.amdhsa_reserve_vcc 1
		.amdhsa_float_round_mode_32 0
		.amdhsa_float_round_mode_16_64 0
		.amdhsa_float_denorm_mode_32 3
		.amdhsa_float_denorm_mode_16_64 3
		.amdhsa_fp16_overflow 0
		.amdhsa_memory_ordered 1
		.amdhsa_forward_progress 1
		.amdhsa_inst_pref_size 32
		.amdhsa_round_robin_scheduling 0
		.amdhsa_exception_fp_ieee_invalid_op 0
		.amdhsa_exception_fp_denorm_src 0
		.amdhsa_exception_fp_ieee_div_zero 0
		.amdhsa_exception_fp_ieee_overflow 0
		.amdhsa_exception_fp_ieee_underflow 0
		.amdhsa_exception_fp_ieee_inexact 0
		.amdhsa_exception_int_div_zero 0
	.end_amdhsa_kernel
	.section	.text._ZL38rocblas_trsm_small_left_device_sharedBILi24ELi24ELb0E19rocblas_complex_numIfES1_PKS1_PS1_Ev13rocblas_fill_18rocblas_operation_17rocblas_diagonal_iiT3_T4_lilT5_lili,"axG",@progbits,_ZL38rocblas_trsm_small_left_device_sharedBILi24ELi24ELb0E19rocblas_complex_numIfES1_PKS1_PS1_Ev13rocblas_fill_18rocblas_operation_17rocblas_diagonal_iiT3_T4_lilT5_lili,comdat
.Lfunc_end158:
	.size	_ZL38rocblas_trsm_small_left_device_sharedBILi24ELi24ELb0E19rocblas_complex_numIfES1_PKS1_PS1_Ev13rocblas_fill_18rocblas_operation_17rocblas_diagonal_iiT3_T4_lilT5_lili, .Lfunc_end158-_ZL38rocblas_trsm_small_left_device_sharedBILi24ELi24ELb0E19rocblas_complex_numIfES1_PKS1_PS1_Ev13rocblas_fill_18rocblas_operation_17rocblas_diagonal_iiT3_T4_lilT5_lili
                                        ; -- End function
	.set _ZL38rocblas_trsm_small_left_device_sharedBILi24ELi24ELb0E19rocblas_complex_numIfES1_PKS1_PS1_Ev13rocblas_fill_18rocblas_operation_17rocblas_diagonal_iiT3_T4_lilT5_lili.num_vgpr, 34
	.set _ZL38rocblas_trsm_small_left_device_sharedBILi24ELi24ELb0E19rocblas_complex_numIfES1_PKS1_PS1_Ev13rocblas_fill_18rocblas_operation_17rocblas_diagonal_iiT3_T4_lilT5_lili.num_agpr, 0
	.set _ZL38rocblas_trsm_small_left_device_sharedBILi24ELi24ELb0E19rocblas_complex_numIfES1_PKS1_PS1_Ev13rocblas_fill_18rocblas_operation_17rocblas_diagonal_iiT3_T4_lilT5_lili.numbered_sgpr, 61
	.set _ZL38rocblas_trsm_small_left_device_sharedBILi24ELi24ELb0E19rocblas_complex_numIfES1_PKS1_PS1_Ev13rocblas_fill_18rocblas_operation_17rocblas_diagonal_iiT3_T4_lilT5_lili.num_named_barrier, 0
	.set _ZL38rocblas_trsm_small_left_device_sharedBILi24ELi24ELb0E19rocblas_complex_numIfES1_PKS1_PS1_Ev13rocblas_fill_18rocblas_operation_17rocblas_diagonal_iiT3_T4_lilT5_lili.private_seg_size, 208
	.set _ZL38rocblas_trsm_small_left_device_sharedBILi24ELi24ELb0E19rocblas_complex_numIfES1_PKS1_PS1_Ev13rocblas_fill_18rocblas_operation_17rocblas_diagonal_iiT3_T4_lilT5_lili.uses_vcc, 1
	.set _ZL38rocblas_trsm_small_left_device_sharedBILi24ELi24ELb0E19rocblas_complex_numIfES1_PKS1_PS1_Ev13rocblas_fill_18rocblas_operation_17rocblas_diagonal_iiT3_T4_lilT5_lili.uses_flat_scratch, 0
	.set _ZL38rocblas_trsm_small_left_device_sharedBILi24ELi24ELb0E19rocblas_complex_numIfES1_PKS1_PS1_Ev13rocblas_fill_18rocblas_operation_17rocblas_diagonal_iiT3_T4_lilT5_lili.has_dyn_sized_stack, 0
	.set _ZL38rocblas_trsm_small_left_device_sharedBILi24ELi24ELb0E19rocblas_complex_numIfES1_PKS1_PS1_Ev13rocblas_fill_18rocblas_operation_17rocblas_diagonal_iiT3_T4_lilT5_lili.has_recursion, 0
	.set _ZL38rocblas_trsm_small_left_device_sharedBILi24ELi24ELb0E19rocblas_complex_numIfES1_PKS1_PS1_Ev13rocblas_fill_18rocblas_operation_17rocblas_diagonal_iiT3_T4_lilT5_lili.has_indirect_call, 0
	.section	.AMDGPU.csdata,"",@progbits
; Kernel info:
; codeLenInByte = 3976
; TotalNumSgprs: 63
; NumVgprs: 34
; ScratchSize: 208
; MemoryBound: 0
; FloatMode: 240
; IeeeMode: 1
; LDSByteSize: 9216 bytes/workgroup (compile time only)
; SGPRBlocks: 0
; VGPRBlocks: 6
; NumSGPRsForWavesPerEU: 63
; NumVGPRsForWavesPerEU: 97
; NamedBarCnt: 0
; Occupancy: 9
; WaveLimiterHint : 0
; COMPUTE_PGM_RSRC2:SCRATCH_EN: 1
; COMPUTE_PGM_RSRC2:USER_SGPR: 2
; COMPUTE_PGM_RSRC2:TRAP_HANDLER: 0
; COMPUTE_PGM_RSRC2:TGID_X_EN: 1
; COMPUTE_PGM_RSRC2:TGID_Y_EN: 0
; COMPUTE_PGM_RSRC2:TGID_Z_EN: 1
; COMPUTE_PGM_RSRC2:TIDIG_COMP_CNT: 0
	.section	.text._ZL30rocblas_trsm_small_left_deviceILi24ELi24ELb0E19rocblas_complex_numIfES1_PKS1_PS1_Ev13rocblas_fill_18rocblas_operation_17rocblas_diagonal_iiT3_T4_lilT5_lili,"axG",@progbits,_ZL30rocblas_trsm_small_left_deviceILi24ELi24ELb0E19rocblas_complex_numIfES1_PKS1_PS1_Ev13rocblas_fill_18rocblas_operation_17rocblas_diagonal_iiT3_T4_lilT5_lili,comdat
	.globl	_ZL30rocblas_trsm_small_left_deviceILi24ELi24ELb0E19rocblas_complex_numIfES1_PKS1_PS1_Ev13rocblas_fill_18rocblas_operation_17rocblas_diagonal_iiT3_T4_lilT5_lili ; -- Begin function _ZL30rocblas_trsm_small_left_deviceILi24ELi24ELb0E19rocblas_complex_numIfES1_PKS1_PS1_Ev13rocblas_fill_18rocblas_operation_17rocblas_diagonal_iiT3_T4_lilT5_lili
	.p2align	8
	.type	_ZL30rocblas_trsm_small_left_deviceILi24ELi24ELb0E19rocblas_complex_numIfES1_PKS1_PS1_Ev13rocblas_fill_18rocblas_operation_17rocblas_diagonal_iiT3_T4_lilT5_lili,@function
_ZL30rocblas_trsm_small_left_deviceILi24ELi24ELb0E19rocblas_complex_numIfES1_PKS1_PS1_Ev13rocblas_fill_18rocblas_operation_17rocblas_diagonal_iiT3_T4_lilT5_lili: ; @_ZL30rocblas_trsm_small_left_deviceILi24ELi24ELb0E19rocblas_complex_numIfES1_PKS1_PS1_Ev13rocblas_fill_18rocblas_operation_17rocblas_diagonal_iiT3_T4_lilT5_lili
; %bb.0:
	s_load_b32 s33, s[0:1], 0x60
	s_bfe_u32 s2, ttmp6, 0x40014
	s_lshr_b32 s4, ttmp7, 16
	s_add_co_i32 s2, s2, 1
	s_bfe_u32 s5, ttmp6, 0x40008
	s_mul_i32 s2, s4, s2
	s_getreg_b32 s3, hwreg(HW_REG_IB_STS2, 6, 4)
	s_add_co_i32 s5, s5, s2
	s_cmp_eq_u32 s3, 0
	s_mov_b32 s17, 0
	s_cselect_b32 s2, s4, s5
	s_wait_kmcnt 0x0
	s_cmp_ge_u32 s2, s33
	s_cbranch_scc1 .LBB159_88
; %bb.1:
	s_clause 0x4
	s_load_b32 s26, s[0:1], 0x30
	s_load_b96 s[8:10], s[0:1], 0x48
	s_load_b128 s[4:7], s[0:1], 0x4
	s_load_b32 s12, s[0:1], 0x68
	s_load_b64 s[18:19], s[0:1], 0x14
	v_mul_u32_u24_e32 v12, 0xc0, v0
	v_mov_b64_e32 v[4:5], 0xbf80000000000000
	v_mov_b64_e32 v[10:11], 0x3f800000
	s_mov_b32 s41, 0
                                        ; implicit-def: $sgpr42
                                        ; implicit-def: $sgpr43
	s_wait_kmcnt 0x0
	s_ashr_i32 s27, s26, 31
	s_ashr_i32 s11, s10, 31
	s_cmp_lg_u32 s4, 0x71
	s_cselect_b32 s34, -1, 0
	s_min_i32 s35, s6, 24
	s_bfe_u32 s6, ttmp6, 0x4000c
	s_lshl_b64 s[28:29], s[8:9], 3
	s_add_co_i32 s6, s6, 1
	s_and_b32 s8, ttmp6, 15
	s_mul_i32 s6, ttmp9, s6
	s_add_co_i32 s16, s12, -1
	s_add_co_i32 s36, s35, -1
	s_add_co_i32 s8, s8, s6
	s_cmp_eq_u32 s3, 0
	s_mul_i32 s40, s35, 0xc0
	s_cselect_b32 s3, ttmp9, s8
	s_mov_b32 s22, s18
	v_mad_u32 v2, s3, 24, v0
	s_mov_b32 s23, s18
	s_mov_b32 s6, s19
	;; [unrolled: 1-line block ×4, first 2 shown]
	s_delay_alu instid0(VALU_DEP_1) | instskip(NEXT) | instid1(VALU_DEP_1)
	v_ashrrev_i32_e32 v3, 31, v2
	v_mul_u64_e32 v[6:7], s[10:11], v[2:3]
	s_clause 0x2
	s_load_b128 s[12:15], s[0:1], 0x20
	s_load_b128 s[8:11], s[0:1], 0x38
	s_load_b64 s[20:21], s[0:1], 0x58
	s_wait_xcnt 0x0
	s_mul_i32 s0, s3, 0xffffffe8
	v_lshlrev_b32_e32 v2, 3, v0
	s_add_co_i32 s0, s7, s0
	s_cmp_ge_u32 s3, s16
	v_mov_b32_e32 v3, 0
	s_cselect_b32 s3, s0, 24
	s_cmp_lg_u32 s5, 0x84
	s_mov_b32 s7, s19
	s_cselect_b32 s37, -1, 0
	s_cmp_lg_u32 s4, 0x6f
	s_cselect_b32 s38, -1, 0
	s_or_b32 s39, 0, 8
	s_addk_co_i32 s40, 0xff40
	s_wait_kmcnt 0x0
	s_lshl_b64 s[0:1], s[14:15], 3
	s_add_nc_u64 s[4:5], s[10:11], s[28:29]
	s_add_nc_u64 s[10:11], s[12:13], s[0:1]
	v_cmp_gt_i32_e64 s0, s35, v0
	v_add_nc_u64_e32 v[8:9], s[10:11], v[2:3]
	v_cmp_gt_i32_e64 s1, s3, v0
	v_add_nc_u32_e32 v3, v2, v12
	s_lshl_b64 s[12:13], s[20:21], 3
	s_get_pc_i64 s[10:11]
	s_add_nc_u64 s[10:11], s[10:11], __const._ZL30rocblas_trsm_small_left_deviceILi24ELi24ELb0E19rocblas_complex_numIfES1_PKS1_PS1_Ev13rocblas_fill_18rocblas_operation_17rocblas_diagonal_iiT3_T4_lilT5_lili.step_sizes@rel64+4
	v_lshl_add_u64 v[0:1], v[6:7], 3, s[4:5]
	v_add_nc_u64_e32 v[6:7], 4, v[8:9]
	s_lshl_b64 s[4:5], s[8:9], 3
	s_lshl_b64 s[8:9], s[26:27], 3
	s_delay_alu instid0(VALU_DEP_2)
	v_add_nc_u64_e32 v[8:9], 4, v[0:1]
	s_branch .LBB159_4
.LBB159_2:                              ;   in Loop: Header=BB159_4 Depth=1
	s_add_co_i32 s2, s2, 0x10000
	s_delay_alu instid0(SALU_CYCLE_1)
	s_cmp_ge_u32 s2, s33
	s_cselect_b32 s3, -1, 0
	s_and_not1_b32 s43, s43, exec_lo
	s_or_not1_b32 s14, s3, exec_lo
.LBB159_3:                              ;   in Loop: Header=BB159_4 Depth=1
	s_wait_xcnt 0x0
	s_or_b32 exec_lo, exec_lo, s44
	s_delay_alu instid0(SALU_CYCLE_1) | instskip(NEXT) | instid1(SALU_CYCLE_1)
	s_and_b32 s3, exec_lo, s14
	s_or_b32 s41, s3, s41
	s_and_not1_b32 s3, s42, exec_lo
	s_and_b32 s14, s43, exec_lo
	s_delay_alu instid0(SALU_CYCLE_1)
	s_or_b32 s42, s3, s14
	s_and_not1_b32 exec_lo, exec_lo, s41
	s_cbranch_execz .LBB159_87
.LBB159_4:                              ; =>This Loop Header: Depth=1
                                        ;     Child Loop BB159_7 Depth 2
                                        ;     Child Loop BB159_23 Depth 2
                                        ;       Child Loop BB159_26 Depth 3
                                        ;         Child Loop BB159_28 Depth 4
                                        ;         Child Loop BB159_32 Depth 4
	;; [unrolled: 1-line block ×3, first 2 shown]
                                        ;           Child Loop BB159_38 Depth 5
                                        ;           Child Loop BB159_44 Depth 5
                                        ;         Child Loop BB159_47 Depth 4
                                        ;           Child Loop BB159_49 Depth 5
                                        ;     Child Loop BB159_57 Depth 2
                                        ;       Child Loop BB159_60 Depth 3
                                        ;         Child Loop BB159_62 Depth 4
                                        ;         Child Loop BB159_66 Depth 4
                                        ;         Child Loop BB159_70 Depth 4
                                        ;           Child Loop BB159_72 Depth 5
                                        ;           Child Loop BB159_78 Depth 5
                                        ;         Child Loop BB159_81 Depth 4
                                        ;           Child Loop BB159_83 Depth 5
	s_mov_b32 s3, s17
	s_and_saveexec_b32 s14, s0
	s_cbranch_execz .LBB159_19
; %bb.5:                                ;   in Loop: Header=BB159_4 Depth=1
	v_mad_nc_u64_u32 v[12:13], s4, s2, v[6:7]
	v_mov_b32_e32 v16, v2
	s_mov_b32 s15, s35
	s_delay_alu instid0(VALU_DEP_2)
	v_mad_u32 v13, s5, s2, v13
	s_branch .LBB159_7
.LBB159_6:                              ;   in Loop: Header=BB159_7 Depth=2
	global_load_b32 v14, v[12:13], off offset:-4
	s_wait_xcnt 0x0
	v_add_nc_u64_e32 v[12:13], s[8:9], v[12:13]
	s_add_co_i32 s15, s15, -1
	s_delay_alu instid0(SALU_CYCLE_1)
	s_cmp_eq_u32 s15, 0
	s_wait_loadcnt 0x0
	ds_store_b64 v16, v[14:15]
	v_add_nc_u32_e32 v16, 0xc0, v16
	s_cbranch_scc1 .LBB159_11
.LBB159_7:                              ;   Parent Loop BB159_4 Depth=1
                                        ; =>  This Inner Loop Header: Depth=2
	s_and_b32 vcc_lo, exec_lo, s34
	s_mov_b32 s16, -1
                                        ; implicit-def: $vgpr15
	s_cbranch_vccz .LBB159_9
; %bb.8:                                ;   in Loop: Header=BB159_7 Depth=2
	global_load_b32 v15, v[12:13], off
	s_mov_b32 s16, 0
.LBB159_9:                              ;   in Loop: Header=BB159_7 Depth=2
	s_delay_alu instid0(SALU_CYCLE_1)
	s_and_not1_b32 vcc_lo, exec_lo, s16
	s_cbranch_vccnz .LBB159_6
; %bb.10:                               ;   in Loop: Header=BB159_7 Depth=2
	global_load_b32 v14, v[12:13], off
	s_wait_loadcnt 0x0
	v_xor_b32_e32 v15, 0x80000000, v14
	s_branch .LBB159_6
.LBB159_11:                             ;   in Loop: Header=BB159_4 Depth=1
	s_and_b32 vcc_lo, exec_lo, s37
	s_mov_b32 s15, -1
	s_cbranch_vccz .LBB159_17
; %bb.12:                               ;   in Loop: Header=BB159_4 Depth=1
	ds_load_b64 v[12:13], v3
                                        ; implicit-def: $vgpr14_vgpr15
	s_wait_dscnt 0x0
	v_cmp_ngt_f32_e64 s15, |v12|, |v13|
	s_and_saveexec_b32 s16, s15
	s_delay_alu instid0(SALU_CYCLE_1)
	s_xor_b32 s15, exec_lo, s16
	s_cbranch_execz .LBB159_14
; %bb.13:                               ;   in Loop: Header=BB159_4 Depth=1
	v_div_scale_f32 v14, null, v13, v13, v12
	v_div_scale_f32 v17, vcc_lo, v12, v13, v12
	s_delay_alu instid0(VALU_DEP_2) | instskip(SKIP_1) | instid1(TRANS32_DEP_1)
	v_rcp_f32_e32 v15, v14
	v_nop
	v_fma_f32 v16, -v14, v15, 1.0
	s_delay_alu instid0(VALU_DEP_1) | instskip(NEXT) | instid1(VALU_DEP_1)
	v_fmac_f32_e32 v15, v16, v15
	v_mul_f32_e32 v16, v17, v15
	s_delay_alu instid0(VALU_DEP_1) | instskip(NEXT) | instid1(VALU_DEP_1)
	v_fma_f32 v18, -v14, v16, v17
	v_fmac_f32_e32 v16, v18, v15
	s_delay_alu instid0(VALU_DEP_1) | instskip(NEXT) | instid1(VALU_DEP_1)
	v_fma_f32 v14, -v14, v16, v17
	v_div_fmas_f32 v14, v14, v15, v16
	s_delay_alu instid0(VALU_DEP_1) | instskip(NEXT) | instid1(VALU_DEP_1)
	v_div_fixup_f32 v14, v14, v13, v12
	v_fmac_f32_e32 v13, v12, v14
	s_delay_alu instid0(VALU_DEP_1) | instskip(SKIP_1) | instid1(VALU_DEP_2)
	v_div_scale_f32 v12, null, v13, v13, 1.0
	v_div_scale_f32 v17, vcc_lo, 1.0, v13, 1.0
	v_rcp_f32_e32 v15, v12
	v_nop
	s_delay_alu instid0(TRANS32_DEP_1) | instskip(NEXT) | instid1(VALU_DEP_1)
	v_fma_f32 v16, -v12, v15, 1.0
	v_fmac_f32_e32 v15, v16, v15
	s_delay_alu instid0(VALU_DEP_1) | instskip(NEXT) | instid1(VALU_DEP_1)
	v_mul_f32_e32 v16, v17, v15
	v_fma_f32 v18, -v12, v16, v17
	s_delay_alu instid0(VALU_DEP_1) | instskip(NEXT) | instid1(VALU_DEP_1)
	v_fmac_f32_e32 v16, v18, v15
	v_fma_f32 v12, -v12, v16, v17
	s_delay_alu instid0(VALU_DEP_1) | instskip(SKIP_1) | instid1(VALU_DEP_2)
	v_div_fmas_f32 v12, v12, v15, v16
	v_mul_f32_e32 v15, 0, v14
	v_div_fixup_f32 v12, v12, v13, 1.0
	s_delay_alu instid0(VALU_DEP_2) | instskip(NEXT) | instid1(VALU_DEP_1)
	v_pk_add_f32 v[14:15], v[14:15], v[4:5]
	v_pk_mul_f32 v[14:15], v[14:15], v[12:13] op_sel_hi:[1,0]
                                        ; implicit-def: $vgpr12_vgpr13
.LBB159_14:                             ;   in Loop: Header=BB159_4 Depth=1
	s_and_not1_saveexec_b32 s15, s15
	s_cbranch_execz .LBB159_16
; %bb.15:                               ;   in Loop: Header=BB159_4 Depth=1
	v_div_scale_f32 v14, null, v12, v12, v13
	v_div_scale_f32 v17, vcc_lo, v13, v12, v13
	s_delay_alu instid0(VALU_DEP_2) | instskip(SKIP_1) | instid1(TRANS32_DEP_1)
	v_rcp_f32_e32 v15, v14
	v_nop
	v_fma_f32 v16, -v14, v15, 1.0
	s_delay_alu instid0(VALU_DEP_1) | instskip(NEXT) | instid1(VALU_DEP_1)
	v_fmac_f32_e32 v15, v16, v15
	v_mul_f32_e32 v16, v17, v15
	s_delay_alu instid0(VALU_DEP_1) | instskip(NEXT) | instid1(VALU_DEP_1)
	v_fma_f32 v18, -v14, v16, v17
	v_fmac_f32_e32 v16, v18, v15
	s_delay_alu instid0(VALU_DEP_1) | instskip(NEXT) | instid1(VALU_DEP_1)
	v_fma_f32 v14, -v14, v16, v17
	v_div_fmas_f32 v14, v14, v15, v16
	s_delay_alu instid0(VALU_DEP_1) | instskip(NEXT) | instid1(VALU_DEP_1)
	v_div_fixup_f32 v15, v14, v12, v13
	v_fmac_f32_e32 v12, v13, v15
	s_delay_alu instid0(VALU_DEP_1) | instskip(SKIP_1) | instid1(VALU_DEP_2)
	v_div_scale_f32 v13, null, v12, v12, 1.0
	v_div_scale_f32 v17, vcc_lo, 1.0, v12, 1.0
	v_rcp_f32_e32 v14, v13
	v_nop
	s_delay_alu instid0(TRANS32_DEP_1) | instskip(NEXT) | instid1(VALU_DEP_1)
	v_fma_f32 v16, -v13, v14, 1.0
	v_fmac_f32_e32 v14, v16, v14
	s_delay_alu instid0(VALU_DEP_1) | instskip(NEXT) | instid1(VALU_DEP_1)
	v_mul_f32_e32 v16, v17, v14
	v_fma_f32 v18, -v13, v16, v17
	s_delay_alu instid0(VALU_DEP_1) | instskip(NEXT) | instid1(VALU_DEP_1)
	v_fmac_f32_e32 v16, v18, v14
	v_dual_fma_f32 v13, -v13, v16, v17 :: v_dual_mul_f32 v17, 0, v15
	v_sub_f32_e32 v15, 0, v15
	s_delay_alu instid0(VALU_DEP_2) | instskip(NEXT) | instid1(VALU_DEP_3)
	v_div_fmas_f32 v13, v13, v14, v16
	v_add_f32_e32 v14, 1.0, v17
	s_delay_alu instid0(VALU_DEP_2) | instskip(NEXT) | instid1(VALU_DEP_1)
	v_div_fixup_f32 v12, v13, v12, 1.0
	v_pk_mul_f32 v[14:15], v[14:15], v[12:13] op_sel_hi:[1,0]
.LBB159_16:                             ;   in Loop: Header=BB159_4 Depth=1
	s_or_b32 exec_lo, exec_lo, s15
	s_mov_b32 s15, 0
	ds_store_b64 v3, v[14:15]
.LBB159_17:                             ;   in Loop: Header=BB159_4 Depth=1
	s_and_b32 vcc_lo, exec_lo, s15
	s_cbranch_vccz .LBB159_19
; %bb.18:                               ;   in Loop: Header=BB159_4 Depth=1
	ds_store_b64 v3, v[10:11]
.LBB159_19:                             ;   in Loop: Header=BB159_4 Depth=1
	s_or_b32 exec_lo, exec_lo, s14
	s_mov_b32 s14, -1
	s_or_b32 s43, s43, exec_lo
	s_wait_dscnt 0x0
	; wave barrier
	s_and_saveexec_b32 s44, s1
	s_cbranch_execz .LBB159_3
; %bb.20:                               ;   in Loop: Header=BB159_4 Depth=1
	s_mul_u64 s[14:15], s[20:21], s[2:3]
	s_and_not1_b32 vcc_lo, exec_lo, s38
	v_lshl_add_u64 v[12:13], s[14:15], 3, v[0:1]
	s_mul_u64 s[14:15], s[12:13], s[2:3]
	s_mov_b32 s3, -1
	s_cbranch_vccnz .LBB159_54
; %bb.21:                               ;   in Loop: Header=BB159_4 Depth=1
	v_add_nc_u64_e32 v[14:15], s[14:15], v[8:9]
	s_mov_b32 s3, 0
	s_mov_b32 s26, 0
	s_branch .LBB159_23
.LBB159_22:                             ;   in Loop: Header=BB159_23 Depth=2
	s_cmp_lt_i32 s26, s35
	s_cselect_b32 s16, -1, 0
	s_add_co_i32 s27, s3, 1
	s_cmp_lt_u32 s3, 2
	s_wait_xcnt 0x0
	s_cselect_b32 s3, -1, 0
	s_delay_alu instid0(SALU_CYCLE_1) | instskip(NEXT) | instid1(SALU_CYCLE_1)
	s_and_b32 s3, s16, s3
	s_and_b32 vcc_lo, exec_lo, s3
	s_mov_b32 s3, s27
	s_cbranch_vccz .LBB159_53
.LBB159_23:                             ;   Parent Loop BB159_4 Depth=1
                                        ; =>  This Loop Header: Depth=2
                                        ;       Child Loop BB159_26 Depth 3
                                        ;         Child Loop BB159_28 Depth 4
                                        ;         Child Loop BB159_32 Depth 4
	;; [unrolled: 1-line block ×3, first 2 shown]
                                        ;           Child Loop BB159_38 Depth 5
                                        ;           Child Loop BB159_44 Depth 5
                                        ;         Child Loop BB159_47 Depth 4
                                        ;           Child Loop BB159_49 Depth 5
	s_load_b32 s28, s[10:11], s3 offset:0x0 scale_offset
	s_wait_kmcnt 0x0
	s_add_co_i32 s45, s28, -1
	s_delay_alu instid0(SALU_CYCLE_1) | instskip(NEXT) | instid1(SALU_CYCLE_1)
	s_add_co_i32 s16, s45, s26
	s_cmp_ge_i32 s16, s35
	s_cbranch_scc1 .LBB159_22
; %bb.24:                               ;   in Loop: Header=BB159_23 Depth=2
	s_max_i32 s46, s28, 1
	s_cmp_lg_u32 s3, 2
	s_mul_i32 s50, s26, 0xc8
	s_cselect_b32 s47, -1, 0
	s_and_b32 s48, s46, 0x7ffffffe
	s_mul_i32 s51, s28, 0xc8
	s_cmp_lg_u32 s46, s48
	s_cselect_b32 s49, -1, 0
	s_ashr_i32 s27, s26, 31
	s_ashr_i32 s29, s28, 31
	s_branch .LBB159_26
.LBB159_25:                             ;   in Loop: Header=BB159_26 Depth=3
	s_add_nc_u64 s[26:27], s[26:27], s[28:29]
	s_add_co_i32 s50, s50, s51
	s_add_co_i32 s16, s45, s26
	s_delay_alu instid0(SALU_CYCLE_1)
	s_cmp_ge_i32 s16, s35
	s_cbranch_scc1 .LBB159_22
.LBB159_26:                             ;   Parent Loop BB159_4 Depth=1
                                        ;     Parent Loop BB159_23 Depth=2
                                        ; =>    This Loop Header: Depth=3
                                        ;         Child Loop BB159_28 Depth 4
                                        ;         Child Loop BB159_32 Depth 4
	;; [unrolled: 1-line block ×3, first 2 shown]
                                        ;           Child Loop BB159_38 Depth 5
                                        ;           Child Loop BB159_44 Depth 5
                                        ;         Child Loop BB159_47 Depth 4
                                        ;           Child Loop BB159_49 Depth 5
	s_and_not1_b32 vcc_lo, exec_lo, s47
	s_cbranch_vccnz .LBB159_30
; %bb.27:                               ;   in Loop: Header=BB159_26 Depth=3
	s_mov_b32 s30, s26
	s_mov_b32 s31, s26
	;; [unrolled: 1-line block ×3, first 2 shown]
	s_wait_xcnt 0x0
	s_mov_b32 s53, 0
	s_mov_b32 s54, s48
	;; [unrolled: 1-line block ×3, first 2 shown]
.LBB159_28:                             ;   Parent Loop BB159_4 Depth=1
                                        ;     Parent Loop BB159_23 Depth=2
                                        ;       Parent Loop BB159_26 Depth=3
                                        ; =>      This Inner Loop Header: Depth=4
	s_add_co_i32 s56, s52, s31
	s_add_co_i32 s58, s53, s30
	s_ashr_i32 s57, s56, 31
	s_ashr_i32 s59, s58, 31
	v_lshl_add_u64 v[16:17], s[56:57], 3, v[12:13]
	v_lshl_add_u64 v[18:19], s[58:59], 3, v[12:13]
	v_mov_b64_e32 v[20:21], s[6:7]
	v_mov_b64_e32 v[22:23], s[22:23]
	s_add_co_i32 s54, s54, -2
	s_clause 0x1
	global_load_b64 v[16:17], v[16:17], off
	global_load_b64 v[18:19], v[18:19], off
	s_add_co_i32 s53, s53, 2
	s_add_co_i32 s52, s52, 2
	s_mov_b32 s16, s48
	s_mov_b32 s56, s49
	s_wait_loadcnt 0x0
	s_wait_xcnt 0x1
	v_dual_mov_b32 v25, v16 :: v_dual_mov_b32 v16, v19
	v_mov_b32_e32 v24, v18
	s_wait_xcnt 0x0
	s_delay_alu instid0(VALU_DEP_2) | instskip(SKIP_1) | instid1(VALU_DEP_2)
	v_pk_mul_f32 v[18:19], v[16:17], v[20:21]
	v_pk_mul_f32 v[16:17], v[16:17], v[22:23]
	v_pk_fma_f32 v[22:23], v[24:25], v[22:23], v[18:19] neg_lo:[0,0,1] neg_hi:[0,0,1]
	s_delay_alu instid0(VALU_DEP_2) | instskip(NEXT) | instid1(VALU_DEP_1)
	v_pk_fma_f32 v[18:19], v[24:25], v[20:21], v[16:17]
	v_dual_mov_b32 v16, v22 :: v_dual_mov_b32 v17, v18
	s_delay_alu instid0(VALU_DEP_3)
	v_mov_b32_e32 v18, v23
	scratch_store_b128 off, v[16:19], s55 offset:-8
	s_wait_xcnt 0x0
	s_add_co_i32 s55, s55, 16
	s_cmp_lg_u32 s54, 0
	s_cbranch_scc1 .LBB159_28
; %bb.29:                               ;   in Loop: Header=BB159_26 Depth=3
	s_and_b32 vcc_lo, exec_lo, s56
	s_cbranch_vccnz .LBB159_31
	s_branch .LBB159_33
.LBB159_30:                             ;   in Loop: Header=BB159_26 Depth=3
	s_mov_b32 s16, 0
	s_cbranch_execz .LBB159_33
.LBB159_31:                             ;   in Loop: Header=BB159_26 Depth=3
	s_add_nc_u64 s[30:31], s[26:27], s[16:17]
	s_wait_xcnt 0x0
	v_lshl_add_u64 v[16:17], s[30:31], 3, v[14:15]
	s_lshl_b32 s30, s16, 3
	s_sub_co_i32 s16, s46, s16
.LBB159_32:                             ;   Parent Loop BB159_4 Depth=1
                                        ;     Parent Loop BB159_23 Depth=2
                                        ;       Parent Loop BB159_26 Depth=3
                                        ; =>      This Inner Loop Header: Depth=4
	global_load_b64 v[18:19], v[16:17], off offset:-4
	v_mov_b64_e32 v[20:21], s[24:25]
	v_mov_b64_e32 v[22:23], s[18:19]
	s_wait_xcnt 0x0
	v_add_nc_u64_e32 v[16:17], 8, v[16:17]
	s_add_co_i32 s16, s16, -1
	s_wait_loadcnt 0x0
	s_delay_alu instid0(VALU_DEP_3) | instskip(NEXT) | instid1(VALU_DEP_1)
	v_pk_mul_f32 v[20:21], v[18:19], v[20:21] op_sel:[1,0]
	v_pk_fma_f32 v[24:25], v[18:19], v[22:23], v[20:21] op_sel_hi:[0,1,1]
	v_pk_fma_f32 v[18:19], v[18:19], v[22:23], v[20:21] neg_lo:[0,0,1] neg_hi:[0,0,1]
	s_delay_alu instid0(VALU_DEP_2)
	v_mov_b32_e32 v19, v25
	scratch_store_b64 off, v[18:19], s30
	s_wait_xcnt 0x0
	s_add_co_i32 s30, s30, 8
	s_cmp_eq_u32 s16, 0
	s_cbranch_scc0 .LBB159_32
.LBB159_33:                             ;   in Loop: Header=BB159_26 Depth=3
	s_cmp_lt_i32 s26, 1
	s_cbranch_scc1 .LBB159_45
; %bb.34:                               ;   in Loop: Header=BB159_26 Depth=3
	s_mov_b32 s31, 0
	s_mov_b32 s30, s26
	;; [unrolled: 1-line block ×4, first 2 shown]
	s_branch .LBB159_36
.LBB159_35:                             ;   in Loop: Header=BB159_36 Depth=4
	s_add_co_i32 s16, s16, 1
	s_add_co_i32 s31, s31, 8
	s_cmp_eq_u32 s16, s26
	s_cbranch_scc1 .LBB159_45
.LBB159_36:                             ;   Parent Loop BB159_4 Depth=1
                                        ;     Parent Loop BB159_23 Depth=2
                                        ;       Parent Loop BB159_26 Depth=3
                                        ; =>      This Loop Header: Depth=4
                                        ;           Child Loop BB159_38 Depth 5
                                        ;           Child Loop BB159_44 Depth 5
	s_wait_xcnt 0x0
	v_lshl_add_u64 v[16:17], s[16:17], 3, v[12:13]
	s_and_b32 vcc_lo, exec_lo, s47
	global_load_b64 v[16:17], v[16:17], off
	s_cbranch_vccz .LBB159_40
; %bb.37:                               ;   in Loop: Header=BB159_36 Depth=4
	s_wait_loadcnt 0x0
	v_dual_mov_b32 v20, v16 :: v_dual_mov_b32 v21, v16
	v_dual_mov_b32 v18, v17 :: v_dual_mov_b32 v22, v17
	v_mov_b32_e32 v23, v17
	s_lshl_b32 s53, s16, 3
	s_mov_b32 s54, 1
	s_mov_b32 s55, 0
	;; [unrolled: 1-line block ×4, first 2 shown]
.LBB159_38:                             ;   Parent Loop BB159_4 Depth=1
                                        ;     Parent Loop BB159_23 Depth=2
                                        ;       Parent Loop BB159_26 Depth=3
                                        ;         Parent Loop BB159_36 Depth=4
                                        ; =>        This Inner Loop Header: Depth=5
	scratch_load_b128 v[24:27], off, s57 offset:-8
	s_add_co_i32 s58, s54, s52
	s_add_co_i32 s59, s55, s30
	s_mulk_i32 s58, 0xc0
	s_mulk_i32 s59, 0xc0
	s_add_co_i32 s58, s53, s58
	s_add_co_i32 s59, s53, s59
	s_delay_alu instid0(SALU_CYCLE_1)
	v_dual_mov_b32 v19, s58 :: v_dual_mov_b32 v30, s59
	s_add_co_i32 s56, s56, -2
	s_add_co_i32 s55, s55, 2
	ds_load_b64 v[28:29], v19
	ds_load_b64 v[30:31], v30
	s_add_co_i32 s54, s54, 2
	s_wait_dscnt 0x0
	v_dual_mov_b32 v33, v28 :: v_dual_mov_b32 v28, v31
	v_mov_b32_e32 v32, v30
	s_delay_alu instid0(VALU_DEP_2) | instskip(SKIP_1) | instid1(VALU_DEP_2)
	v_pk_mul_f32 v[30:31], v[28:29], v[22:23]
	v_pk_mul_f32 v[28:29], v[28:29], v[20:21]
	v_pk_fma_f32 v[30:31], v[32:33], v[20:21], v[30:31] neg_lo:[0,0,1] neg_hi:[0,0,1]
	s_delay_alu instid0(VALU_DEP_2) | instskip(SKIP_3) | instid1(VALU_DEP_2)
	v_pk_fma_f32 v[28:29], v[32:33], v[22:23], v[28:29]
	s_wait_loadcnt 0x0
	v_dual_mov_b32 v32, v24 :: v_dual_mov_b32 v33, v26
	v_mov_b32_e32 v26, v25
	v_pk_add_f32 v[30:31], v[32:33], v[30:31] neg_lo:[0,1] neg_hi:[0,1]
	s_delay_alu instid0(VALU_DEP_2) | instskip(NEXT) | instid1(VALU_DEP_1)
	v_pk_add_f32 v[26:27], v[26:27], v[28:29] neg_lo:[0,1] neg_hi:[0,1]
	v_dual_mov_b32 v24, v30 :: v_dual_mov_b32 v25, v26
	s_delay_alu instid0(VALU_DEP_3)
	v_mov_b32_e32 v26, v31
	scratch_store_b128 off, v[24:27], s57 offset:-8
	s_wait_xcnt 0x0
	s_add_co_i32 s57, s57, 16
	s_cmp_lg_u32 s56, 0
	s_cbranch_scc1 .LBB159_38
; %bb.39:                               ;   in Loop: Header=BB159_36 Depth=4
	s_mov_b32 s53, s49
	s_mov_b32 s54, s48
	s_branch .LBB159_42
.LBB159_40:                             ;   in Loop: Header=BB159_36 Depth=4
	s_wait_loadcnt 0x0
	v_mov_b32_e32 v18, v17
	s_mov_b32 s53, 0
	s_mov_b32 s54, s48
	s_cbranch_execz .LBB159_42
; %bb.41:                               ;   in Loop: Header=BB159_36 Depth=4
	s_mov_b32 s53, -1
	s_mov_b32 s54, 0
.LBB159_42:                             ;   in Loop: Header=BB159_36 Depth=4
	s_and_not1_b32 vcc_lo, exec_lo, s53
	s_cbranch_vccnz .LBB159_35
; %bb.43:                               ;   in Loop: Header=BB159_36 Depth=4
	s_add_co_i32 s55, s26, s54
	s_wait_xcnt 0x0
	v_dual_mov_b32 v19, v17 :: v_dual_mov_b32 v17, v16
	s_mulk_i32 s55, 0xc0
	s_lshl_b32 s56, s54, 3
	s_sub_co_i32 s53, s46, s54
	s_add_co_i32 s54, s31, s55
	s_mov_b32 s55, s56
.LBB159_44:                             ;   Parent Loop BB159_4 Depth=1
                                        ;     Parent Loop BB159_23 Depth=2
                                        ;       Parent Loop BB159_26 Depth=3
                                        ;         Parent Loop BB159_36 Depth=4
                                        ; =>        This Inner Loop Header: Depth=5
	scratch_load_b64 v[20:21], off, s55
	v_mov_b32_e32 v22, s54
	s_add_co_i32 s53, s53, -1
	s_addk_co_i32 s54, 0xc0
	ds_load_b64 v[22:23], v22
	s_wait_dscnt 0x0
	v_pk_mul_f32 v[24:25], v[22:23], v[18:19] op_sel:[1,0] op_sel_hi:[0,1]
	s_delay_alu instid0(VALU_DEP_1) | instskip(SKIP_1) | instid1(VALU_DEP_2)
	v_pk_fma_f32 v[26:27], v[22:23], v[16:17], v[24:25]
	v_pk_fma_f32 v[22:23], v[22:23], v[16:17], v[24:25] neg_lo:[0,0,1] neg_hi:[0,0,1]
	v_mov_b32_e32 v23, v27
	s_wait_loadcnt 0x0
	s_delay_alu instid0(VALU_DEP_1)
	v_pk_add_f32 v[20:21], v[20:21], v[22:23] neg_lo:[0,1] neg_hi:[0,1]
	scratch_store_b64 off, v[20:21], s55
	s_wait_xcnt 0x0
	s_add_co_i32 s55, s55, 8
	s_cmp_eq_u32 s53, 0
	s_cbranch_scc0 .LBB159_44
	s_branch .LBB159_35
.LBB159_45:                             ;   in Loop: Header=BB159_26 Depth=3
	s_mov_b32 s16, 0
	s_mov_b32 s52, s50
	s_branch .LBB159_47
.LBB159_46:                             ;   in Loop: Header=BB159_47 Depth=4
	s_mul_i32 s31, s30, 0xc8
	s_wait_xcnt 0x0
	s_lshl_b32 s53, s16, 3
	s_wait_xcnt 0x0
	v_mov_b32_e32 v17, s31
	s_ashr_i32 s31, s30, 31
	s_add_co_i32 s16, s16, 1
	s_addk_co_i32 s52, 0xc0
	s_cmp_eq_u32 s16, s46
	ds_load_b64 v[20:21], v17
	s_wait_dscnt 0x0
	v_pk_mul_f32 v[18:19], v[20:21], v[18:19] op_sel:[1,0] op_sel_hi:[0,0]
	s_delay_alu instid0(VALU_DEP_1) | instskip(SKIP_2) | instid1(VALU_DEP_3)
	v_pk_fma_f32 v[22:23], v[20:21], v[16:17], v[18:19] op_sel_hi:[1,0,1]
	v_pk_fma_f32 v[16:17], v[20:21], v[16:17], v[18:19] neg_lo:[0,0,1] neg_hi:[0,0,1]
	v_lshl_add_u64 v[18:19], s[30:31], 3, v[12:13]
	v_mov_b32_e32 v17, v23
	scratch_store_b64 off, v[16:17], s53
	global_store_b64 v[18:19], v[16:17], off
	s_cbranch_scc1 .LBB159_25
.LBB159_47:                             ;   Parent Loop BB159_4 Depth=1
                                        ;     Parent Loop BB159_23 Depth=2
                                        ;       Parent Loop BB159_26 Depth=3
                                        ; =>      This Loop Header: Depth=4
                                        ;           Child Loop BB159_49 Depth 5
	s_cmp_lg_u32 s16, 0
	s_cbranch_scc0 .LBB159_51
; %bb.48:                               ;   in Loop: Header=BB159_47 Depth=4
	s_lshl_b32 s30, s16, 3
	s_mov_b32 s31, 0
	scratch_load_b64 v[16:17], off, s30
	s_mov_b32 s53, s52
	s_mov_b32 s54, s16
.LBB159_49:                             ;   Parent Loop BB159_4 Depth=1
                                        ;     Parent Loop BB159_23 Depth=2
                                        ;       Parent Loop BB159_26 Depth=3
                                        ;         Parent Loop BB159_47 Depth=4
                                        ; =>        This Inner Loop Header: Depth=5
	scratch_load_b64 v[18:19], off, s31
	v_mov_b32_e32 v20, s53
	s_add_co_i32 s54, s54, -1
	s_wait_xcnt 0x0
	s_add_co_i32 s31, s31, 8
	s_add_co_i32 s53, s53, 8
	s_cmp_eq_u32 s54, 0
	ds_load_b64 v[20:21], v20
	s_wait_loadcnt_dscnt 0x0
	v_pk_mul_f32 v[22:23], v[20:21], v[18:19] op_sel:[1,1] op_sel_hi:[0,1]
	s_delay_alu instid0(VALU_DEP_1) | instskip(SKIP_1) | instid1(VALU_DEP_2)
	v_pk_fma_f32 v[24:25], v[20:21], v[18:19], v[22:23] op_sel_hi:[1,0,1]
	v_pk_fma_f32 v[18:19], v[20:21], v[18:19], v[22:23] neg_lo:[0,0,1] neg_hi:[0,0,1]
	v_mov_b32_e32 v19, v25
	s_delay_alu instid0(VALU_DEP_1)
	v_pk_add_f32 v[16:17], v[16:17], v[18:19] neg_lo:[0,1] neg_hi:[0,1]
	scratch_store_b64 off, v[16:17], s30
	s_cbranch_scc0 .LBB159_49
; %bb.50:                               ;   in Loop: Header=BB159_47 Depth=4
	v_mov_b32_e32 v18, v17
	s_wait_xcnt 0x0
	s_add_co_i32 s30, s16, s26
	s_branch .LBB159_46
.LBB159_51:                             ;   in Loop: Header=BB159_47 Depth=4
                                        ; implicit-def: $vgpr16
                                        ; implicit-def: $vgpr18
                                        ; implicit-def: $sgpr30
	s_cbranch_execz .LBB159_46
; %bb.52:                               ;   in Loop: Header=BB159_47 Depth=4
	scratch_load_b64 v[16:17], off, off
	s_mov_b32 s30, s26
	s_wait_loadcnt 0x0
	v_mov_b32_e32 v18, v17
	s_branch .LBB159_46
.LBB159_53:                             ;   in Loop: Header=BB159_4 Depth=1
	s_mov_b32 s3, 0
.LBB159_54:                             ;   in Loop: Header=BB159_4 Depth=1
	s_delay_alu instid0(SALU_CYCLE_1)
	s_and_b32 vcc_lo, exec_lo, s3
	s_cbranch_vccz .LBB159_2
; %bb.55:                               ;   in Loop: Header=BB159_4 Depth=1
	v_add_nc_u64_e32 v[14:15], s[14:15], v[8:9]
	s_mov_b32 s3, 0
	s_mov_b32 s14, s36
	s_branch .LBB159_57
.LBB159_56:                             ;   in Loop: Header=BB159_57 Depth=2
	s_cmp_gt_i32 s14, -1
	s_cselect_b32 s15, -1, 0
	s_add_co_i32 s16, s3, 1
	s_cmp_lt_u32 s3, 2
	s_wait_xcnt 0x0
	s_cselect_b32 s3, -1, 0
	s_delay_alu instid0(SALU_CYCLE_1) | instskip(NEXT) | instid1(SALU_CYCLE_1)
	s_and_b32 s3, s15, s3
	s_and_not1_b32 vcc_lo, exec_lo, s3
	s_mov_b32 s3, s16
	s_cbranch_vccnz .LBB159_2
.LBB159_57:                             ;   Parent Loop BB159_4 Depth=1
                                        ; =>  This Loop Header: Depth=2
                                        ;       Child Loop BB159_60 Depth 3
                                        ;         Child Loop BB159_62 Depth 4
                                        ;         Child Loop BB159_66 Depth 4
	;; [unrolled: 1-line block ×3, first 2 shown]
                                        ;           Child Loop BB159_72 Depth 5
                                        ;           Child Loop BB159_78 Depth 5
                                        ;         Child Loop BB159_81 Depth 4
                                        ;           Child Loop BB159_83 Depth 5
	s_load_b32 s30, s[10:11], s3 offset:0x0 scale_offset
	s_wait_kmcnt 0x0
	s_add_co_i32 s31, s30, -1
	s_delay_alu instid0(SALU_CYCLE_1)
	s_cmp_lt_i32 s14, s31
	s_cbranch_scc1 .LBB159_56
; %bb.58:                               ;   in Loop: Header=BB159_57 Depth=2
	s_max_i32 s45, s30, 1
	s_cmp_lg_u32 s3, 2
	s_mul_i32 s51, s14, 0xc8
	s_cselect_b32 s46, -1, 0
	s_and_b32 s47, s45, 0x7ffffffe
	s_mul_i32 s52, s30, 0xffffff38
	s_cmp_lg_u32 s45, s47
	s_cselect_b32 s48, -1, 0
	s_lshl_b32 s15, s14, 3
	s_lshl_b32 s16, s30, 3
	s_add_co_i32 s49, s40, s15
	s_sub_co_i32 s50, 0, s16
	s_branch .LBB159_60
.LBB159_59:                             ;   in Loop: Header=BB159_60 Depth=3
	s_sub_co_i32 s14, s14, s30
	s_add_co_i32 s49, s49, s50
	s_add_co_i32 s51, s51, s52
	s_cmp_lt_i32 s14, s31
	s_cbranch_scc1 .LBB159_56
.LBB159_60:                             ;   Parent Loop BB159_4 Depth=1
                                        ;     Parent Loop BB159_57 Depth=2
                                        ; =>    This Loop Header: Depth=3
                                        ;         Child Loop BB159_62 Depth 4
                                        ;         Child Loop BB159_66 Depth 4
	;; [unrolled: 1-line block ×3, first 2 shown]
                                        ;           Child Loop BB159_72 Depth 5
                                        ;           Child Loop BB159_78 Depth 5
                                        ;         Child Loop BB159_81 Depth 4
                                        ;           Child Loop BB159_83 Depth 5
	s_and_not1_b32 vcc_lo, exec_lo, s46
	s_cbranch_vccnz .LBB159_64
; %bb.61:                               ;   in Loop: Header=BB159_60 Depth=3
	s_mov_b32 s15, s14
	s_mov_b32 s26, 1
	;; [unrolled: 1-line block ×3, first 2 shown]
	s_wait_xcnt 0x0
	s_mov_b32 s28, s47
	s_mov_b32 s29, s39
.LBB159_62:                             ;   Parent Loop BB159_4 Depth=1
                                        ;     Parent Loop BB159_57 Depth=2
                                        ;       Parent Loop BB159_60 Depth=3
                                        ; =>      This Inner Loop Header: Depth=4
	s_sub_co_i32 s54, s15, s26
	s_sub_co_i32 s56, s14, s27
	s_ashr_i32 s55, s54, 31
	s_ashr_i32 s57, s56, 31
	v_lshl_add_u64 v[16:17], s[54:55], 3, v[12:13]
	v_lshl_add_u64 v[18:19], s[56:57], 3, v[12:13]
	s_add_co_i32 s28, s28, -2
	s_add_co_i32 s27, s27, 2
	s_add_co_i32 s26, s26, 2
	s_clause 0x1
	global_load_b64 v[20:21], v[16:17], off
	global_load_b64 v[22:23], v[18:19], off
	s_wait_xcnt 0x1
	v_mov_b64_e32 v[16:17], s[6:7]
	s_wait_xcnt 0x0
	v_mov_b64_e32 v[18:19], s[22:23]
	s_mov_b32 s16, s47
	s_mov_b32 s53, s48
	s_wait_loadcnt 0x0
	v_dual_mov_b32 v25, v20 :: v_dual_mov_b32 v20, v23
	v_mov_b32_e32 v24, v22
	s_delay_alu instid0(VALU_DEP_2) | instskip(SKIP_1) | instid1(VALU_DEP_2)
	v_pk_mul_f32 v[22:23], v[20:21], v[16:17]
	v_pk_mul_f32 v[20:21], v[20:21], v[18:19]
	v_pk_fma_f32 v[22:23], v[24:25], v[18:19], v[22:23] neg_lo:[0,0,1] neg_hi:[0,0,1]
	s_delay_alu instid0(VALU_DEP_2) | instskip(NEXT) | instid1(VALU_DEP_1)
	v_pk_fma_f32 v[18:19], v[24:25], v[16:17], v[20:21]
	v_dual_mov_b32 v16, v22 :: v_dual_mov_b32 v17, v18
	s_delay_alu instid0(VALU_DEP_3)
	v_mov_b32_e32 v18, v23
	scratch_store_b128 off, v[16:19], s29 offset:-8
	s_wait_xcnt 0x0
	s_add_co_i32 s29, s29, 16
	s_cmp_lg_u32 s28, 0
	s_cbranch_scc1 .LBB159_62
; %bb.63:                               ;   in Loop: Header=BB159_60 Depth=3
	s_and_b32 vcc_lo, exec_lo, s53
	s_ashr_i32 s15, s14, 31
	s_cbranch_vccnz .LBB159_65
	s_branch .LBB159_67
.LBB159_64:                             ;   in Loop: Header=BB159_60 Depth=3
	s_mov_b32 s16, 0
	s_ashr_i32 s15, s14, 31
	s_cbranch_execz .LBB159_67
.LBB159_65:                             ;   in Loop: Header=BB159_60 Depth=3
	s_lshl_b64 s[26:27], s[14:15], 3
	s_wait_xcnt 0x0
	s_lshl_b64 s[28:29], s[16:17], 3
	s_delay_alu instid0(SALU_CYCLE_1) | instskip(NEXT) | instid1(SALU_CYCLE_1)
	s_sub_nc_u64 s[26:27], s[26:27], s[28:29]
	v_add_nc_u64_e32 v[16:17], s[26:27], v[14:15]
	s_lshl_b32 s26, s16, 3
	s_sub_co_i32 s16, s45, s16
.LBB159_66:                             ;   Parent Loop BB159_4 Depth=1
                                        ;     Parent Loop BB159_57 Depth=2
                                        ;       Parent Loop BB159_60 Depth=3
                                        ; =>      This Inner Loop Header: Depth=4
	global_load_b64 v[18:19], v[16:17], off offset:-4
	v_mov_b64_e32 v[20:21], s[24:25]
	v_mov_b64_e32 v[22:23], s[18:19]
	s_wait_xcnt 0x0
	v_add_nc_u64_e32 v[16:17], -8, v[16:17]
	s_add_co_i32 s16, s16, -1
	s_wait_loadcnt 0x0
	s_delay_alu instid0(VALU_DEP_3) | instskip(NEXT) | instid1(VALU_DEP_1)
	v_pk_mul_f32 v[20:21], v[18:19], v[20:21] op_sel:[1,0]
	v_pk_fma_f32 v[24:25], v[18:19], v[22:23], v[20:21] op_sel_hi:[0,1,1]
	v_pk_fma_f32 v[18:19], v[18:19], v[22:23], v[20:21] neg_lo:[0,0,1] neg_hi:[0,0,1]
	s_delay_alu instid0(VALU_DEP_2)
	v_mov_b32_e32 v19, v25
	scratch_store_b64 off, v[18:19], s26
	s_wait_xcnt 0x0
	s_add_co_i32 s26, s26, 8
	s_cmp_eq_u32 s16, 0
	s_cbranch_scc0 .LBB159_66
.LBB159_67:                             ;   in Loop: Header=BB159_60 Depth=3
	s_cmp_le_i32 s36, s14
	s_cbranch_scc1 .LBB159_79
; %bb.68:                               ;   in Loop: Header=BB159_60 Depth=3
	s_mov_b32 s16, s14
	s_wait_xcnt 0x0
	s_mov_b32 s28, s14
	s_mov_b32 s29, s49
	s_mov_b32 s26, s36
	s_branch .LBB159_70
.LBB159_69:                             ;   in Loop: Header=BB159_70 Depth=4
	s_add_co_i32 s26, s26, -1
	s_addk_co_i32 s29, 0xff40
	s_cmp_le_i32 s26, s14
	s_cbranch_scc1 .LBB159_79
.LBB159_70:                             ;   Parent Loop BB159_4 Depth=1
                                        ;     Parent Loop BB159_57 Depth=2
                                        ;       Parent Loop BB159_60 Depth=3
                                        ; =>      This Loop Header: Depth=4
                                        ;           Child Loop BB159_72 Depth 5
                                        ;           Child Loop BB159_78 Depth 5
	s_ashr_i32 s27, s26, 31
	s_and_b32 vcc_lo, exec_lo, s46
	s_wait_xcnt 0x0
	v_lshl_add_u64 v[16:17], s[26:27], 3, v[12:13]
	global_load_b64 v[16:17], v[16:17], off
	s_cbranch_vccz .LBB159_74
; %bb.71:                               ;   in Loop: Header=BB159_70 Depth=4
	s_wait_loadcnt 0x0
	v_dual_mov_b32 v20, v16 :: v_dual_mov_b32 v21, v16
	v_dual_mov_b32 v18, v17 :: v_dual_mov_b32 v22, v17
	v_mov_b32_e32 v23, v17
	s_mul_i32 s27, s26, 0xc0
	s_mov_b32 s53, 1
	s_mov_b32 s54, 0
	;; [unrolled: 1-line block ×4, first 2 shown]
.LBB159_72:                             ;   Parent Loop BB159_4 Depth=1
                                        ;     Parent Loop BB159_57 Depth=2
                                        ;       Parent Loop BB159_60 Depth=3
                                        ;         Parent Loop BB159_70 Depth=4
                                        ; =>        This Inner Loop Header: Depth=5
	scratch_load_b128 v[24:27], off, s56 offset:-8
	s_sub_co_i32 s57, s28, s53
	s_sub_co_i32 s58, s16, s54
	s_lshl_b32 s57, s57, 3
	s_lshl_b32 s58, s58, 3
	s_add_co_i32 s57, s27, s57
	s_add_co_i32 s58, s27, s58
	s_delay_alu instid0(SALU_CYCLE_1)
	v_dual_mov_b32 v19, s57 :: v_dual_mov_b32 v30, s58
	s_add_co_i32 s55, s55, -2
	s_add_co_i32 s54, s54, 2
	ds_load_b64 v[28:29], v19
	ds_load_b64 v[30:31], v30
	s_add_co_i32 s53, s53, 2
	s_wait_dscnt 0x0
	v_dual_mov_b32 v33, v28 :: v_dual_mov_b32 v28, v31
	v_mov_b32_e32 v32, v30
	s_delay_alu instid0(VALU_DEP_2) | instskip(SKIP_1) | instid1(VALU_DEP_2)
	v_pk_mul_f32 v[30:31], v[28:29], v[22:23]
	v_pk_mul_f32 v[28:29], v[28:29], v[20:21]
	v_pk_fma_f32 v[30:31], v[32:33], v[20:21], v[30:31] neg_lo:[0,0,1] neg_hi:[0,0,1]
	s_delay_alu instid0(VALU_DEP_2) | instskip(SKIP_3) | instid1(VALU_DEP_2)
	v_pk_fma_f32 v[28:29], v[32:33], v[22:23], v[28:29]
	s_wait_loadcnt 0x0
	v_dual_mov_b32 v32, v24 :: v_dual_mov_b32 v33, v26
	v_mov_b32_e32 v26, v25
	v_pk_add_f32 v[30:31], v[32:33], v[30:31] neg_lo:[0,1] neg_hi:[0,1]
	s_delay_alu instid0(VALU_DEP_2) | instskip(NEXT) | instid1(VALU_DEP_1)
	v_pk_add_f32 v[26:27], v[26:27], v[28:29] neg_lo:[0,1] neg_hi:[0,1]
	v_dual_mov_b32 v24, v30 :: v_dual_mov_b32 v25, v26
	s_delay_alu instid0(VALU_DEP_3)
	v_mov_b32_e32 v26, v31
	scratch_store_b128 off, v[24:27], s56 offset:-8
	s_wait_xcnt 0x0
	s_add_co_i32 s56, s56, 16
	s_cmp_lg_u32 s55, 0
	s_cbranch_scc1 .LBB159_72
; %bb.73:                               ;   in Loop: Header=BB159_70 Depth=4
	s_mov_b32 s27, s48
	s_mov_b32 s53, s47
	s_branch .LBB159_76
.LBB159_74:                             ;   in Loop: Header=BB159_70 Depth=4
	s_wait_loadcnt 0x0
	v_mov_b32_e32 v18, v17
	s_mov_b32 s27, 0
	s_mov_b32 s53, s47
	s_cbranch_execz .LBB159_76
; %bb.75:                               ;   in Loop: Header=BB159_70 Depth=4
	s_mov_b32 s27, -1
	s_mov_b32 s53, 0
.LBB159_76:                             ;   in Loop: Header=BB159_70 Depth=4
	s_and_not1_b32 vcc_lo, exec_lo, s27
	s_cbranch_vccnz .LBB159_69
; %bb.77:                               ;   in Loop: Header=BB159_70 Depth=4
	s_wait_xcnt 0x0
	v_dual_mov_b32 v19, v17 :: v_dual_mov_b32 v17, v16
	s_lshl_b32 s54, s53, 3
	s_sub_co_i32 s27, s45, s53
	s_sub_co_i32 s53, s29, s54
.LBB159_78:                             ;   Parent Loop BB159_4 Depth=1
                                        ;     Parent Loop BB159_57 Depth=2
                                        ;       Parent Loop BB159_60 Depth=3
                                        ;         Parent Loop BB159_70 Depth=4
                                        ; =>        This Inner Loop Header: Depth=5
	scratch_load_b64 v[20:21], off, s54
	v_mov_b32_e32 v22, s53
	s_add_co_i32 s27, s27, -1
	s_add_co_i32 s53, s53, -8
	ds_load_b64 v[22:23], v22
	s_wait_dscnt 0x0
	v_pk_mul_f32 v[24:25], v[22:23], v[18:19] op_sel:[1,0] op_sel_hi:[0,1]
	s_delay_alu instid0(VALU_DEP_1) | instskip(SKIP_1) | instid1(VALU_DEP_2)
	v_pk_fma_f32 v[26:27], v[22:23], v[16:17], v[24:25]
	v_pk_fma_f32 v[22:23], v[22:23], v[16:17], v[24:25] neg_lo:[0,0,1] neg_hi:[0,0,1]
	v_mov_b32_e32 v23, v27
	s_wait_loadcnt 0x0
	s_delay_alu instid0(VALU_DEP_1)
	v_pk_add_f32 v[20:21], v[20:21], v[22:23] neg_lo:[0,1] neg_hi:[0,1]
	scratch_store_b64 off, v[20:21], s54
	s_wait_xcnt 0x0
	s_add_co_i32 s54, s54, 8
	s_cmp_eq_u32 s27, 0
	s_cbranch_scc0 .LBB159_78
	s_branch .LBB159_69
.LBB159_79:                             ;   in Loop: Header=BB159_60 Depth=3
	s_mov_b32 s16, 0
	s_mov_b32 s53, s51
	s_branch .LBB159_81
.LBB159_80:                             ;   in Loop: Header=BB159_81 Depth=4
	s_wait_xcnt 0x0
	s_mulk_i32 s28, 0xc8
	v_lshl_add_u64 v[24:25], s[26:27], 3, v[12:13]
	s_wait_xcnt 0x0
	v_mov_b32_e32 v17, s28
	s_lshl_b32 s28, s16, 3
	s_add_co_i32 s16, s16, 1
	s_add_co_i32 s53, s53, -8
	s_cmp_eq_u32 s16, s45
	ds_load_b64 v[20:21], v17
	s_wait_dscnt 0x0
	v_pk_mul_f32 v[18:19], v[20:21], v[18:19] op_sel:[1,0] op_sel_hi:[0,0]
	s_delay_alu instid0(VALU_DEP_1) | instskip(SKIP_1) | instid1(VALU_DEP_2)
	v_pk_fma_f32 v[22:23], v[20:21], v[16:17], v[18:19] op_sel_hi:[1,0,1]
	v_pk_fma_f32 v[16:17], v[20:21], v[16:17], v[18:19] neg_lo:[0,0,1] neg_hi:[0,0,1]
	v_mov_b32_e32 v17, v23
	scratch_store_b64 off, v[16:17], s28
	global_store_b64 v[24:25], v[16:17], off
	s_cbranch_scc1 .LBB159_59
.LBB159_81:                             ;   Parent Loop BB159_4 Depth=1
                                        ;     Parent Loop BB159_57 Depth=2
                                        ;       Parent Loop BB159_60 Depth=3
                                        ; =>      This Loop Header: Depth=4
                                        ;           Child Loop BB159_83 Depth 5
	s_cmp_lg_u32 s16, 0
	s_cbranch_scc0 .LBB159_85
; %bb.82:                               ;   in Loop: Header=BB159_81 Depth=4
	s_lshl_b32 s26, s16, 3
	s_mov_b32 s27, 0
	scratch_load_b64 v[16:17], off, s26
	s_mov_b32 s28, s53
	s_mov_b32 s29, s16
.LBB159_83:                             ;   Parent Loop BB159_4 Depth=1
                                        ;     Parent Loop BB159_57 Depth=2
                                        ;       Parent Loop BB159_60 Depth=3
                                        ;         Parent Loop BB159_81 Depth=4
                                        ; =>        This Inner Loop Header: Depth=5
	scratch_load_b64 v[18:19], off, s27
	v_mov_b32_e32 v20, s28
	s_add_co_i32 s29, s29, -1
	s_addk_co_i32 s28, 0xff40
	s_wait_xcnt 0x0
	s_add_co_i32 s27, s27, 8
	s_cmp_eq_u32 s29, 0
	ds_load_b64 v[20:21], v20
	s_wait_loadcnt_dscnt 0x0
	v_pk_mul_f32 v[22:23], v[20:21], v[18:19] op_sel:[1,1] op_sel_hi:[0,1]
	s_delay_alu instid0(VALU_DEP_1) | instskip(SKIP_1) | instid1(VALU_DEP_2)
	v_pk_fma_f32 v[24:25], v[20:21], v[18:19], v[22:23] op_sel_hi:[1,0,1]
	v_pk_fma_f32 v[18:19], v[20:21], v[18:19], v[22:23] neg_lo:[0,0,1] neg_hi:[0,0,1]
	v_mov_b32_e32 v19, v25
	s_delay_alu instid0(VALU_DEP_1)
	v_pk_add_f32 v[16:17], v[16:17], v[18:19] neg_lo:[0,1] neg_hi:[0,1]
	scratch_store_b64 off, v[16:17], s26
	s_cbranch_scc0 .LBB159_83
; %bb.84:                               ;   in Loop: Header=BB159_81 Depth=4
	s_sub_co_i32 s28, s14, s16
	v_mov_b32_e32 v18, v17
	s_ashr_i32 s29, s28, 31
	s_wait_xcnt 0x0
	s_mov_b64 s[26:27], s[28:29]
	s_branch .LBB159_80
.LBB159_85:                             ;   in Loop: Header=BB159_81 Depth=4
                                        ; implicit-def: $vgpr16
                                        ; implicit-def: $vgpr18
                                        ; implicit-def: $sgpr28
                                        ; implicit-def: $sgpr26_sgpr27
	s_cbranch_execz .LBB159_80
; %bb.86:                               ;   in Loop: Header=BB159_81 Depth=4
	scratch_load_b64 v[16:17], off, off
	s_mov_b64 s[26:27], s[14:15]
	s_mov_b32 s28, s14
	s_wait_loadcnt 0x0
	v_mov_b32_e32 v18, v17
	s_branch .LBB159_80
.LBB159_87:
	s_or_b32 exec_lo, exec_lo, s41
	s_and_saveexec_b32 s0, s42
	s_delay_alu instid0(SALU_CYCLE_1)
	s_xor_b32 s0, exec_lo, s0
.LBB159_88:
	s_endpgm
	.section	.rodata,"a",@progbits
	.p2align	6, 0x0
	.amdhsa_kernel _ZL30rocblas_trsm_small_left_deviceILi24ELi24ELb0E19rocblas_complex_numIfES1_PKS1_PS1_Ev13rocblas_fill_18rocblas_operation_17rocblas_diagonal_iiT3_T4_lilT5_lili
		.amdhsa_group_segment_fixed_size 4608
		.amdhsa_private_segment_fixed_size 208
		.amdhsa_kernarg_size 360
		.amdhsa_user_sgpr_count 2
		.amdhsa_user_sgpr_dispatch_ptr 0
		.amdhsa_user_sgpr_queue_ptr 0
		.amdhsa_user_sgpr_kernarg_segment_ptr 1
		.amdhsa_user_sgpr_dispatch_id 0
		.amdhsa_user_sgpr_kernarg_preload_length 0
		.amdhsa_user_sgpr_kernarg_preload_offset 0
		.amdhsa_user_sgpr_private_segment_size 0
		.amdhsa_wavefront_size32 1
		.amdhsa_uses_dynamic_stack 0
		.amdhsa_enable_private_segment 1
		.amdhsa_system_sgpr_workgroup_id_x 1
		.amdhsa_system_sgpr_workgroup_id_y 0
		.amdhsa_system_sgpr_workgroup_id_z 1
		.amdhsa_system_sgpr_workgroup_info 0
		.amdhsa_system_vgpr_workitem_id 0
		.amdhsa_next_free_vgpr 34
		.amdhsa_next_free_sgpr 60
		.amdhsa_named_barrier_count 0
		.amdhsa_reserve_vcc 1
		.amdhsa_float_round_mode_32 0
		.amdhsa_float_round_mode_16_64 0
		.amdhsa_float_denorm_mode_32 3
		.amdhsa_float_denorm_mode_16_64 3
		.amdhsa_fp16_overflow 0
		.amdhsa_memory_ordered 1
		.amdhsa_forward_progress 1
		.amdhsa_inst_pref_size 33
		.amdhsa_round_robin_scheduling 0
		.amdhsa_exception_fp_ieee_invalid_op 0
		.amdhsa_exception_fp_denorm_src 0
		.amdhsa_exception_fp_ieee_div_zero 0
		.amdhsa_exception_fp_ieee_overflow 0
		.amdhsa_exception_fp_ieee_underflow 0
		.amdhsa_exception_fp_ieee_inexact 0
		.amdhsa_exception_int_div_zero 0
	.end_amdhsa_kernel
	.section	.text._ZL30rocblas_trsm_small_left_deviceILi24ELi24ELb0E19rocblas_complex_numIfES1_PKS1_PS1_Ev13rocblas_fill_18rocblas_operation_17rocblas_diagonal_iiT3_T4_lilT5_lili,"axG",@progbits,_ZL30rocblas_trsm_small_left_deviceILi24ELi24ELb0E19rocblas_complex_numIfES1_PKS1_PS1_Ev13rocblas_fill_18rocblas_operation_17rocblas_diagonal_iiT3_T4_lilT5_lili,comdat
.Lfunc_end159:
	.size	_ZL30rocblas_trsm_small_left_deviceILi24ELi24ELb0E19rocblas_complex_numIfES1_PKS1_PS1_Ev13rocblas_fill_18rocblas_operation_17rocblas_diagonal_iiT3_T4_lilT5_lili, .Lfunc_end159-_ZL30rocblas_trsm_small_left_deviceILi24ELi24ELb0E19rocblas_complex_numIfES1_PKS1_PS1_Ev13rocblas_fill_18rocblas_operation_17rocblas_diagonal_iiT3_T4_lilT5_lili
                                        ; -- End function
	.set _ZL30rocblas_trsm_small_left_deviceILi24ELi24ELb0E19rocblas_complex_numIfES1_PKS1_PS1_Ev13rocblas_fill_18rocblas_operation_17rocblas_diagonal_iiT3_T4_lilT5_lili.num_vgpr, 34
	.set _ZL30rocblas_trsm_small_left_deviceILi24ELi24ELb0E19rocblas_complex_numIfES1_PKS1_PS1_Ev13rocblas_fill_18rocblas_operation_17rocblas_diagonal_iiT3_T4_lilT5_lili.num_agpr, 0
	.set _ZL30rocblas_trsm_small_left_deviceILi24ELi24ELb0E19rocblas_complex_numIfES1_PKS1_PS1_Ev13rocblas_fill_18rocblas_operation_17rocblas_diagonal_iiT3_T4_lilT5_lili.numbered_sgpr, 60
	.set _ZL30rocblas_trsm_small_left_deviceILi24ELi24ELb0E19rocblas_complex_numIfES1_PKS1_PS1_Ev13rocblas_fill_18rocblas_operation_17rocblas_diagonal_iiT3_T4_lilT5_lili.num_named_barrier, 0
	.set _ZL30rocblas_trsm_small_left_deviceILi24ELi24ELb0E19rocblas_complex_numIfES1_PKS1_PS1_Ev13rocblas_fill_18rocblas_operation_17rocblas_diagonal_iiT3_T4_lilT5_lili.private_seg_size, 208
	.set _ZL30rocblas_trsm_small_left_deviceILi24ELi24ELb0E19rocblas_complex_numIfES1_PKS1_PS1_Ev13rocblas_fill_18rocblas_operation_17rocblas_diagonal_iiT3_T4_lilT5_lili.uses_vcc, 1
	.set _ZL30rocblas_trsm_small_left_deviceILi24ELi24ELb0E19rocblas_complex_numIfES1_PKS1_PS1_Ev13rocblas_fill_18rocblas_operation_17rocblas_diagonal_iiT3_T4_lilT5_lili.uses_flat_scratch, 0
	.set _ZL30rocblas_trsm_small_left_deviceILi24ELi24ELb0E19rocblas_complex_numIfES1_PKS1_PS1_Ev13rocblas_fill_18rocblas_operation_17rocblas_diagonal_iiT3_T4_lilT5_lili.has_dyn_sized_stack, 0
	.set _ZL30rocblas_trsm_small_left_deviceILi24ELi24ELb0E19rocblas_complex_numIfES1_PKS1_PS1_Ev13rocblas_fill_18rocblas_operation_17rocblas_diagonal_iiT3_T4_lilT5_lili.has_recursion, 0
	.set _ZL30rocblas_trsm_small_left_deviceILi24ELi24ELb0E19rocblas_complex_numIfES1_PKS1_PS1_Ev13rocblas_fill_18rocblas_operation_17rocblas_diagonal_iiT3_T4_lilT5_lili.has_indirect_call, 0
	.section	.AMDGPU.csdata,"",@progbits
; Kernel info:
; codeLenInByte = 4148
; TotalNumSgprs: 62
; NumVgprs: 34
; ScratchSize: 208
; MemoryBound: 0
; FloatMode: 240
; IeeeMode: 1
; LDSByteSize: 4608 bytes/workgroup (compile time only)
; SGPRBlocks: 0
; VGPRBlocks: 2
; NumSGPRsForWavesPerEU: 62
; NumVGPRsForWavesPerEU: 34
; NamedBarCnt: 0
; Occupancy: 16
; WaveLimiterHint : 1
; COMPUTE_PGM_RSRC2:SCRATCH_EN: 1
; COMPUTE_PGM_RSRC2:USER_SGPR: 2
; COMPUTE_PGM_RSRC2:TRAP_HANDLER: 0
; COMPUTE_PGM_RSRC2:TGID_X_EN: 1
; COMPUTE_PGM_RSRC2:TGID_Y_EN: 0
; COMPUTE_PGM_RSRC2:TGID_Z_EN: 1
; COMPUTE_PGM_RSRC2:TIDIG_COMP_CNT: 0
	.section	.text._ZL38rocblas_trsm_small_left_device_sharedBILi24ELi24ELb1E19rocblas_complex_numIfES1_PKS1_PS1_Ev13rocblas_fill_18rocblas_operation_17rocblas_diagonal_iiT3_T4_lilT5_lili,"axG",@progbits,_ZL38rocblas_trsm_small_left_device_sharedBILi24ELi24ELb1E19rocblas_complex_numIfES1_PKS1_PS1_Ev13rocblas_fill_18rocblas_operation_17rocblas_diagonal_iiT3_T4_lilT5_lili,comdat
	.globl	_ZL38rocblas_trsm_small_left_device_sharedBILi24ELi24ELb1E19rocblas_complex_numIfES1_PKS1_PS1_Ev13rocblas_fill_18rocblas_operation_17rocblas_diagonal_iiT3_T4_lilT5_lili ; -- Begin function _ZL38rocblas_trsm_small_left_device_sharedBILi24ELi24ELb1E19rocblas_complex_numIfES1_PKS1_PS1_Ev13rocblas_fill_18rocblas_operation_17rocblas_diagonal_iiT3_T4_lilT5_lili
	.p2align	8
	.type	_ZL38rocblas_trsm_small_left_device_sharedBILi24ELi24ELb1E19rocblas_complex_numIfES1_PKS1_PS1_Ev13rocblas_fill_18rocblas_operation_17rocblas_diagonal_iiT3_T4_lilT5_lili,@function
_ZL38rocblas_trsm_small_left_device_sharedBILi24ELi24ELb1E19rocblas_complex_numIfES1_PKS1_PS1_Ev13rocblas_fill_18rocblas_operation_17rocblas_diagonal_iiT3_T4_lilT5_lili: ; @_ZL38rocblas_trsm_small_left_device_sharedBILi24ELi24ELb1E19rocblas_complex_numIfES1_PKS1_PS1_Ev13rocblas_fill_18rocblas_operation_17rocblas_diagonal_iiT3_T4_lilT5_lili
; %bb.0:
	s_load_b32 s30, s[0:1], 0x60
	s_bfe_u32 s2, ttmp6, 0x40014
	s_lshr_b32 s4, ttmp7, 16
	s_add_co_i32 s2, s2, 1
	s_bfe_u32 s5, ttmp6, 0x40008
	s_mul_i32 s2, s4, s2
	s_getreg_b32 s3, hwreg(HW_REG_IB_STS2, 6, 4)
	s_add_co_i32 s5, s5, s2
	s_cmp_eq_u32 s3, 0
	s_mov_b32 s19, 0
	s_cselect_b32 s2, s4, s5
	s_wait_kmcnt 0x0
	s_cmp_ge_u32 s2, s30
	s_cbranch_scc1 .LBB160_86
; %bb.1:
	s_clause 0x7
	s_load_b32 s24, s[0:1], 0x30
	s_load_b96 s[16:18], s[0:1], 0x48
	s_load_b128 s[4:7], s[0:1], 0x4
	s_load_b32 s26, s[0:1], 0x68
	s_load_b128 s[12:15], s[0:1], 0x20
	s_load_b128 s[8:11], s[0:1], 0x38
	s_load_b64 s[20:21], s[0:1], 0x58
	s_load_b64 s[22:23], s[0:1], 0x14
	v_dual_mov_b32 v1, 0 :: v_dual_lshlrev_b32 v2, 3, v0
	v_mul_u32_u24_e32 v6, 0xc0, v0
	v_mov_b64_e32 v[4:5], 0xbf80000000000000
	v_mov_b64_e32 v[12:13], 0x3f800000
	s_delay_alu instid0(VALU_DEP_4) | instskip(NEXT) | instid1(VALU_DEP_4)
	v_or_b32_e32 v22, 0x1200, v2
	v_dual_mov_b32 v3, v1 :: v_dual_add_nc_u32 v23, v2, v6
	s_wait_kmcnt 0x0
	s_ashr_i32 s25, s24, 31
	s_ashr_i32 s27, s18, 31
	s_cmp_lg_u32 s4, 0x71
	s_cselect_b32 s1, -1, 0
	s_bfe_u32 s0, ttmp6, 0x4000c
	s_lshl_b64 s[28:29], s[16:17], 3
	s_add_co_i32 s0, s0, 1
	s_min_i32 s31, s6, 24
	s_and_b32 s16, ttmp6, 15
	s_mul_i32 s0, ttmp9, s0
	s_add_co_i32 s26, s26, -1
	s_add_co_i32 s33, s31, -1
	s_add_co_i32 s16, s16, s0
	s_cmp_eq_u32 s3, 0
	s_add_nc_u64 s[10:11], s[10:11], s[28:29]
	s_cselect_b32 s0, ttmp9, s16
	s_mov_b32 s16, s22
	s_mul_i32 s3, s0, 0xffffffe8
	s_mul_i32 s34, s0, 24
	s_add_co_i32 s3, s7, s3
	s_cmp_ge_u32 s0, s26
	s_mov_b32 s26, s18
	s_cselect_b32 s0, s3, 24
	s_ashr_i32 s35, s34, 31
	v_mul_u64_e32 v[8:9], s[26:27], v[0:1]
	v_lshl_add_u64 v[10:11], s[34:35], 3, v[2:3]
	s_mul_u64 s[28:29], s[26:27], s[34:35]
	v_cmp_gt_i32_e32 vcc_lo, s0, v0
	s_lshl_b64 s[28:29], s[28:29], 3
	s_cmp_lg_u32 s5, 0x84
	v_mad_nc_u64_u32 v[6:7], v10, s18, s[10:11]
	s_cselect_b32 s34, -1, 0
	s_cmp_gt_i32 s6, 0
	s_mov_b32 s17, s22
	s_cselect_b32 s0, -1, 0
	s_cmp_lg_u32 s4, 0x6f
	s_mov_b32 s4, s23
	s_cselect_b32 s35, -1, 0
	s_and_b32 s36, vcc_lo, s0
	s_cmp_gt_i32 s6, 1
	v_cmp_gt_i32_e64 s0, s31, v0
	v_mad_u32 v1, v11, s18, v7
	s_cselect_b32 s37, -1, 0
	s_and_b32 s38, s31, 30
	s_mov_b32 s5, s23
	s_cmp_lg_u32 s31, s38
	s_mov_b32 s6, s23
	s_cselect_b32 s39, -1, 0
	s_lshl_b64 s[14:15], s[14:15], 3
	s_lshl_b32 s41, s31, 3
	s_add_nc_u64 s[12:13], s[12:13], s[14:15]
	s_mov_b32 s7, s22
	v_mad_u32 v7, v10, s27, v1
	v_add_nc_u64_e32 v[10:11], s[12:13], v[2:3]
	s_add_nc_u64 s[10:11], s[10:11], s[28:29]
	s_lshl_b64 s[8:9], s[8:9], 3
	s_lshl_b64 s[12:13], s[24:25], 3
	;; [unrolled: 1-line block ×3, first 2 shown]
	s_or_b32 s40, 0, 8
	s_add_co_i32 s41, s41, -8
	v_add_nc_u64_e32 v[0:1], 4, v[10:11]
	s_get_pc_i64 s[24:25]
	s_add_nc_u64 s[24:25], s[24:25], __const._ZL38rocblas_trsm_small_left_device_sharedBILi24ELi24ELb1E19rocblas_complex_numIfES1_PKS1_PS1_Ev13rocblas_fill_18rocblas_operation_17rocblas_diagonal_iiT3_T4_lilT5_lili.step_sizes@rel64+4
	v_add_nc_u64_e32 v[10:11], 4, v[6:7]
	s_branch .LBB160_3
.LBB160_2:                              ;   in Loop: Header=BB160_3 Depth=1
	s_or_b32 exec_lo, exec_lo, s3
	s_add_co_i32 s2, s2, 0x10000
	s_delay_alu instid0(SALU_CYCLE_1)
	s_cmp_lt_u32 s2, s30
	s_cbranch_scc0 .LBB160_86
.LBB160_3:                              ; =>This Loop Header: Depth=1
                                        ;     Child Loop BB160_6 Depth 2
                                        ;     Child Loop BB160_21 Depth 2
	;; [unrolled: 1-line block ×4, first 2 shown]
                                        ;       Child Loop BB160_32 Depth 3
                                        ;         Child Loop BB160_33 Depth 4
                                        ;         Child Loop BB160_37 Depth 4
                                        ;           Child Loop BB160_39 Depth 5
                                        ;           Child Loop BB160_45 Depth 5
                                        ;         Child Loop BB160_48 Depth 4
                                        ;           Child Loop BB160_50 Depth 5
                                        ;     Child Loop BB160_58 Depth 2
                                        ;       Child Loop BB160_61 Depth 3
                                        ;         Child Loop BB160_62 Depth 4
                                        ;         Child Loop BB160_66 Depth 4
                                        ;           Child Loop BB160_68 Depth 5
                                        ;           Child Loop BB160_74 Depth 5
                                        ;         Child Loop BB160_77 Depth 4
                                        ;           Child Loop BB160_79 Depth 5
                                        ;     Child Loop BB160_85 Depth 2
	s_mov_b32 s3, s19
	s_and_saveexec_b32 s18, s0
	s_cbranch_execz .LBB160_18
; %bb.4:                                ;   in Loop: Header=BB160_3 Depth=1
	v_mad_nc_u64_u32 v[14:15], s8, s2, v[0:1]
	v_mov_b32_e32 v3, v2
	s_mov_b32 s26, s31
	s_delay_alu instid0(VALU_DEP_2)
	v_mad_u32 v15, s9, s2, v15
	s_branch .LBB160_6
.LBB160_5:                              ;   in Loop: Header=BB160_6 Depth=2
	global_load_b32 v16, v[14:15], off offset:-4
	s_wait_xcnt 0x0
	v_add_nc_u64_e32 v[14:15], s[12:13], v[14:15]
	s_add_co_i32 s26, s26, -1
	s_delay_alu instid0(SALU_CYCLE_1)
	s_cmp_eq_u32 s26, 0
	s_wait_loadcnt 0x0
	ds_store_b64 v3, v[16:17]
	v_add_nc_u32_e32 v3, 0xc0, v3
	s_cbranch_scc1 .LBB160_10
.LBB160_6:                              ;   Parent Loop BB160_3 Depth=1
                                        ; =>  This Inner Loop Header: Depth=2
	s_and_b32 vcc_lo, exec_lo, s1
	s_mov_b32 s27, -1
                                        ; implicit-def: $vgpr17
	s_cbranch_vccz .LBB160_8
; %bb.7:                                ;   in Loop: Header=BB160_6 Depth=2
	global_load_b32 v17, v[14:15], off
	s_mov_b32 s27, 0
.LBB160_8:                              ;   in Loop: Header=BB160_6 Depth=2
	s_delay_alu instid0(SALU_CYCLE_1)
	s_and_not1_b32 vcc_lo, exec_lo, s27
	s_cbranch_vccnz .LBB160_5
; %bb.9:                                ;   in Loop: Header=BB160_6 Depth=2
	global_load_b32 v16, v[14:15], off
	s_wait_loadcnt 0x0
	v_xor_b32_e32 v17, 0x80000000, v16
	s_branch .LBB160_5
.LBB160_10:                             ;   in Loop: Header=BB160_3 Depth=1
	s_and_b32 vcc_lo, exec_lo, s34
	s_mov_b32 s26, -1
	s_cbranch_vccz .LBB160_16
; %bb.11:                               ;   in Loop: Header=BB160_3 Depth=1
	ds_load_b64 v[14:15], v23
                                        ; implicit-def: $vgpr16_vgpr17
	s_wait_dscnt 0x0
	v_cmp_ngt_f32_e64 s26, |v14|, |v15|
	s_and_saveexec_b32 s27, s26
	s_delay_alu instid0(SALU_CYCLE_1)
	s_xor_b32 s26, exec_lo, s27
	s_cbranch_execz .LBB160_13
; %bb.12:                               ;   in Loop: Header=BB160_3 Depth=1
	v_div_scale_f32 v3, null, v15, v15, v14
	v_div_scale_f32 v18, vcc_lo, v14, v15, v14
	s_delay_alu instid0(VALU_DEP_2) | instskip(SKIP_1) | instid1(TRANS32_DEP_1)
	v_rcp_f32_e32 v16, v3
	v_nop
	v_fma_f32 v17, -v3, v16, 1.0
	s_delay_alu instid0(VALU_DEP_1) | instskip(NEXT) | instid1(VALU_DEP_1)
	v_fmac_f32_e32 v16, v17, v16
	v_mul_f32_e32 v17, v18, v16
	s_delay_alu instid0(VALU_DEP_1) | instskip(NEXT) | instid1(VALU_DEP_1)
	v_fma_f32 v19, -v3, v17, v18
	v_fmac_f32_e32 v17, v19, v16
	s_delay_alu instid0(VALU_DEP_1) | instskip(NEXT) | instid1(VALU_DEP_1)
	v_fma_f32 v3, -v3, v17, v18
	v_div_fmas_f32 v3, v3, v16, v17
	s_delay_alu instid0(VALU_DEP_1) | instskip(NEXT) | instid1(VALU_DEP_1)
	v_div_fixup_f32 v16, v3, v15, v14
	v_fmac_f32_e32 v15, v14, v16
	s_delay_alu instid0(VALU_DEP_1) | instskip(SKIP_1) | instid1(VALU_DEP_2)
	v_div_scale_f32 v3, null, v15, v15, 1.0
	v_div_scale_f32 v18, vcc_lo, 1.0, v15, 1.0
	v_rcp_f32_e32 v14, v3
	v_nop
	s_delay_alu instid0(TRANS32_DEP_1) | instskip(NEXT) | instid1(VALU_DEP_1)
	v_fma_f32 v17, -v3, v14, 1.0
	v_fmac_f32_e32 v14, v17, v14
	s_delay_alu instid0(VALU_DEP_1) | instskip(NEXT) | instid1(VALU_DEP_1)
	v_mul_f32_e32 v17, v18, v14
	v_fma_f32 v19, -v3, v17, v18
	s_delay_alu instid0(VALU_DEP_1) | instskip(NEXT) | instid1(VALU_DEP_1)
	v_fmac_f32_e32 v17, v19, v14
	v_fma_f32 v3, -v3, v17, v18
	s_delay_alu instid0(VALU_DEP_1) | instskip(SKIP_1) | instid1(VALU_DEP_2)
	v_div_fmas_f32 v3, v3, v14, v17
	v_mul_f32_e32 v17, 0, v16
	v_div_fixup_f32 v14, v3, v15, 1.0
	s_delay_alu instid0(VALU_DEP_2) | instskip(NEXT) | instid1(VALU_DEP_1)
	v_pk_add_f32 v[16:17], v[16:17], v[4:5]
	v_pk_mul_f32 v[16:17], v[16:17], v[14:15] op_sel_hi:[1,0]
                                        ; implicit-def: $vgpr14_vgpr15
.LBB160_13:                             ;   in Loop: Header=BB160_3 Depth=1
	s_and_not1_saveexec_b32 s26, s26
	s_cbranch_execz .LBB160_15
; %bb.14:                               ;   in Loop: Header=BB160_3 Depth=1
	v_div_scale_f32 v3, null, v14, v14, v15
	v_div_scale_f32 v18, vcc_lo, v15, v14, v15
	s_delay_alu instid0(VALU_DEP_2) | instskip(SKIP_1) | instid1(TRANS32_DEP_1)
	v_rcp_f32_e32 v16, v3
	v_nop
	v_fma_f32 v17, -v3, v16, 1.0
	s_delay_alu instid0(VALU_DEP_1) | instskip(NEXT) | instid1(VALU_DEP_1)
	v_fmac_f32_e32 v16, v17, v16
	v_mul_f32_e32 v17, v18, v16
	s_delay_alu instid0(VALU_DEP_1) | instskip(NEXT) | instid1(VALU_DEP_1)
	v_fma_f32 v19, -v3, v17, v18
	v_fmac_f32_e32 v17, v19, v16
	s_delay_alu instid0(VALU_DEP_1) | instskip(NEXT) | instid1(VALU_DEP_1)
	v_fma_f32 v3, -v3, v17, v18
	v_div_fmas_f32 v3, v3, v16, v17
	s_delay_alu instid0(VALU_DEP_1) | instskip(NEXT) | instid1(VALU_DEP_1)
	v_div_fixup_f32 v3, v3, v14, v15
	v_fmac_f32_e32 v14, v15, v3
	s_delay_alu instid0(VALU_DEP_1) | instskip(SKIP_1) | instid1(VALU_DEP_2)
	v_div_scale_f32 v15, null, v14, v14, 1.0
	v_div_scale_f32 v18, vcc_lo, 1.0, v14, 1.0
	v_rcp_f32_e32 v16, v15
	v_nop
	s_delay_alu instid0(TRANS32_DEP_1) | instskip(NEXT) | instid1(VALU_DEP_1)
	v_fma_f32 v17, -v15, v16, 1.0
	v_fmac_f32_e32 v16, v17, v16
	s_delay_alu instid0(VALU_DEP_1) | instskip(NEXT) | instid1(VALU_DEP_1)
	v_mul_f32_e32 v17, v18, v16
	v_fma_f32 v19, -v15, v17, v18
	s_delay_alu instid0(VALU_DEP_1) | instskip(NEXT) | instid1(VALU_DEP_1)
	v_fmac_f32_e32 v17, v19, v16
	v_dual_fma_f32 v15, -v15, v17, v18 :: v_dual_mul_f32 v18, 0, v3
	s_delay_alu instid0(VALU_DEP_1) | instskip(NEXT) | instid1(VALU_DEP_2)
	v_div_fmas_f32 v15, v15, v16, v17
	v_dual_add_f32 v16, 1.0, v18 :: v_dual_sub_f32 v17, 0, v3
	s_delay_alu instid0(VALU_DEP_2) | instskip(NEXT) | instid1(VALU_DEP_1)
	v_div_fixup_f32 v14, v15, v14, 1.0
	v_pk_mul_f32 v[16:17], v[16:17], v[14:15] op_sel_hi:[1,0]
.LBB160_15:                             ;   in Loop: Header=BB160_3 Depth=1
	s_or_b32 exec_lo, exec_lo, s26
	s_mov_b32 s26, 0
	ds_store_b64 v23, v[16:17]
.LBB160_16:                             ;   in Loop: Header=BB160_3 Depth=1
	s_and_b32 vcc_lo, exec_lo, s26
	s_cbranch_vccz .LBB160_18
; %bb.17:                               ;   in Loop: Header=BB160_3 Depth=1
	ds_store_b64 v23, v[12:13]
.LBB160_18:                             ;   in Loop: Header=BB160_3 Depth=1
	s_or_b32 exec_lo, exec_lo, s18
	s_mul_u64 s[26:27], s[14:15], s[2:3]
	s_and_saveexec_b32 s42, s36
	s_cbranch_execz .LBB160_26
; %bb.19:                               ;   in Loop: Header=BB160_3 Depth=1
	s_and_not1_b32 vcc_lo, exec_lo, s37
	s_cbranch_vccnz .LBB160_23
; %bb.20:                               ;   in Loop: Header=BB160_3 Depth=1
	s_mul_u64 s[28:29], s[20:21], s[2:3]
	s_mov_b32 s18, 0
	s_lshl_b64 s[28:29], s[28:29], 3
	s_mov_b32 s3, s38
	s_add_nc_u64 s[28:29], s[10:11], s[28:29]
	s_delay_alu instid0(SALU_CYCLE_1)
	v_lshl_add_u64 v[14:15], v[8:9], 3, s[28:29]
	s_mov_b32 s28, 1
.LBB160_21:                             ;   Parent Loop BB160_3 Depth=1
                                        ; =>  This Inner Loop Header: Depth=2
	s_mov_b32 s29, s19
	s_delay_alu instid0(VALU_DEP_1)
	v_lshl_add_u64 v[16:17], s[18:19], 3, v[14:15]
	v_lshl_add_u64 v[18:19], s[28:29], 3, v[14:15]
	v_mad_u32 v3, 0xc0, s18, v22
	v_mad_u32 v28, 0xc0, s28, v22
	s_add_co_i32 s3, s3, -2
	s_clause 0x1
	global_load_b64 v[20:21], v[16:17], off
	global_load_b64 v[24:25], v[18:19], off
	s_wait_xcnt 0x1
	v_mov_b64_e32 v[16:17], s[4:5]
	s_wait_xcnt 0x0
	v_mov_b64_e32 v[18:19], s[16:17]
	s_add_co_i32 s18, s18, 2
	s_add_co_i32 s28, s28, 2
	s_mov_b32 s29, s38
	s_mov_b32 s43, s39
	s_cmp_lg_u32 s3, 0
	s_wait_loadcnt 0x0
	v_dual_mov_b32 v26, v20 :: v_dual_mov_b32 v27, v24
	v_mov_b32_e32 v24, v21
	s_delay_alu instid0(VALU_DEP_1) | instskip(SKIP_1) | instid1(VALU_DEP_2)
	v_pk_mul_f32 v[20:21], v[16:17], v[24:25]
	v_pk_mul_f32 v[24:25], v[18:19], v[24:25]
	v_pk_fma_f32 v[18:19], v[18:19], v[26:27], v[20:21] neg_lo:[0,0,1] neg_hi:[0,0,1]
	s_delay_alu instid0(VALU_DEP_2)
	v_pk_fma_f32 v[16:17], v[16:17], v[26:27], v[24:25]
	ds_store_b32 v3, v18
	ds_store_b32 v28, v19
	ds_store_b32 v3, v16 offset:4
	ds_store_b32 v28, v17 offset:4
	s_cbranch_scc1 .LBB160_21
; %bb.22:                               ;   in Loop: Header=BB160_3 Depth=1
	s_and_b32 vcc_lo, exec_lo, s43
	s_cbranch_vccnz .LBB160_24
	s_branch .LBB160_26
.LBB160_23:                             ;   in Loop: Header=BB160_3 Depth=1
	s_mov_b32 s29, 0
	s_cbranch_execz .LBB160_26
.LBB160_24:                             ;   in Loop: Header=BB160_3 Depth=1
	s_lshl_b32 s18, s29, 3
	v_mad_u32 v3, 0xc0, s29, v22
	s_add_nc_u64 s[44:45], s[26:27], s[18:19]
	s_sub_co_i32 s3, s31, s29
	v_add_nc_u64_e32 v[14:15], s[44:45], v[10:11]
.LBB160_25:                             ;   Parent Loop BB160_3 Depth=1
                                        ; =>  This Inner Loop Header: Depth=2
	global_load_b64 v[16:17], v[14:15], off offset:-4
	v_mov_b64_e32 v[18:19], s[6:7]
	v_mov_b64_e32 v[20:21], s[22:23]
	s_wait_xcnt 0x0
	v_add_nc_u64_e32 v[14:15], 8, v[14:15]
	s_add_co_i32 s3, s3, -1
	s_delay_alu instid0(SALU_CYCLE_1) | instskip(SKIP_2) | instid1(VALU_DEP_1)
	s_cmp_lg_u32 s3, 0
	s_wait_loadcnt 0x0
	v_pk_mul_f32 v[18:19], v[18:19], v[16:17] op_sel:[0,1]
	v_pk_fma_f32 v[24:25], v[20:21], v[16:17], v[18:19] op_sel_hi:[1,0,1]
	v_pk_fma_f32 v[16:17], v[20:21], v[16:17], v[18:19] neg_lo:[0,0,1] neg_hi:[0,0,1]
	s_delay_alu instid0(VALU_DEP_2)
	v_mov_b32_e32 v17, v25
	ds_store_b64 v3, v[16:17]
	v_add_nc_u32_e32 v3, 0xc0, v3
	s_cbranch_scc1 .LBB160_25
.LBB160_26:                             ;   in Loop: Header=BB160_3 Depth=1
	s_or_b32 exec_lo, exec_lo, s42
	s_delay_alu instid0(SALU_CYCLE_1)
	s_and_not1_b32 vcc_lo, exec_lo, s35
	s_mov_b32 s3, -1
	s_wait_dscnt 0x0
	; wave barrier
	s_cbranch_vccnz .LBB160_55
; %bb.27:                               ;   in Loop: Header=BB160_3 Depth=1
	s_mov_b32 s18, 0
	s_mov_b32 s3, s33
	s_branch .LBB160_29
.LBB160_28:                             ;   in Loop: Header=BB160_29 Depth=2
	s_cmp_gt_i32 s3, -1
	s_cselect_b32 s28, -1, 0
	s_add_co_i32 s29, s18, 1
	s_cmp_lt_u32 s18, 2
	s_wait_xcnt 0x0
	s_cselect_b32 s18, -1, 0
	s_delay_alu instid0(SALU_CYCLE_1) | instskip(NEXT) | instid1(SALU_CYCLE_1)
	s_and_b32 s18, s28, s18
	s_and_b32 vcc_lo, exec_lo, s18
	s_mov_b32 s18, s29
	s_cbranch_vccz .LBB160_54
.LBB160_29:                             ;   Parent Loop BB160_3 Depth=1
                                        ; =>  This Loop Header: Depth=2
                                        ;       Child Loop BB160_32 Depth 3
                                        ;         Child Loop BB160_33 Depth 4
                                        ;         Child Loop BB160_37 Depth 4
                                        ;           Child Loop BB160_39 Depth 5
                                        ;           Child Loop BB160_45 Depth 5
                                        ;         Child Loop BB160_48 Depth 4
                                        ;           Child Loop BB160_50 Depth 5
	s_load_b32 s28, s[24:25], s18 offset:0x0 scale_offset
	s_wait_kmcnt 0x0
	s_add_co_i32 s29, s28, -1
	s_delay_alu instid0(SALU_CYCLE_1)
	s_cmp_lt_i32 s3, s29
	s_cbranch_scc1 .LBB160_28
; %bb.30:                               ;   in Loop: Header=BB160_29 Depth=2
	s_max_i32 s42, s28, 1
	s_cmp_lg_u32 s18, 2
	s_mul_i32 s47, s3, 0xc0
	s_cselect_b32 s43, -1, 0
	s_and_b32 s44, s42, 0x7ffffffe
	v_add_nc_u32_e32 v3, s47, v22
	s_cmp_lg_u32 s42, s44
	s_mul_i32 s46, s28, 0xffffff40
	s_cselect_b32 s45, -1, 0
	s_add_co_i32 s47, s41, s47
	s_mul_i32 s48, s3, 0xc8
	s_mul_i32 s49, s28, 0xffffff38
	s_branch .LBB160_32
.LBB160_31:                             ;   in Loop: Header=BB160_32 Depth=3
	v_add_nc_u32_e32 v3, s46, v3
	s_sub_co_i32 s3, s3, s28
	s_add_co_i32 s47, s47, s46
	s_add_co_i32 s48, s48, s49
	s_cmp_lt_i32 s3, s29
	s_cbranch_scc1 .LBB160_28
.LBB160_32:                             ;   Parent Loop BB160_3 Depth=1
                                        ;     Parent Loop BB160_29 Depth=2
                                        ; =>    This Loop Header: Depth=3
                                        ;         Child Loop BB160_33 Depth 4
                                        ;         Child Loop BB160_37 Depth 4
                                        ;           Child Loop BB160_39 Depth 5
                                        ;           Child Loop BB160_45 Depth 5
                                        ;         Child Loop BB160_48 Depth 4
                                        ;           Child Loop BB160_50 Depth 5
	s_wait_xcnt 0x0
	v_mov_b32_e32 v14, v3
	s_mov_b32 s50, 0
	s_mov_b32 s51, s42
.LBB160_33:                             ;   Parent Loop BB160_3 Depth=1
                                        ;     Parent Loop BB160_29 Depth=2
                                        ;       Parent Loop BB160_32 Depth=3
                                        ; =>      This Inner Loop Header: Depth=4
	ds_load_b64 v[16:17], v14
	v_add_nc_u32_e32 v14, 0xffffff40, v14
	s_add_co_i32 s51, s51, -1
	s_wait_dscnt 0x0
	scratch_store_b64 off, v[16:17], s50
	s_wait_xcnt 0x0
	s_add_co_i32 s50, s50, 8
	s_cmp_eq_u32 s51, 0
	s_cbranch_scc0 .LBB160_33
; %bb.34:                               ;   in Loop: Header=BB160_32 Depth=3
	s_cmp_le_i32 s33, s3
	s_cbranch_scc1 .LBB160_46
; %bb.35:                               ;   in Loop: Header=BB160_32 Depth=3
	s_mov_b32 s50, s3
	s_mov_b32 s51, s47
	;; [unrolled: 1-line block ×3, first 2 shown]
	s_branch .LBB160_37
.LBB160_36:                             ;   in Loop: Header=BB160_37 Depth=4
	s_add_co_i32 s52, s52, -1
	s_add_co_i32 s51, s51, -8
	s_cmp_le_i32 s52, s3
	s_cbranch_scc1 .LBB160_46
.LBB160_37:                             ;   Parent Loop BB160_3 Depth=1
                                        ;     Parent Loop BB160_29 Depth=2
                                        ;       Parent Loop BB160_32 Depth=3
                                        ; =>      This Loop Header: Depth=4
                                        ;           Child Loop BB160_39 Depth 5
                                        ;           Child Loop BB160_45 Depth 5
	v_mad_u32 v14, 0xc0, s52, v22
	s_and_b32 vcc_lo, exec_lo, s43
	ds_load_b64 v[14:15], v14
	s_cbranch_vccz .LBB160_41
; %bb.38:                               ;   in Loop: Header=BB160_37 Depth=4
	s_wait_dscnt 0x0
	v_dual_mov_b32 v18, v14 :: v_dual_mov_b32 v19, v14
	v_dual_mov_b32 v16, v15 :: v_dual_mov_b32 v20, v15
	v_mov_b32_e32 v21, v15
	s_lshl_b32 s53, s52, 3
	s_mov_b32 s54, 1
	s_mov_b32 s55, 0
	;; [unrolled: 1-line block ×4, first 2 shown]
.LBB160_39:                             ;   Parent Loop BB160_3 Depth=1
                                        ;     Parent Loop BB160_29 Depth=2
                                        ;       Parent Loop BB160_32 Depth=3
                                        ;         Parent Loop BB160_37 Depth=4
                                        ; =>        This Inner Loop Header: Depth=5
	scratch_load_b128 v[24:27], off, s57 offset:-8
	s_sub_co_i32 s58, s50, s54
	s_sub_co_i32 s59, s3, s55
	s_mulk_i32 s58, 0xc0
	s_mulk_i32 s59, 0xc0
	s_add_co_i32 s58, s53, s58
	s_add_co_i32 s59, s53, s59
	s_delay_alu instid0(SALU_CYCLE_1)
	v_dual_mov_b32 v17, s58 :: v_dual_mov_b32 v30, s59
	s_add_co_i32 s56, s56, -2
	s_add_co_i32 s55, s55, 2
	ds_load_b64 v[28:29], v17
	ds_load_b64 v[30:31], v30
	s_add_co_i32 s54, s54, 2
	s_wait_dscnt 0x0
	v_dual_mov_b32 v33, v28 :: v_dual_mov_b32 v28, v31
	v_mov_b32_e32 v32, v30
	s_delay_alu instid0(VALU_DEP_2) | instskip(SKIP_1) | instid1(VALU_DEP_2)
	v_pk_mul_f32 v[30:31], v[28:29], v[20:21]
	v_pk_mul_f32 v[28:29], v[28:29], v[18:19]
	v_pk_fma_f32 v[30:31], v[32:33], v[18:19], v[30:31] neg_lo:[0,0,1] neg_hi:[0,0,1]
	s_delay_alu instid0(VALU_DEP_2) | instskip(SKIP_3) | instid1(VALU_DEP_2)
	v_pk_fma_f32 v[28:29], v[32:33], v[20:21], v[28:29]
	s_wait_loadcnt 0x0
	v_dual_mov_b32 v32, v24 :: v_dual_mov_b32 v33, v26
	v_mov_b32_e32 v26, v25
	v_pk_add_f32 v[30:31], v[32:33], v[30:31] neg_lo:[0,1] neg_hi:[0,1]
	s_delay_alu instid0(VALU_DEP_2) | instskip(NEXT) | instid1(VALU_DEP_1)
	v_pk_add_f32 v[26:27], v[26:27], v[28:29] neg_lo:[0,1] neg_hi:[0,1]
	v_dual_mov_b32 v24, v30 :: v_dual_mov_b32 v25, v26
	s_delay_alu instid0(VALU_DEP_3)
	v_mov_b32_e32 v26, v31
	scratch_store_b128 off, v[24:27], s57 offset:-8
	s_wait_xcnt 0x0
	s_add_co_i32 s57, s57, 16
	s_cmp_lg_u32 s56, 0
	s_cbranch_scc1 .LBB160_39
; %bb.40:                               ;   in Loop: Header=BB160_37 Depth=4
	s_mov_b32 s53, s45
	s_mov_b32 s54, s44
	s_branch .LBB160_43
.LBB160_41:                             ;   in Loop: Header=BB160_37 Depth=4
	s_wait_dscnt 0x0
	v_mov_b32_e32 v16, v15
	s_mov_b32 s53, 0
	s_mov_b32 s54, s44
	s_cbranch_execz .LBB160_43
; %bb.42:                               ;   in Loop: Header=BB160_37 Depth=4
	s_mov_b32 s53, -1
	s_mov_b32 s54, 0
.LBB160_43:                             ;   in Loop: Header=BB160_37 Depth=4
	s_and_not1_b32 vcc_lo, exec_lo, s53
	s_cbranch_vccnz .LBB160_36
; %bb.44:                               ;   in Loop: Header=BB160_37 Depth=4
	v_dual_mov_b32 v17, v15 :: v_dual_mov_b32 v15, v14
	s_mul_i32 s55, s54, 0xffffff40
	s_lshl_b32 s56, s54, 3
	s_sub_co_i32 s53, s42, s54
	s_add_co_i32 s54, s51, s55
	s_mov_b32 s55, s56
.LBB160_45:                             ;   Parent Loop BB160_3 Depth=1
                                        ;     Parent Loop BB160_29 Depth=2
                                        ;       Parent Loop BB160_32 Depth=3
                                        ;         Parent Loop BB160_37 Depth=4
                                        ; =>        This Inner Loop Header: Depth=5
	scratch_load_b64 v[18:19], off, s55
	v_mov_b32_e32 v20, s54
	s_add_co_i32 s53, s53, -1
	s_addk_co_i32 s54, 0xff40
	ds_load_b64 v[20:21], v20
	s_wait_dscnt 0x0
	v_pk_mul_f32 v[24:25], v[20:21], v[16:17] op_sel:[1,0] op_sel_hi:[0,1]
	s_delay_alu instid0(VALU_DEP_1) | instskip(SKIP_1) | instid1(VALU_DEP_2)
	v_pk_fma_f32 v[26:27], v[20:21], v[14:15], v[24:25]
	v_pk_fma_f32 v[20:21], v[20:21], v[14:15], v[24:25] neg_lo:[0,0,1] neg_hi:[0,0,1]
	v_mov_b32_e32 v21, v27
	s_wait_loadcnt 0x0
	s_delay_alu instid0(VALU_DEP_1)
	v_pk_add_f32 v[18:19], v[18:19], v[20:21] neg_lo:[0,1] neg_hi:[0,1]
	scratch_store_b64 off, v[18:19], s55
	s_wait_xcnt 0x0
	s_add_co_i32 s55, s55, 8
	s_cmp_eq_u32 s53, 0
	s_cbranch_scc0 .LBB160_45
	s_branch .LBB160_36
.LBB160_46:                             ;   in Loop: Header=BB160_32 Depth=3
	s_mul_i32 s50, s3, 0xc0
	s_mov_b32 s51, 0
	s_mov_b32 s52, s48
	s_branch .LBB160_48
.LBB160_47:                             ;   in Loop: Header=BB160_48 Depth=4
	s_wait_xcnt 0x0
	s_mulk_i32 s54, 0xc8
	s_addk_co_i32 s52, 0xff40
	v_mov_b32_e32 v15, s54
	s_lshl_b32 s54, s51, 3
	s_add_co_i32 s51, s51, 1
	s_delay_alu instid0(SALU_CYCLE_1) | instskip(SKIP_3) | instid1(VALU_DEP_1)
	s_cmp_eq_u32 s51, s42
	ds_load_b64 v[18:19], v15
	s_wait_dscnt 0x0
	v_pk_mul_f32 v[16:17], v[18:19], v[16:17] op_sel:[1,0] op_sel_hi:[0,0]
	v_pk_fma_f32 v[20:21], v[18:19], v[14:15], v[16:17] op_sel_hi:[1,0,1]
	v_add_nc_u32_e32 v20, s53, v22
	v_pk_fma_f32 v[14:15], v[18:19], v[14:15], v[16:17] neg_lo:[0,0,1] neg_hi:[0,0,1]
	s_delay_alu instid0(VALU_DEP_3)
	v_mov_b32_e32 v15, v21
	scratch_store_b64 off, v[14:15], s54
	ds_store_b64 v20, v[14:15]
	s_cbranch_scc1 .LBB160_31
.LBB160_48:                             ;   Parent Loop BB160_3 Depth=1
                                        ;     Parent Loop BB160_29 Depth=2
                                        ;       Parent Loop BB160_32 Depth=3
                                        ; =>      This Loop Header: Depth=4
                                        ;           Child Loop BB160_50 Depth 5
	s_cmp_lg_u32 s51, 0
	s_cbranch_scc0 .LBB160_52
; %bb.49:                               ;   in Loop: Header=BB160_48 Depth=4
	s_lshl_b32 s53, s51, 3
	s_wait_xcnt 0x0
	s_mov_b32 s54, 0
	scratch_load_b64 v[14:15], off, s53
	s_mov_b32 s55, s52
	s_mov_b32 s56, s51
.LBB160_50:                             ;   Parent Loop BB160_3 Depth=1
                                        ;     Parent Loop BB160_29 Depth=2
                                        ;       Parent Loop BB160_32 Depth=3
                                        ;         Parent Loop BB160_48 Depth=4
                                        ; =>        This Inner Loop Header: Depth=5
	scratch_load_b64 v[16:17], off, s54
	v_mov_b32_e32 v18, s55
	s_add_co_i32 s56, s56, -1
	s_add_co_i32 s55, s55, -8
	s_wait_xcnt 0x0
	s_add_co_i32 s54, s54, 8
	s_cmp_eq_u32 s56, 0
	ds_load_b64 v[18:19], v18
	s_wait_loadcnt_dscnt 0x0
	v_pk_mul_f32 v[20:21], v[18:19], v[16:17] op_sel:[1,1] op_sel_hi:[0,1]
	s_delay_alu instid0(VALU_DEP_1) | instskip(SKIP_1) | instid1(VALU_DEP_2)
	v_pk_fma_f32 v[24:25], v[18:19], v[16:17], v[20:21] op_sel_hi:[1,0,1]
	v_pk_fma_f32 v[16:17], v[18:19], v[16:17], v[20:21] neg_lo:[0,0,1] neg_hi:[0,0,1]
	v_mov_b32_e32 v17, v25
	s_delay_alu instid0(VALU_DEP_1)
	v_pk_add_f32 v[14:15], v[14:15], v[16:17] neg_lo:[0,1] neg_hi:[0,1]
	scratch_store_b64 off, v[14:15], s53
	s_cbranch_scc0 .LBB160_50
; %bb.51:                               ;   in Loop: Header=BB160_48 Depth=4
	v_mov_b32_e32 v16, v15
	s_sub_co_i32 s54, s3, s51
	s_wait_xcnt 0x0
	s_mul_i32 s53, s54, 0xc0
	s_branch .LBB160_47
.LBB160_52:                             ;   in Loop: Header=BB160_48 Depth=4
                                        ; implicit-def: $vgpr14
                                        ; implicit-def: $vgpr16
                                        ; implicit-def: $sgpr54
                                        ; implicit-def: $sgpr53
	s_cbranch_execz .LBB160_47
; %bb.53:                               ;   in Loop: Header=BB160_48 Depth=4
	scratch_load_b64 v[14:15], off, off
	s_mov_b32 s53, s50
	s_mov_b32 s54, s3
	s_wait_loadcnt 0x0
	v_mov_b32_e32 v16, v15
	s_branch .LBB160_47
.LBB160_54:                             ;   in Loop: Header=BB160_3 Depth=1
	s_mov_b32 s3, 0
.LBB160_55:                             ;   in Loop: Header=BB160_3 Depth=1
	s_delay_alu instid0(SALU_CYCLE_1)
	s_and_b32 vcc_lo, exec_lo, s3
	s_cbranch_vccz .LBB160_83
; %bb.56:                               ;   in Loop: Header=BB160_3 Depth=1
	s_mov_b32 s18, 0
	s_mov_b32 s3, 0
	s_branch .LBB160_58
.LBB160_57:                             ;   in Loop: Header=BB160_58 Depth=2
	s_cmp_lt_i32 s3, s31
	s_cselect_b32 s28, -1, 0
	s_add_co_i32 s29, s18, 1
	s_cmp_lt_u32 s18, 2
	s_wait_xcnt 0x0
	s_cselect_b32 s18, -1, 0
	s_delay_alu instid0(SALU_CYCLE_1) | instskip(NEXT) | instid1(SALU_CYCLE_1)
	s_and_b32 s18, s28, s18
	s_and_not1_b32 vcc_lo, exec_lo, s18
	s_mov_b32 s18, s29
	s_cbranch_vccnz .LBB160_83
.LBB160_58:                             ;   Parent Loop BB160_3 Depth=1
                                        ; =>  This Loop Header: Depth=2
                                        ;       Child Loop BB160_61 Depth 3
                                        ;         Child Loop BB160_62 Depth 4
                                        ;         Child Loop BB160_66 Depth 4
                                        ;           Child Loop BB160_68 Depth 5
                                        ;           Child Loop BB160_74 Depth 5
                                        ;         Child Loop BB160_77 Depth 4
                                        ;           Child Loop BB160_79 Depth 5
	s_load_b32 s28, s[24:25], s18 offset:0x0 scale_offset
	s_wait_kmcnt 0x0
	s_add_co_i32 s29, s28, -1
	s_delay_alu instid0(SALU_CYCLE_1) | instskip(NEXT) | instid1(SALU_CYCLE_1)
	s_add_co_i32 s42, s29, s3
	s_cmp_ge_i32 s42, s31
	s_cbranch_scc1 .LBB160_57
; %bb.59:                               ;   in Loop: Header=BB160_58 Depth=2
	v_mad_u32 v3, 0xc0, s3, v22
	s_max_i32 s42, s28, 1
	s_cmp_lg_u32 s18, 2
	s_mul_i32 s45, s28, 0xc0
	s_cselect_b32 s43, -1, 0
	s_and_b32 s44, s42, 0x7ffffffe
	s_mul_i32 s49, s3, 0xc8
	s_cmp_lg_u32 s42, s44
	s_mul_i32 s50, s28, 0xc8
	s_cselect_b32 s46, -1, 0
	s_lshl_b32 s47, s3, 3
	s_lshl_b32 s48, s28, 3
	s_branch .LBB160_61
.LBB160_60:                             ;   in Loop: Header=BB160_61 Depth=3
	s_add_co_i32 s3, s3, s28
	v_add_nc_u32_e32 v3, s45, v3
	s_add_co_i32 s51, s29, s3
	s_add_co_i32 s47, s47, s48
	;; [unrolled: 1-line block ×3, first 2 shown]
	s_cmp_ge_i32 s51, s31
	s_cbranch_scc1 .LBB160_57
.LBB160_61:                             ;   Parent Loop BB160_3 Depth=1
                                        ;     Parent Loop BB160_58 Depth=2
                                        ; =>    This Loop Header: Depth=3
                                        ;         Child Loop BB160_62 Depth 4
                                        ;         Child Loop BB160_66 Depth 4
                                        ;           Child Loop BB160_68 Depth 5
                                        ;           Child Loop BB160_74 Depth 5
                                        ;         Child Loop BB160_77 Depth 4
                                        ;           Child Loop BB160_79 Depth 5
	s_wait_xcnt 0x0
	v_mov_b32_e32 v14, v3
	s_mov_b32 s51, 0
	s_mov_b32 s52, s42
.LBB160_62:                             ;   Parent Loop BB160_3 Depth=1
                                        ;     Parent Loop BB160_58 Depth=2
                                        ;       Parent Loop BB160_61 Depth=3
                                        ; =>      This Inner Loop Header: Depth=4
	ds_load_b64 v[16:17], v14
	v_add_nc_u32_e32 v14, 0xc0, v14
	s_add_co_i32 s52, s52, -1
	s_wait_dscnt 0x0
	scratch_store_b64 off, v[16:17], s51
	s_wait_xcnt 0x0
	s_add_co_i32 s51, s51, 8
	s_cmp_eq_u32 s52, 0
	s_cbranch_scc0 .LBB160_62
; %bb.63:                               ;   in Loop: Header=BB160_61 Depth=3
	s_cmp_lt_i32 s3, 1
	s_cbranch_scc1 .LBB160_75
; %bb.64:                               ;   in Loop: Header=BB160_61 Depth=3
	s_mov_b32 s51, 0
	s_mov_b32 s52, s47
	s_branch .LBB160_66
.LBB160_65:                             ;   in Loop: Header=BB160_66 Depth=4
	s_add_co_i32 s51, s51, 1
	s_addk_co_i32 s52, 0xc0
	s_cmp_eq_u32 s51, s3
	s_cbranch_scc1 .LBB160_75
.LBB160_66:                             ;   Parent Loop BB160_3 Depth=1
                                        ;     Parent Loop BB160_58 Depth=2
                                        ;       Parent Loop BB160_61 Depth=3
                                        ; =>      This Loop Header: Depth=4
                                        ;           Child Loop BB160_68 Depth 5
                                        ;           Child Loop BB160_74 Depth 5
	v_mad_u32 v14, 0xc0, s51, v22
	s_and_b32 vcc_lo, exec_lo, s43
	ds_load_b64 v[14:15], v14
	s_cbranch_vccz .LBB160_70
; %bb.67:                               ;   in Loop: Header=BB160_66 Depth=4
	s_wait_dscnt 0x0
	s_wait_xcnt 0x0
	v_dual_mov_b32 v18, v14 :: v_dual_mov_b32 v19, v14
	v_dual_mov_b32 v16, v15 :: v_dual_mov_b32 v20, v15
	v_mov_b32_e32 v21, v15
	s_mov_b32 s53, s44
	s_mov_b32 s54, s40
	;; [unrolled: 1-line block ×3, first 2 shown]
.LBB160_68:                             ;   Parent Loop BB160_3 Depth=1
                                        ;     Parent Loop BB160_58 Depth=2
                                        ;       Parent Loop BB160_61 Depth=3
                                        ;         Parent Loop BB160_66 Depth=4
                                        ; =>        This Inner Loop Header: Depth=5
	scratch_load_b128 v[24:27], off, s54 offset:-8
	v_mov_b32_e32 v17, s55
	s_add_co_i32 s53, s53, -2
	s_add_co_i32 s55, s55, 16
	ds_load_2addr_b64 v[28:31], v17 offset1:1
	s_wait_dscnt 0x0
	v_dual_mov_b32 v33, v30 :: v_dual_mov_b32 v30, v29
	v_mov_b32_e32 v32, v28
	s_delay_alu instid0(VALU_DEP_2) | instskip(SKIP_1) | instid1(VALU_DEP_2)
	v_pk_mul_f32 v[28:29], v[30:31], v[20:21]
	v_pk_mul_f32 v[30:31], v[30:31], v[18:19]
	v_pk_fma_f32 v[28:29], v[32:33], v[18:19], v[28:29] neg_lo:[0,0,1] neg_hi:[0,0,1]
	s_delay_alu instid0(VALU_DEP_2) | instskip(SKIP_2) | instid1(VALU_DEP_1)
	v_pk_fma_f32 v[30:31], v[32:33], v[20:21], v[30:31]
	s_wait_loadcnt 0x0
	v_dual_mov_b32 v32, v24 :: v_dual_mov_b32 v33, v26
	v_pk_add_f32 v[28:29], v[32:33], v[28:29] neg_lo:[0,1] neg_hi:[0,1]
	s_delay_alu instid0(VALU_DEP_1) | instskip(NEXT) | instid1(VALU_DEP_1)
	v_dual_mov_b32 v26, v25 :: v_dual_mov_b32 v24, v28
	v_pk_add_f32 v[26:27], v[26:27], v[30:31] neg_lo:[0,1] neg_hi:[0,1]
	s_delay_alu instid0(VALU_DEP_1)
	v_dual_mov_b32 v25, v26 :: v_dual_mov_b32 v26, v29
	scratch_store_b128 off, v[24:27], s54 offset:-8
	s_wait_xcnt 0x0
	s_add_co_i32 s54, s54, 16
	s_cmp_lg_u32 s53, 0
	s_cbranch_scc1 .LBB160_68
; %bb.69:                               ;   in Loop: Header=BB160_66 Depth=4
	s_mov_b32 s53, s46
	s_mov_b32 s54, s44
	s_branch .LBB160_72
.LBB160_70:                             ;   in Loop: Header=BB160_66 Depth=4
	s_wait_dscnt 0x0
	v_mov_b32_e32 v16, v15
	s_mov_b32 s53, 0
	s_mov_b32 s54, s44
	s_cbranch_execz .LBB160_72
; %bb.71:                               ;   in Loop: Header=BB160_66 Depth=4
	s_mov_b32 s53, -1
	s_mov_b32 s54, 0
.LBB160_72:                             ;   in Loop: Header=BB160_66 Depth=4
	s_and_not1_b32 vcc_lo, exec_lo, s53
	s_cbranch_vccnz .LBB160_65
; %bb.73:                               ;   in Loop: Header=BB160_66 Depth=4
	v_dual_mov_b32 v17, v15 :: v_dual_mov_b32 v15, v14
	s_sub_co_i32 s53, s42, s54
	s_lshl_b32 s54, s54, 3
.LBB160_74:                             ;   Parent Loop BB160_3 Depth=1
                                        ;     Parent Loop BB160_58 Depth=2
                                        ;       Parent Loop BB160_61 Depth=3
                                        ;         Parent Loop BB160_66 Depth=4
                                        ; =>        This Inner Loop Header: Depth=5
	scratch_load_b64 v[18:19], off, s54
	s_add_co_i32 s56, s52, s54
	s_add_co_i32 s53, s53, -1
	v_mov_b32_e32 v20, s56
	s_mov_b32 s55, s54
	s_wait_xcnt 0x0
	s_add_co_i32 s54, s54, 8
	s_cmp_eq_u32 s53, 0
	ds_load_b64 v[20:21], v20
	s_wait_dscnt 0x0
	v_pk_mul_f32 v[24:25], v[20:21], v[16:17] op_sel:[1,0] op_sel_hi:[0,1]
	s_delay_alu instid0(VALU_DEP_1) | instskip(SKIP_1) | instid1(VALU_DEP_2)
	v_pk_fma_f32 v[26:27], v[20:21], v[14:15], v[24:25]
	v_pk_fma_f32 v[20:21], v[20:21], v[14:15], v[24:25] neg_lo:[0,0,1] neg_hi:[0,0,1]
	v_mov_b32_e32 v21, v27
	s_wait_loadcnt 0x0
	s_delay_alu instid0(VALU_DEP_1)
	v_pk_add_f32 v[18:19], v[18:19], v[20:21] neg_lo:[0,1] neg_hi:[0,1]
	scratch_store_b64 off, v[18:19], s55
	s_cbranch_scc0 .LBB160_74
	s_branch .LBB160_65
.LBB160_75:                             ;   in Loop: Header=BB160_61 Depth=3
	s_mov_b32 s51, 0
	s_mov_b32 s52, s49
	s_branch .LBB160_77
.LBB160_76:                             ;   in Loop: Header=BB160_77 Depth=4
	s_add_co_i32 s53, s51, s3
	s_add_co_i32 s52, s52, 8
	s_mul_i32 s54, s53, 0xc8
	v_mad_u32 v24, 0xc0, s53, v22
	v_mov_b32_e32 v15, s54
	s_lshl_b32 s53, s51, 3
	s_add_co_i32 s51, s51, 1
	s_delay_alu instid0(SALU_CYCLE_1) | instskip(SKIP_4) | instid1(VALU_DEP_1)
	s_cmp_eq_u32 s51, s42
	s_wait_xcnt 0x0
	ds_load_b64 v[18:19], v15
	s_wait_dscnt 0x0
	v_pk_mul_f32 v[16:17], v[18:19], v[16:17] op_sel:[1,0] op_sel_hi:[0,0]
	v_pk_fma_f32 v[20:21], v[18:19], v[14:15], v[16:17] op_sel_hi:[1,0,1]
	v_pk_fma_f32 v[14:15], v[18:19], v[14:15], v[16:17] neg_lo:[0,0,1] neg_hi:[0,0,1]
	s_delay_alu instid0(VALU_DEP_2)
	v_mov_b32_e32 v15, v21
	scratch_store_b64 off, v[14:15], s53
	ds_store_b64 v24, v[14:15]
	s_cbranch_scc1 .LBB160_60
.LBB160_77:                             ;   Parent Loop BB160_3 Depth=1
                                        ;     Parent Loop BB160_58 Depth=2
                                        ;       Parent Loop BB160_61 Depth=3
                                        ; =>      This Loop Header: Depth=4
                                        ;           Child Loop BB160_79 Depth 5
	s_cmp_lg_u32 s51, 0
	s_cbranch_scc0 .LBB160_81
; %bb.78:                               ;   in Loop: Header=BB160_77 Depth=4
	s_wait_xcnt 0x0
	s_lshl_b32 s53, s51, 3
	s_mov_b32 s54, 0
	scratch_load_b64 v[14:15], off, s53
	s_wait_xcnt 0x1
	s_mov_b32 s55, s52
	s_mov_b32 s56, s51
.LBB160_79:                             ;   Parent Loop BB160_3 Depth=1
                                        ;     Parent Loop BB160_58 Depth=2
                                        ;       Parent Loop BB160_61 Depth=3
                                        ;         Parent Loop BB160_77 Depth=4
                                        ; =>        This Inner Loop Header: Depth=5
	scratch_load_b64 v[16:17], off, s54
	v_mov_b32_e32 v18, s55
	s_add_co_i32 s56, s56, -1
	s_addk_co_i32 s55, 0xc0
	s_wait_xcnt 0x0
	s_add_co_i32 s54, s54, 8
	s_cmp_eq_u32 s56, 0
	ds_load_b64 v[18:19], v18
	s_wait_loadcnt_dscnt 0x0
	v_pk_mul_f32 v[20:21], v[18:19], v[16:17] op_sel:[1,1] op_sel_hi:[0,1]
	s_delay_alu instid0(VALU_DEP_1) | instskip(SKIP_1) | instid1(VALU_DEP_2)
	v_pk_fma_f32 v[24:25], v[18:19], v[16:17], v[20:21] op_sel_hi:[1,0,1]
	v_pk_fma_f32 v[16:17], v[18:19], v[16:17], v[20:21] neg_lo:[0,0,1] neg_hi:[0,0,1]
	v_mov_b32_e32 v17, v25
	s_delay_alu instid0(VALU_DEP_1)
	v_pk_add_f32 v[14:15], v[14:15], v[16:17] neg_lo:[0,1] neg_hi:[0,1]
	scratch_store_b64 off, v[14:15], s53
	s_cbranch_scc0 .LBB160_79
; %bb.80:                               ;   in Loop: Header=BB160_77 Depth=4
	v_mov_b32_e32 v16, v15
	s_wait_xcnt 0x0
	s_branch .LBB160_76
.LBB160_81:                             ;   in Loop: Header=BB160_77 Depth=4
	s_wait_xcnt 0x0
                                        ; implicit-def: $vgpr14
                                        ; implicit-def: $vgpr16
	s_cbranch_execz .LBB160_76
; %bb.82:                               ;   in Loop: Header=BB160_77 Depth=4
	scratch_load_b64 v[14:15], off, off
	s_wait_loadcnt 0x0
	v_mov_b32_e32 v16, v15
	s_branch .LBB160_76
.LBB160_83:                             ;   in Loop: Header=BB160_3 Depth=1
	; wave barrier
	s_wait_storecnt_dscnt 0x0
	s_wait_xcnt 0x0
	s_and_saveexec_b32 s3, s36
	s_cbranch_execz .LBB160_2
; %bb.84:                               ;   in Loop: Header=BB160_3 Depth=1
	v_add_nc_u64_e32 v[14:15], s[26:27], v[6:7]
	v_mov_b32_e32 v3, v22
	s_mov_b32 s18, s31
.LBB160_85:                             ;   Parent Loop BB160_3 Depth=1
                                        ; =>  This Inner Loop Header: Depth=2
	ds_load_b64 v[16:17], v3
	v_add_nc_u32_e32 v3, 0xc0, v3
	s_add_co_i32 s18, s18, -1
	s_delay_alu instid0(SALU_CYCLE_1)
	s_cmp_lg_u32 s18, 0
	s_wait_dscnt 0x0
	global_store_b64 v[14:15], v[16:17], off
	s_wait_xcnt 0x0
	v_add_nc_u64_e32 v[14:15], 8, v[14:15]
	s_cbranch_scc1 .LBB160_85
	s_branch .LBB160_2
.LBB160_86:
	s_endpgm
	.section	.rodata,"a",@progbits
	.p2align	6, 0x0
	.amdhsa_kernel _ZL38rocblas_trsm_small_left_device_sharedBILi24ELi24ELb1E19rocblas_complex_numIfES1_PKS1_PS1_Ev13rocblas_fill_18rocblas_operation_17rocblas_diagonal_iiT3_T4_lilT5_lili
		.amdhsa_group_segment_fixed_size 9216
		.amdhsa_private_segment_fixed_size 208
		.amdhsa_kernarg_size 360
		.amdhsa_user_sgpr_count 2
		.amdhsa_user_sgpr_dispatch_ptr 0
		.amdhsa_user_sgpr_queue_ptr 0
		.amdhsa_user_sgpr_kernarg_segment_ptr 1
		.amdhsa_user_sgpr_dispatch_id 0
		.amdhsa_user_sgpr_kernarg_preload_length 0
		.amdhsa_user_sgpr_kernarg_preload_offset 0
		.amdhsa_user_sgpr_private_segment_size 0
		.amdhsa_wavefront_size32 1
		.amdhsa_uses_dynamic_stack 0
		.amdhsa_enable_private_segment 1
		.amdhsa_system_sgpr_workgroup_id_x 1
		.amdhsa_system_sgpr_workgroup_id_y 0
		.amdhsa_system_sgpr_workgroup_id_z 1
		.amdhsa_system_sgpr_workgroup_info 0
		.amdhsa_system_vgpr_workitem_id 0
		.amdhsa_next_free_vgpr 97
		.amdhsa_next_free_sgpr 60
		.amdhsa_named_barrier_count 0
		.amdhsa_reserve_vcc 1
		.amdhsa_float_round_mode_32 0
		.amdhsa_float_round_mode_16_64 0
		.amdhsa_float_denorm_mode_32 3
		.amdhsa_float_denorm_mode_16_64 3
		.amdhsa_fp16_overflow 0
		.amdhsa_memory_ordered 1
		.amdhsa_forward_progress 1
		.amdhsa_inst_pref_size 31
		.amdhsa_round_robin_scheduling 0
		.amdhsa_exception_fp_ieee_invalid_op 0
		.amdhsa_exception_fp_denorm_src 0
		.amdhsa_exception_fp_ieee_div_zero 0
		.amdhsa_exception_fp_ieee_overflow 0
		.amdhsa_exception_fp_ieee_underflow 0
		.amdhsa_exception_fp_ieee_inexact 0
		.amdhsa_exception_int_div_zero 0
	.end_amdhsa_kernel
	.section	.text._ZL38rocblas_trsm_small_left_device_sharedBILi24ELi24ELb1E19rocblas_complex_numIfES1_PKS1_PS1_Ev13rocblas_fill_18rocblas_operation_17rocblas_diagonal_iiT3_T4_lilT5_lili,"axG",@progbits,_ZL38rocblas_trsm_small_left_device_sharedBILi24ELi24ELb1E19rocblas_complex_numIfES1_PKS1_PS1_Ev13rocblas_fill_18rocblas_operation_17rocblas_diagonal_iiT3_T4_lilT5_lili,comdat
.Lfunc_end160:
	.size	_ZL38rocblas_trsm_small_left_device_sharedBILi24ELi24ELb1E19rocblas_complex_numIfES1_PKS1_PS1_Ev13rocblas_fill_18rocblas_operation_17rocblas_diagonal_iiT3_T4_lilT5_lili, .Lfunc_end160-_ZL38rocblas_trsm_small_left_device_sharedBILi24ELi24ELb1E19rocblas_complex_numIfES1_PKS1_PS1_Ev13rocblas_fill_18rocblas_operation_17rocblas_diagonal_iiT3_T4_lilT5_lili
                                        ; -- End function
	.set _ZL38rocblas_trsm_small_left_device_sharedBILi24ELi24ELb1E19rocblas_complex_numIfES1_PKS1_PS1_Ev13rocblas_fill_18rocblas_operation_17rocblas_diagonal_iiT3_T4_lilT5_lili.num_vgpr, 34
	.set _ZL38rocblas_trsm_small_left_device_sharedBILi24ELi24ELb1E19rocblas_complex_numIfES1_PKS1_PS1_Ev13rocblas_fill_18rocblas_operation_17rocblas_diagonal_iiT3_T4_lilT5_lili.num_agpr, 0
	.set _ZL38rocblas_trsm_small_left_device_sharedBILi24ELi24ELb1E19rocblas_complex_numIfES1_PKS1_PS1_Ev13rocblas_fill_18rocblas_operation_17rocblas_diagonal_iiT3_T4_lilT5_lili.numbered_sgpr, 60
	.set _ZL38rocblas_trsm_small_left_device_sharedBILi24ELi24ELb1E19rocblas_complex_numIfES1_PKS1_PS1_Ev13rocblas_fill_18rocblas_operation_17rocblas_diagonal_iiT3_T4_lilT5_lili.num_named_barrier, 0
	.set _ZL38rocblas_trsm_small_left_device_sharedBILi24ELi24ELb1E19rocblas_complex_numIfES1_PKS1_PS1_Ev13rocblas_fill_18rocblas_operation_17rocblas_diagonal_iiT3_T4_lilT5_lili.private_seg_size, 208
	.set _ZL38rocblas_trsm_small_left_device_sharedBILi24ELi24ELb1E19rocblas_complex_numIfES1_PKS1_PS1_Ev13rocblas_fill_18rocblas_operation_17rocblas_diagonal_iiT3_T4_lilT5_lili.uses_vcc, 1
	.set _ZL38rocblas_trsm_small_left_device_sharedBILi24ELi24ELb1E19rocblas_complex_numIfES1_PKS1_PS1_Ev13rocblas_fill_18rocblas_operation_17rocblas_diagonal_iiT3_T4_lilT5_lili.uses_flat_scratch, 0
	.set _ZL38rocblas_trsm_small_left_device_sharedBILi24ELi24ELb1E19rocblas_complex_numIfES1_PKS1_PS1_Ev13rocblas_fill_18rocblas_operation_17rocblas_diagonal_iiT3_T4_lilT5_lili.has_dyn_sized_stack, 0
	.set _ZL38rocblas_trsm_small_left_device_sharedBILi24ELi24ELb1E19rocblas_complex_numIfES1_PKS1_PS1_Ev13rocblas_fill_18rocblas_operation_17rocblas_diagonal_iiT3_T4_lilT5_lili.has_recursion, 0
	.set _ZL38rocblas_trsm_small_left_device_sharedBILi24ELi24ELb1E19rocblas_complex_numIfES1_PKS1_PS1_Ev13rocblas_fill_18rocblas_operation_17rocblas_diagonal_iiT3_T4_lilT5_lili.has_indirect_call, 0
	.section	.AMDGPU.csdata,"",@progbits
; Kernel info:
; codeLenInByte = 3936
; TotalNumSgprs: 62
; NumVgprs: 34
; ScratchSize: 208
; MemoryBound: 0
; FloatMode: 240
; IeeeMode: 1
; LDSByteSize: 9216 bytes/workgroup (compile time only)
; SGPRBlocks: 0
; VGPRBlocks: 6
; NumSGPRsForWavesPerEU: 62
; NumVGPRsForWavesPerEU: 97
; NamedBarCnt: 0
; Occupancy: 9
; WaveLimiterHint : 0
; COMPUTE_PGM_RSRC2:SCRATCH_EN: 1
; COMPUTE_PGM_RSRC2:USER_SGPR: 2
; COMPUTE_PGM_RSRC2:TRAP_HANDLER: 0
; COMPUTE_PGM_RSRC2:TGID_X_EN: 1
; COMPUTE_PGM_RSRC2:TGID_Y_EN: 0
; COMPUTE_PGM_RSRC2:TGID_Z_EN: 1
; COMPUTE_PGM_RSRC2:TIDIG_COMP_CNT: 0
	.section	.text._ZL30rocblas_trsm_small_left_deviceILi24ELi24ELb1E19rocblas_complex_numIfES1_PKS1_PS1_Ev13rocblas_fill_18rocblas_operation_17rocblas_diagonal_iiT3_T4_lilT5_lili,"axG",@progbits,_ZL30rocblas_trsm_small_left_deviceILi24ELi24ELb1E19rocblas_complex_numIfES1_PKS1_PS1_Ev13rocblas_fill_18rocblas_operation_17rocblas_diagonal_iiT3_T4_lilT5_lili,comdat
	.globl	_ZL30rocblas_trsm_small_left_deviceILi24ELi24ELb1E19rocblas_complex_numIfES1_PKS1_PS1_Ev13rocblas_fill_18rocblas_operation_17rocblas_diagonal_iiT3_T4_lilT5_lili ; -- Begin function _ZL30rocblas_trsm_small_left_deviceILi24ELi24ELb1E19rocblas_complex_numIfES1_PKS1_PS1_Ev13rocblas_fill_18rocblas_operation_17rocblas_diagonal_iiT3_T4_lilT5_lili
	.p2align	8
	.type	_ZL30rocblas_trsm_small_left_deviceILi24ELi24ELb1E19rocblas_complex_numIfES1_PKS1_PS1_Ev13rocblas_fill_18rocblas_operation_17rocblas_diagonal_iiT3_T4_lilT5_lili,@function
_ZL30rocblas_trsm_small_left_deviceILi24ELi24ELb1E19rocblas_complex_numIfES1_PKS1_PS1_Ev13rocblas_fill_18rocblas_operation_17rocblas_diagonal_iiT3_T4_lilT5_lili: ; @_ZL30rocblas_trsm_small_left_deviceILi24ELi24ELb1E19rocblas_complex_numIfES1_PKS1_PS1_Ev13rocblas_fill_18rocblas_operation_17rocblas_diagonal_iiT3_T4_lilT5_lili
; %bb.0:
	s_load_b32 s33, s[0:1], 0x60
	s_bfe_u32 s2, ttmp6, 0x40014
	s_lshr_b32 s4, ttmp7, 16
	s_add_co_i32 s2, s2, 1
	s_bfe_u32 s5, ttmp6, 0x40008
	s_mul_i32 s2, s4, s2
	s_getreg_b32 s3, hwreg(HW_REG_IB_STS2, 6, 4)
	s_add_co_i32 s5, s5, s2
	s_cmp_eq_u32 s3, 0
	s_mov_b32 s17, 0
	s_cselect_b32 s2, s4, s5
	s_wait_kmcnt 0x0
	s_cmp_ge_u32 s2, s33
	s_cbranch_scc1 .LBB161_88
; %bb.1:
	s_clause 0x4
	s_load_b32 s26, s[0:1], 0x30
	s_load_b96 s[8:10], s[0:1], 0x48
	s_load_b128 s[4:7], s[0:1], 0x4
	s_load_b32 s12, s[0:1], 0x68
	s_load_b64 s[18:19], s[0:1], 0x14
	v_mul_u32_u24_e32 v12, 0xc0, v0
	v_mov_b64_e32 v[4:5], 0xbf80000000000000
	v_mov_b64_e32 v[10:11], 0x3f800000
	s_mov_b32 s41, 0
                                        ; implicit-def: $sgpr42
                                        ; implicit-def: $sgpr43
	s_wait_kmcnt 0x0
	s_ashr_i32 s27, s26, 31
	s_ashr_i32 s11, s10, 31
	s_cmp_lg_u32 s4, 0x71
	s_cselect_b32 s34, -1, 0
	s_min_i32 s35, s6, 24
	s_bfe_u32 s6, ttmp6, 0x4000c
	s_lshl_b64 s[28:29], s[8:9], 3
	s_add_co_i32 s6, s6, 1
	s_and_b32 s8, ttmp6, 15
	s_mul_i32 s6, ttmp9, s6
	s_add_co_i32 s16, s12, -1
	s_add_co_i32 s36, s35, -1
	s_add_co_i32 s8, s8, s6
	s_cmp_eq_u32 s3, 0
	s_mov_b32 s22, s18
	s_cselect_b32 s3, ttmp9, s8
	s_mov_b32 s23, s18
	v_mad_u32 v2, s3, 24, v0
	s_mov_b32 s6, s19
	s_mov_b32 s24, s19
	;; [unrolled: 1-line block ×3, first 2 shown]
	s_delay_alu instid0(VALU_DEP_1) | instskip(NEXT) | instid1(VALU_DEP_1)
	v_ashrrev_i32_e32 v3, 31, v2
	v_mul_u64_e32 v[6:7], s[10:11], v[2:3]
	s_clause 0x2
	s_load_b128 s[12:15], s[0:1], 0x20
	s_load_b128 s[8:11], s[0:1], 0x38
	s_load_b64 s[20:21], s[0:1], 0x58
	s_wait_xcnt 0x0
	s_mul_i32 s0, s3, 0xffffffe8
	v_lshlrev_b32_e32 v2, 3, v0
	s_add_co_i32 s0, s7, s0
	s_cmp_ge_u32 s3, s16
	v_mov_b32_e32 v3, 0
	s_cselect_b32 s3, s0, 24
	s_cmp_lg_u32 s5, 0x84
	s_mov_b32 s7, s19
	s_cselect_b32 s37, -1, 0
	s_cmp_lg_u32 s4, 0x6f
	s_cselect_b32 s38, -1, 0
	s_lshl_b32 s40, s35, 3
	s_or_b32 s39, 0, 8
	s_add_co_i32 s40, s40, -8
	s_wait_kmcnt 0x0
	s_lshl_b64 s[0:1], s[14:15], 3
	s_add_nc_u64 s[10:11], s[10:11], s[28:29]
	s_add_nc_u64 s[4:5], s[12:13], s[0:1]
	v_cmp_gt_i32_e64 s0, s35, v0
	v_add_nc_u64_e32 v[8:9], s[4:5], v[2:3]
	v_cmp_gt_i32_e64 s1, s3, v0
	v_add_nc_u32_e32 v3, v2, v12
	s_lshl_b64 s[4:5], s[8:9], 3
	s_lshl_b64 s[8:9], s[26:27], 3
	s_lshl_b64 s[12:13], s[20:21], 3
	v_lshl_add_u64 v[0:1], v[6:7], 3, s[10:11]
	v_add_nc_u64_e32 v[6:7], 4, v[8:9]
	s_get_pc_i64 s[10:11]
	s_add_nc_u64 s[10:11], s[10:11], __const._ZL30rocblas_trsm_small_left_deviceILi24ELi24ELb1E19rocblas_complex_numIfES1_PKS1_PS1_Ev13rocblas_fill_18rocblas_operation_17rocblas_diagonal_iiT3_T4_lilT5_lili.step_sizes@rel64+4
	s_delay_alu instid0(VALU_DEP_2)
	v_add_nc_u64_e32 v[8:9], 4, v[0:1]
	s_branch .LBB161_4
.LBB161_2:                              ;   in Loop: Header=BB161_4 Depth=1
	s_add_co_i32 s2, s2, 0x10000
	s_delay_alu instid0(SALU_CYCLE_1)
	s_cmp_ge_u32 s2, s33
	s_cselect_b32 s3, -1, 0
	s_and_not1_b32 s43, s43, exec_lo
	s_or_not1_b32 s14, s3, exec_lo
.LBB161_3:                              ;   in Loop: Header=BB161_4 Depth=1
	s_wait_xcnt 0x0
	s_or_b32 exec_lo, exec_lo, s44
	s_delay_alu instid0(SALU_CYCLE_1) | instskip(NEXT) | instid1(SALU_CYCLE_1)
	s_and_b32 s3, exec_lo, s14
	s_or_b32 s41, s3, s41
	s_and_not1_b32 s3, s42, exec_lo
	s_and_b32 s14, s43, exec_lo
	s_delay_alu instid0(SALU_CYCLE_1)
	s_or_b32 s42, s3, s14
	s_and_not1_b32 exec_lo, exec_lo, s41
	s_cbranch_execz .LBB161_87
.LBB161_4:                              ; =>This Loop Header: Depth=1
                                        ;     Child Loop BB161_7 Depth 2
                                        ;     Child Loop BB161_23 Depth 2
                                        ;       Child Loop BB161_26 Depth 3
                                        ;         Child Loop BB161_28 Depth 4
                                        ;         Child Loop BB161_32 Depth 4
	;; [unrolled: 1-line block ×3, first 2 shown]
                                        ;           Child Loop BB161_38 Depth 5
                                        ;           Child Loop BB161_44 Depth 5
                                        ;         Child Loop BB161_47 Depth 4
                                        ;           Child Loop BB161_49 Depth 5
                                        ;     Child Loop BB161_57 Depth 2
                                        ;       Child Loop BB161_60 Depth 3
                                        ;         Child Loop BB161_62 Depth 4
                                        ;         Child Loop BB161_66 Depth 4
                                        ;         Child Loop BB161_70 Depth 4
                                        ;           Child Loop BB161_72 Depth 5
                                        ;           Child Loop BB161_78 Depth 5
                                        ;         Child Loop BB161_81 Depth 4
                                        ;           Child Loop BB161_83 Depth 5
	s_mov_b32 s3, s17
	s_and_saveexec_b32 s14, s0
	s_cbranch_execz .LBB161_19
; %bb.5:                                ;   in Loop: Header=BB161_4 Depth=1
	v_mad_nc_u64_u32 v[12:13], s4, s2, v[6:7]
	v_mov_b32_e32 v16, v2
	s_mov_b32 s15, s35
	s_delay_alu instid0(VALU_DEP_2)
	v_mad_u32 v13, s5, s2, v13
	s_branch .LBB161_7
.LBB161_6:                              ;   in Loop: Header=BB161_7 Depth=2
	global_load_b32 v14, v[12:13], off offset:-4
	s_wait_xcnt 0x0
	v_add_nc_u64_e32 v[12:13], s[8:9], v[12:13]
	s_add_co_i32 s15, s15, -1
	s_delay_alu instid0(SALU_CYCLE_1)
	s_cmp_eq_u32 s15, 0
	s_wait_loadcnt 0x0
	ds_store_b64 v16, v[14:15]
	v_add_nc_u32_e32 v16, 0xc0, v16
	s_cbranch_scc1 .LBB161_11
.LBB161_7:                              ;   Parent Loop BB161_4 Depth=1
                                        ; =>  This Inner Loop Header: Depth=2
	s_and_b32 vcc_lo, exec_lo, s34
	s_mov_b32 s16, -1
                                        ; implicit-def: $vgpr15
	s_cbranch_vccz .LBB161_9
; %bb.8:                                ;   in Loop: Header=BB161_7 Depth=2
	global_load_b32 v15, v[12:13], off
	s_mov_b32 s16, 0
.LBB161_9:                              ;   in Loop: Header=BB161_7 Depth=2
	s_delay_alu instid0(SALU_CYCLE_1)
	s_and_not1_b32 vcc_lo, exec_lo, s16
	s_cbranch_vccnz .LBB161_6
; %bb.10:                               ;   in Loop: Header=BB161_7 Depth=2
	global_load_b32 v14, v[12:13], off
	s_wait_loadcnt 0x0
	v_xor_b32_e32 v15, 0x80000000, v14
	s_branch .LBB161_6
.LBB161_11:                             ;   in Loop: Header=BB161_4 Depth=1
	s_and_b32 vcc_lo, exec_lo, s37
	s_mov_b32 s15, -1
	s_cbranch_vccz .LBB161_17
; %bb.12:                               ;   in Loop: Header=BB161_4 Depth=1
	ds_load_b64 v[12:13], v3
                                        ; implicit-def: $vgpr14_vgpr15
	s_wait_dscnt 0x0
	v_cmp_ngt_f32_e64 s15, |v12|, |v13|
	s_and_saveexec_b32 s16, s15
	s_delay_alu instid0(SALU_CYCLE_1)
	s_xor_b32 s15, exec_lo, s16
	s_cbranch_execz .LBB161_14
; %bb.13:                               ;   in Loop: Header=BB161_4 Depth=1
	v_div_scale_f32 v14, null, v13, v13, v12
	v_div_scale_f32 v17, vcc_lo, v12, v13, v12
	s_delay_alu instid0(VALU_DEP_2) | instskip(SKIP_1) | instid1(TRANS32_DEP_1)
	v_rcp_f32_e32 v15, v14
	v_nop
	v_fma_f32 v16, -v14, v15, 1.0
	s_delay_alu instid0(VALU_DEP_1) | instskip(NEXT) | instid1(VALU_DEP_1)
	v_fmac_f32_e32 v15, v16, v15
	v_mul_f32_e32 v16, v17, v15
	s_delay_alu instid0(VALU_DEP_1) | instskip(NEXT) | instid1(VALU_DEP_1)
	v_fma_f32 v18, -v14, v16, v17
	v_fmac_f32_e32 v16, v18, v15
	s_delay_alu instid0(VALU_DEP_1) | instskip(NEXT) | instid1(VALU_DEP_1)
	v_fma_f32 v14, -v14, v16, v17
	v_div_fmas_f32 v14, v14, v15, v16
	s_delay_alu instid0(VALU_DEP_1) | instskip(NEXT) | instid1(VALU_DEP_1)
	v_div_fixup_f32 v14, v14, v13, v12
	v_fmac_f32_e32 v13, v12, v14
	s_delay_alu instid0(VALU_DEP_1) | instskip(SKIP_1) | instid1(VALU_DEP_2)
	v_div_scale_f32 v12, null, v13, v13, 1.0
	v_div_scale_f32 v17, vcc_lo, 1.0, v13, 1.0
	v_rcp_f32_e32 v15, v12
	v_nop
	s_delay_alu instid0(TRANS32_DEP_1) | instskip(NEXT) | instid1(VALU_DEP_1)
	v_fma_f32 v16, -v12, v15, 1.0
	v_fmac_f32_e32 v15, v16, v15
	s_delay_alu instid0(VALU_DEP_1) | instskip(NEXT) | instid1(VALU_DEP_1)
	v_mul_f32_e32 v16, v17, v15
	v_fma_f32 v18, -v12, v16, v17
	s_delay_alu instid0(VALU_DEP_1) | instskip(NEXT) | instid1(VALU_DEP_1)
	v_fmac_f32_e32 v16, v18, v15
	v_fma_f32 v12, -v12, v16, v17
	s_delay_alu instid0(VALU_DEP_1) | instskip(SKIP_1) | instid1(VALU_DEP_2)
	v_div_fmas_f32 v12, v12, v15, v16
	v_mul_f32_e32 v15, 0, v14
	v_div_fixup_f32 v12, v12, v13, 1.0
	s_delay_alu instid0(VALU_DEP_2) | instskip(NEXT) | instid1(VALU_DEP_1)
	v_pk_add_f32 v[14:15], v[14:15], v[4:5]
	v_pk_mul_f32 v[14:15], v[14:15], v[12:13] op_sel_hi:[1,0]
                                        ; implicit-def: $vgpr12_vgpr13
.LBB161_14:                             ;   in Loop: Header=BB161_4 Depth=1
	s_and_not1_saveexec_b32 s15, s15
	s_cbranch_execz .LBB161_16
; %bb.15:                               ;   in Loop: Header=BB161_4 Depth=1
	v_div_scale_f32 v14, null, v12, v12, v13
	v_div_scale_f32 v17, vcc_lo, v13, v12, v13
	s_delay_alu instid0(VALU_DEP_2) | instskip(SKIP_1) | instid1(TRANS32_DEP_1)
	v_rcp_f32_e32 v15, v14
	v_nop
	v_fma_f32 v16, -v14, v15, 1.0
	s_delay_alu instid0(VALU_DEP_1) | instskip(NEXT) | instid1(VALU_DEP_1)
	v_fmac_f32_e32 v15, v16, v15
	v_mul_f32_e32 v16, v17, v15
	s_delay_alu instid0(VALU_DEP_1) | instskip(NEXT) | instid1(VALU_DEP_1)
	v_fma_f32 v18, -v14, v16, v17
	v_fmac_f32_e32 v16, v18, v15
	s_delay_alu instid0(VALU_DEP_1) | instskip(NEXT) | instid1(VALU_DEP_1)
	v_fma_f32 v14, -v14, v16, v17
	v_div_fmas_f32 v14, v14, v15, v16
	s_delay_alu instid0(VALU_DEP_1) | instskip(NEXT) | instid1(VALU_DEP_1)
	v_div_fixup_f32 v15, v14, v12, v13
	v_fmac_f32_e32 v12, v13, v15
	s_delay_alu instid0(VALU_DEP_1) | instskip(SKIP_1) | instid1(VALU_DEP_2)
	v_div_scale_f32 v13, null, v12, v12, 1.0
	v_div_scale_f32 v17, vcc_lo, 1.0, v12, 1.0
	v_rcp_f32_e32 v14, v13
	v_nop
	s_delay_alu instid0(TRANS32_DEP_1) | instskip(NEXT) | instid1(VALU_DEP_1)
	v_fma_f32 v16, -v13, v14, 1.0
	v_fmac_f32_e32 v14, v16, v14
	s_delay_alu instid0(VALU_DEP_1) | instskip(NEXT) | instid1(VALU_DEP_1)
	v_mul_f32_e32 v16, v17, v14
	v_fma_f32 v18, -v13, v16, v17
	s_delay_alu instid0(VALU_DEP_1) | instskip(NEXT) | instid1(VALU_DEP_1)
	v_fmac_f32_e32 v16, v18, v14
	v_dual_fma_f32 v13, -v13, v16, v17 :: v_dual_mul_f32 v17, 0, v15
	v_sub_f32_e32 v15, 0, v15
	s_delay_alu instid0(VALU_DEP_2) | instskip(NEXT) | instid1(VALU_DEP_3)
	v_div_fmas_f32 v13, v13, v14, v16
	v_add_f32_e32 v14, 1.0, v17
	s_delay_alu instid0(VALU_DEP_2) | instskip(NEXT) | instid1(VALU_DEP_1)
	v_div_fixup_f32 v12, v13, v12, 1.0
	v_pk_mul_f32 v[14:15], v[14:15], v[12:13] op_sel_hi:[1,0]
.LBB161_16:                             ;   in Loop: Header=BB161_4 Depth=1
	s_or_b32 exec_lo, exec_lo, s15
	s_mov_b32 s15, 0
	ds_store_b64 v3, v[14:15]
.LBB161_17:                             ;   in Loop: Header=BB161_4 Depth=1
	s_and_b32 vcc_lo, exec_lo, s15
	s_cbranch_vccz .LBB161_19
; %bb.18:                               ;   in Loop: Header=BB161_4 Depth=1
	ds_store_b64 v3, v[10:11]
.LBB161_19:                             ;   in Loop: Header=BB161_4 Depth=1
	s_or_b32 exec_lo, exec_lo, s14
	s_mov_b32 s14, -1
	s_or_b32 s43, s43, exec_lo
	s_wait_dscnt 0x0
	; wave barrier
	s_and_saveexec_b32 s44, s1
	s_cbranch_execz .LBB161_3
; %bb.20:                               ;   in Loop: Header=BB161_4 Depth=1
	s_mul_u64 s[14:15], s[20:21], s[2:3]
	s_and_not1_b32 vcc_lo, exec_lo, s38
	v_lshl_add_u64 v[12:13], s[14:15], 3, v[0:1]
	s_mul_u64 s[14:15], s[12:13], s[2:3]
	s_mov_b32 s3, -1
	s_cbranch_vccnz .LBB161_54
; %bb.21:                               ;   in Loop: Header=BB161_4 Depth=1
	v_add_nc_u64_e32 v[14:15], s[14:15], v[8:9]
	s_mov_b32 s3, 0
	s_mov_b32 s26, s36
	s_branch .LBB161_23
.LBB161_22:                             ;   in Loop: Header=BB161_23 Depth=2
	s_cmp_gt_i32 s26, -1
	s_cselect_b32 s16, -1, 0
	s_add_co_i32 s27, s3, 1
	s_cmp_lt_u32 s3, 2
	s_wait_xcnt 0x0
	s_cselect_b32 s3, -1, 0
	s_delay_alu instid0(SALU_CYCLE_1) | instskip(NEXT) | instid1(SALU_CYCLE_1)
	s_and_b32 s3, s16, s3
	s_and_b32 vcc_lo, exec_lo, s3
	s_mov_b32 s3, s27
	s_cbranch_vccz .LBB161_53
.LBB161_23:                             ;   Parent Loop BB161_4 Depth=1
                                        ; =>  This Loop Header: Depth=2
                                        ;       Child Loop BB161_26 Depth 3
                                        ;         Child Loop BB161_28 Depth 4
                                        ;         Child Loop BB161_32 Depth 4
                                        ;         Child Loop BB161_36 Depth 4
                                        ;           Child Loop BB161_38 Depth 5
                                        ;           Child Loop BB161_44 Depth 5
                                        ;         Child Loop BB161_47 Depth 4
                                        ;           Child Loop BB161_49 Depth 5
	s_load_b32 s45, s[10:11], s3 offset:0x0 scale_offset
	s_wait_kmcnt 0x0
	s_add_co_i32 s46, s45, -1
	s_delay_alu instid0(SALU_CYCLE_1)
	s_cmp_lt_i32 s26, s46
	s_cbranch_scc1 .LBB161_22
; %bb.24:                               ;   in Loop: Header=BB161_23 Depth=2
	s_max_i32 s47, s45, 1
	s_cmp_lg_u32 s3, 2
	s_mul_i32 s16, s26, 0xc0
	s_cselect_b32 s48, -1, 0
	s_and_b32 s49, s47, 0x7ffffffe
	s_mul_i32 s52, s45, 0xffffff40
	s_cmp_lg_u32 s47, s49
	s_mul_i32 s53, s26, 0xc8
	s_cselect_b32 s50, -1, 0
	s_add_co_i32 s51, s40, s16
	s_mul_i32 s54, s45, 0xffffff38
	s_branch .LBB161_26
.LBB161_25:                             ;   in Loop: Header=BB161_26 Depth=3
	s_sub_co_i32 s26, s26, s45
	s_add_co_i32 s51, s51, s52
	s_add_co_i32 s53, s53, s54
	s_cmp_lt_i32 s26, s46
	s_cbranch_scc1 .LBB161_22
.LBB161_26:                             ;   Parent Loop BB161_4 Depth=1
                                        ;     Parent Loop BB161_23 Depth=2
                                        ; =>    This Loop Header: Depth=3
                                        ;         Child Loop BB161_28 Depth 4
                                        ;         Child Loop BB161_32 Depth 4
	;; [unrolled: 1-line block ×3, first 2 shown]
                                        ;           Child Loop BB161_38 Depth 5
                                        ;           Child Loop BB161_44 Depth 5
                                        ;         Child Loop BB161_47 Depth 4
                                        ;           Child Loop BB161_49 Depth 5
	s_and_not1_b32 vcc_lo, exec_lo, s48
	s_cbranch_vccnz .LBB161_30
; %bb.27:                               ;   in Loop: Header=BB161_26 Depth=3
	s_mov_b32 s27, s26
	s_mov_b32 s28, 1
	;; [unrolled: 1-line block ×3, first 2 shown]
	s_wait_xcnt 0x0
	s_mov_b32 s30, s49
	s_mov_b32 s31, s39
.LBB161_28:                             ;   Parent Loop BB161_4 Depth=1
                                        ;     Parent Loop BB161_23 Depth=2
                                        ;       Parent Loop BB161_26 Depth=3
                                        ; =>      This Inner Loop Header: Depth=4
	s_sub_co_i32 s56, s27, s28
	s_sub_co_i32 s58, s26, s29
	s_ashr_i32 s57, s56, 31
	s_ashr_i32 s59, s58, 31
	v_lshl_add_u64 v[16:17], s[56:57], 3, v[12:13]
	v_lshl_add_u64 v[18:19], s[58:59], 3, v[12:13]
	v_mov_b64_e32 v[20:21], s[6:7]
	v_mov_b64_e32 v[22:23], s[22:23]
	s_add_co_i32 s30, s30, -2
	s_clause 0x1
	global_load_b64 v[16:17], v[16:17], off
	global_load_b64 v[18:19], v[18:19], off
	s_add_co_i32 s29, s29, 2
	s_add_co_i32 s28, s28, 2
	s_mov_b32 s16, s49
	s_mov_b32 s55, s50
	s_wait_loadcnt 0x0
	s_wait_xcnt 0x1
	v_dual_mov_b32 v25, v16 :: v_dual_mov_b32 v16, v19
	v_mov_b32_e32 v24, v18
	s_wait_xcnt 0x0
	s_delay_alu instid0(VALU_DEP_2) | instskip(SKIP_1) | instid1(VALU_DEP_2)
	v_pk_mul_f32 v[18:19], v[16:17], v[20:21]
	v_pk_mul_f32 v[16:17], v[16:17], v[22:23]
	v_pk_fma_f32 v[22:23], v[24:25], v[22:23], v[18:19] neg_lo:[0,0,1] neg_hi:[0,0,1]
	s_delay_alu instid0(VALU_DEP_2) | instskip(NEXT) | instid1(VALU_DEP_1)
	v_pk_fma_f32 v[18:19], v[24:25], v[20:21], v[16:17]
	v_dual_mov_b32 v16, v22 :: v_dual_mov_b32 v17, v18
	s_delay_alu instid0(VALU_DEP_3)
	v_mov_b32_e32 v18, v23
	scratch_store_b128 off, v[16:19], s31 offset:-8
	s_wait_xcnt 0x0
	s_add_co_i32 s31, s31, 16
	s_cmp_lg_u32 s30, 0
	s_cbranch_scc1 .LBB161_28
; %bb.29:                               ;   in Loop: Header=BB161_26 Depth=3
	s_and_b32 vcc_lo, exec_lo, s55
	s_ashr_i32 s27, s26, 31
	s_cbranch_vccnz .LBB161_31
	s_branch .LBB161_33
.LBB161_30:                             ;   in Loop: Header=BB161_26 Depth=3
	s_mov_b32 s16, 0
	s_ashr_i32 s27, s26, 31
	s_cbranch_execz .LBB161_33
.LBB161_31:                             ;   in Loop: Header=BB161_26 Depth=3
	s_lshl_b64 s[28:29], s[26:27], 3
	s_wait_xcnt 0x0
	s_lshl_b64 s[30:31], s[16:17], 3
	s_delay_alu instid0(SALU_CYCLE_1) | instskip(NEXT) | instid1(SALU_CYCLE_1)
	s_sub_nc_u64 s[28:29], s[28:29], s[30:31]
	v_add_nc_u64_e32 v[16:17], s[28:29], v[14:15]
	s_lshl_b32 s28, s16, 3
	s_sub_co_i32 s16, s47, s16
.LBB161_32:                             ;   Parent Loop BB161_4 Depth=1
                                        ;     Parent Loop BB161_23 Depth=2
                                        ;       Parent Loop BB161_26 Depth=3
                                        ; =>      This Inner Loop Header: Depth=4
	global_load_b64 v[18:19], v[16:17], off offset:-4
	v_mov_b64_e32 v[20:21], s[24:25]
	v_mov_b64_e32 v[22:23], s[18:19]
	s_wait_xcnt 0x0
	v_add_nc_u64_e32 v[16:17], -8, v[16:17]
	s_add_co_i32 s16, s16, -1
	s_wait_loadcnt 0x0
	s_delay_alu instid0(VALU_DEP_3) | instskip(NEXT) | instid1(VALU_DEP_1)
	v_pk_mul_f32 v[20:21], v[18:19], v[20:21] op_sel:[1,0]
	v_pk_fma_f32 v[24:25], v[18:19], v[22:23], v[20:21] op_sel_hi:[0,1,1]
	v_pk_fma_f32 v[18:19], v[18:19], v[22:23], v[20:21] neg_lo:[0,0,1] neg_hi:[0,0,1]
	s_delay_alu instid0(VALU_DEP_2)
	v_mov_b32_e32 v19, v25
	scratch_store_b64 off, v[18:19], s28
	s_wait_xcnt 0x0
	s_add_co_i32 s28, s28, 8
	s_cmp_eq_u32 s16, 0
	s_cbranch_scc0 .LBB161_32
.LBB161_33:                             ;   in Loop: Header=BB161_26 Depth=3
	s_cmp_le_i32 s36, s26
	s_cbranch_scc1 .LBB161_45
; %bb.34:                               ;   in Loop: Header=BB161_26 Depth=3
	s_mov_b32 s16, s26
	s_wait_xcnt 0x0
	s_mov_b32 s30, s26
	s_mov_b32 s31, s51
	;; [unrolled: 1-line block ×3, first 2 shown]
	s_branch .LBB161_36
.LBB161_35:                             ;   in Loop: Header=BB161_36 Depth=4
	s_add_co_i32 s28, s28, -1
	s_add_co_i32 s31, s31, -8
	s_cmp_le_i32 s28, s26
	s_cbranch_scc1 .LBB161_45
.LBB161_36:                             ;   Parent Loop BB161_4 Depth=1
                                        ;     Parent Loop BB161_23 Depth=2
                                        ;       Parent Loop BB161_26 Depth=3
                                        ; =>      This Loop Header: Depth=4
                                        ;           Child Loop BB161_38 Depth 5
                                        ;           Child Loop BB161_44 Depth 5
	s_ashr_i32 s29, s28, 31
	s_and_b32 vcc_lo, exec_lo, s48
	s_wait_xcnt 0x0
	v_lshl_add_u64 v[16:17], s[28:29], 3, v[12:13]
	global_load_b64 v[16:17], v[16:17], off
	s_cbranch_vccz .LBB161_40
; %bb.37:                               ;   in Loop: Header=BB161_36 Depth=4
	s_wait_loadcnt 0x0
	v_dual_mov_b32 v20, v16 :: v_dual_mov_b32 v21, v16
	v_dual_mov_b32 v18, v17 :: v_dual_mov_b32 v22, v17
	v_mov_b32_e32 v23, v17
	s_lshl_b32 s29, s28, 3
	s_mov_b32 s55, 1
	s_mov_b32 s56, 0
	;; [unrolled: 1-line block ×4, first 2 shown]
.LBB161_38:                             ;   Parent Loop BB161_4 Depth=1
                                        ;     Parent Loop BB161_23 Depth=2
                                        ;       Parent Loop BB161_26 Depth=3
                                        ;         Parent Loop BB161_36 Depth=4
                                        ; =>        This Inner Loop Header: Depth=5
	scratch_load_b128 v[24:27], off, s58 offset:-8
	s_sub_co_i32 s59, s30, s55
	s_sub_co_i32 s60, s16, s56
	s_mulk_i32 s59, 0xc0
	s_mulk_i32 s60, 0xc0
	s_add_co_i32 s59, s29, s59
	s_add_co_i32 s60, s29, s60
	s_delay_alu instid0(SALU_CYCLE_1)
	v_dual_mov_b32 v19, s59 :: v_dual_mov_b32 v30, s60
	s_add_co_i32 s57, s57, -2
	s_add_co_i32 s56, s56, 2
	ds_load_b64 v[28:29], v19
	ds_load_b64 v[30:31], v30
	s_add_co_i32 s55, s55, 2
	s_wait_dscnt 0x0
	v_dual_mov_b32 v33, v28 :: v_dual_mov_b32 v28, v31
	v_mov_b32_e32 v32, v30
	s_delay_alu instid0(VALU_DEP_2) | instskip(SKIP_1) | instid1(VALU_DEP_2)
	v_pk_mul_f32 v[30:31], v[28:29], v[22:23]
	v_pk_mul_f32 v[28:29], v[28:29], v[20:21]
	v_pk_fma_f32 v[30:31], v[32:33], v[20:21], v[30:31] neg_lo:[0,0,1] neg_hi:[0,0,1]
	s_delay_alu instid0(VALU_DEP_2) | instskip(SKIP_3) | instid1(VALU_DEP_2)
	v_pk_fma_f32 v[28:29], v[32:33], v[22:23], v[28:29]
	s_wait_loadcnt 0x0
	v_dual_mov_b32 v32, v24 :: v_dual_mov_b32 v33, v26
	v_mov_b32_e32 v26, v25
	v_pk_add_f32 v[30:31], v[32:33], v[30:31] neg_lo:[0,1] neg_hi:[0,1]
	s_delay_alu instid0(VALU_DEP_2) | instskip(NEXT) | instid1(VALU_DEP_1)
	v_pk_add_f32 v[26:27], v[26:27], v[28:29] neg_lo:[0,1] neg_hi:[0,1]
	v_dual_mov_b32 v24, v30 :: v_dual_mov_b32 v25, v26
	s_delay_alu instid0(VALU_DEP_3)
	v_mov_b32_e32 v26, v31
	scratch_store_b128 off, v[24:27], s58 offset:-8
	s_wait_xcnt 0x0
	s_add_co_i32 s58, s58, 16
	s_cmp_lg_u32 s57, 0
	s_cbranch_scc1 .LBB161_38
; %bb.39:                               ;   in Loop: Header=BB161_36 Depth=4
	s_mov_b32 s29, s50
	s_mov_b32 s55, s49
	s_branch .LBB161_42
.LBB161_40:                             ;   in Loop: Header=BB161_36 Depth=4
	s_wait_loadcnt 0x0
	v_mov_b32_e32 v18, v17
	s_mov_b32 s29, 0
	s_mov_b32 s55, s49
	s_cbranch_execz .LBB161_42
; %bb.41:                               ;   in Loop: Header=BB161_36 Depth=4
	s_mov_b32 s29, -1
	s_mov_b32 s55, 0
.LBB161_42:                             ;   in Loop: Header=BB161_36 Depth=4
	s_and_not1_b32 vcc_lo, exec_lo, s29
	s_cbranch_vccnz .LBB161_35
; %bb.43:                               ;   in Loop: Header=BB161_36 Depth=4
	s_wait_xcnt 0x0
	v_dual_mov_b32 v19, v17 :: v_dual_mov_b32 v17, v16
	s_mul_i32 s56, s55, 0xffffff40
	s_lshl_b32 s57, s55, 3
	s_sub_co_i32 s29, s47, s55
	s_add_co_i32 s55, s31, s56
	s_mov_b32 s56, s57
.LBB161_44:                             ;   Parent Loop BB161_4 Depth=1
                                        ;     Parent Loop BB161_23 Depth=2
                                        ;       Parent Loop BB161_26 Depth=3
                                        ;         Parent Loop BB161_36 Depth=4
                                        ; =>        This Inner Loop Header: Depth=5
	scratch_load_b64 v[20:21], off, s56
	v_mov_b32_e32 v22, s55
	s_add_co_i32 s29, s29, -1
	s_addk_co_i32 s55, 0xff40
	ds_load_b64 v[22:23], v22
	s_wait_dscnt 0x0
	v_pk_mul_f32 v[24:25], v[22:23], v[18:19] op_sel:[1,0] op_sel_hi:[0,1]
	s_delay_alu instid0(VALU_DEP_1) | instskip(SKIP_1) | instid1(VALU_DEP_2)
	v_pk_fma_f32 v[26:27], v[22:23], v[16:17], v[24:25]
	v_pk_fma_f32 v[22:23], v[22:23], v[16:17], v[24:25] neg_lo:[0,0,1] neg_hi:[0,0,1]
	v_mov_b32_e32 v23, v27
	s_wait_loadcnt 0x0
	s_delay_alu instid0(VALU_DEP_1)
	v_pk_add_f32 v[20:21], v[20:21], v[22:23] neg_lo:[0,1] neg_hi:[0,1]
	scratch_store_b64 off, v[20:21], s56
	s_wait_xcnt 0x0
	s_add_co_i32 s56, s56, 8
	s_cmp_eq_u32 s29, 0
	s_cbranch_scc0 .LBB161_44
	s_branch .LBB161_35
.LBB161_45:                             ;   in Loop: Header=BB161_26 Depth=3
	s_mov_b32 s16, 0
	s_mov_b32 s55, s53
	s_branch .LBB161_47
.LBB161_46:                             ;   in Loop: Header=BB161_47 Depth=4
	s_wait_xcnt 0x0
	s_mulk_i32 s30, 0xc8
	v_lshl_add_u64 v[24:25], s[28:29], 3, v[12:13]
	s_wait_xcnt 0x0
	v_mov_b32_e32 v17, s30
	s_lshl_b32 s30, s16, 3
	s_add_co_i32 s16, s16, 1
	s_addk_co_i32 s55, 0xff40
	s_cmp_eq_u32 s16, s47
	ds_load_b64 v[20:21], v17
	s_wait_dscnt 0x0
	v_pk_mul_f32 v[18:19], v[20:21], v[18:19] op_sel:[1,0] op_sel_hi:[0,0]
	s_delay_alu instid0(VALU_DEP_1) | instskip(SKIP_1) | instid1(VALU_DEP_2)
	v_pk_fma_f32 v[22:23], v[20:21], v[16:17], v[18:19] op_sel_hi:[1,0,1]
	v_pk_fma_f32 v[16:17], v[20:21], v[16:17], v[18:19] neg_lo:[0,0,1] neg_hi:[0,0,1]
	v_mov_b32_e32 v17, v23
	scratch_store_b64 off, v[16:17], s30
	global_store_b64 v[24:25], v[16:17], off
	s_cbranch_scc1 .LBB161_25
.LBB161_47:                             ;   Parent Loop BB161_4 Depth=1
                                        ;     Parent Loop BB161_23 Depth=2
                                        ;       Parent Loop BB161_26 Depth=3
                                        ; =>      This Loop Header: Depth=4
                                        ;           Child Loop BB161_49 Depth 5
	s_cmp_lg_u32 s16, 0
	s_cbranch_scc0 .LBB161_51
; %bb.48:                               ;   in Loop: Header=BB161_47 Depth=4
	s_lshl_b32 s28, s16, 3
	s_mov_b32 s29, 0
	scratch_load_b64 v[16:17], off, s28
	s_mov_b32 s30, s55
	s_mov_b32 s31, s16
.LBB161_49:                             ;   Parent Loop BB161_4 Depth=1
                                        ;     Parent Loop BB161_23 Depth=2
                                        ;       Parent Loop BB161_26 Depth=3
                                        ;         Parent Loop BB161_47 Depth=4
                                        ; =>        This Inner Loop Header: Depth=5
	scratch_load_b64 v[18:19], off, s29
	v_mov_b32_e32 v20, s30
	s_add_co_i32 s31, s31, -1
	s_add_co_i32 s30, s30, -8
	s_wait_xcnt 0x0
	s_add_co_i32 s29, s29, 8
	s_cmp_eq_u32 s31, 0
	ds_load_b64 v[20:21], v20
	s_wait_loadcnt_dscnt 0x0
	v_pk_mul_f32 v[22:23], v[20:21], v[18:19] op_sel:[1,1] op_sel_hi:[0,1]
	s_delay_alu instid0(VALU_DEP_1) | instskip(SKIP_1) | instid1(VALU_DEP_2)
	v_pk_fma_f32 v[24:25], v[20:21], v[18:19], v[22:23] op_sel_hi:[1,0,1]
	v_pk_fma_f32 v[18:19], v[20:21], v[18:19], v[22:23] neg_lo:[0,0,1] neg_hi:[0,0,1]
	v_mov_b32_e32 v19, v25
	s_delay_alu instid0(VALU_DEP_1)
	v_pk_add_f32 v[16:17], v[16:17], v[18:19] neg_lo:[0,1] neg_hi:[0,1]
	scratch_store_b64 off, v[16:17], s28
	s_cbranch_scc0 .LBB161_49
; %bb.50:                               ;   in Loop: Header=BB161_47 Depth=4
	s_sub_co_i32 s30, s26, s16
	v_mov_b32_e32 v18, v17
	s_ashr_i32 s31, s30, 31
	s_wait_xcnt 0x0
	s_mov_b64 s[28:29], s[30:31]
	s_branch .LBB161_46
.LBB161_51:                             ;   in Loop: Header=BB161_47 Depth=4
                                        ; implicit-def: $vgpr16
                                        ; implicit-def: $vgpr18
                                        ; implicit-def: $sgpr30
                                        ; implicit-def: $sgpr28_sgpr29
	s_cbranch_execz .LBB161_46
; %bb.52:                               ;   in Loop: Header=BB161_47 Depth=4
	scratch_load_b64 v[16:17], off, off
	s_mov_b64 s[28:29], s[26:27]
	s_mov_b32 s30, s26
	s_wait_loadcnt 0x0
	v_mov_b32_e32 v18, v17
	s_branch .LBB161_46
.LBB161_53:                             ;   in Loop: Header=BB161_4 Depth=1
	s_mov_b32 s3, 0
.LBB161_54:                             ;   in Loop: Header=BB161_4 Depth=1
	s_delay_alu instid0(SALU_CYCLE_1)
	s_and_b32 vcc_lo, exec_lo, s3
	s_cbranch_vccz .LBB161_2
; %bb.55:                               ;   in Loop: Header=BB161_4 Depth=1
	v_add_nc_u64_e32 v[14:15], s[14:15], v[8:9]
	s_mov_b32 s14, 0
	s_mov_b32 s3, 0
	s_branch .LBB161_57
.LBB161_56:                             ;   in Loop: Header=BB161_57 Depth=2
	s_cmp_lt_i32 s14, s35
	s_cselect_b32 s15, -1, 0
	s_add_co_i32 s16, s3, 1
	s_cmp_lt_u32 s3, 2
	s_wait_xcnt 0x0
	s_cselect_b32 s3, -1, 0
	s_delay_alu instid0(SALU_CYCLE_1) | instskip(NEXT) | instid1(SALU_CYCLE_1)
	s_and_b32 s3, s15, s3
	s_and_not1_b32 vcc_lo, exec_lo, s3
	s_mov_b32 s3, s16
	s_cbranch_vccnz .LBB161_2
.LBB161_57:                             ;   Parent Loop BB161_4 Depth=1
                                        ; =>  This Loop Header: Depth=2
                                        ;       Child Loop BB161_60 Depth 3
                                        ;         Child Loop BB161_62 Depth 4
                                        ;         Child Loop BB161_66 Depth 4
	;; [unrolled: 1-line block ×3, first 2 shown]
                                        ;           Child Loop BB161_72 Depth 5
                                        ;           Child Loop BB161_78 Depth 5
                                        ;         Child Loop BB161_81 Depth 4
                                        ;           Child Loop BB161_83 Depth 5
	s_load_b32 s26, s[10:11], s3 offset:0x0 scale_offset
	s_wait_kmcnt 0x0
	s_add_co_i32 s28, s26, -1
	s_delay_alu instid0(SALU_CYCLE_1) | instskip(NEXT) | instid1(SALU_CYCLE_1)
	s_add_co_i32 s15, s28, s14
	s_cmp_ge_i32 s15, s35
	s_cbranch_scc1 .LBB161_56
; %bb.58:                               ;   in Loop: Header=BB161_57 Depth=2
	s_max_i32 s29, s26, 1
	s_cmp_lg_u32 s3, 2
	s_mul_i32 s48, s14, 0xc8
	s_cselect_b32 s30, -1, 0
	s_and_b32 s31, s29, 0x7ffffffe
	s_mul_i32 s49, s26, 0xc8
	s_cmp_lg_u32 s29, s31
	s_cselect_b32 s45, -1, 0
	s_ashr_i32 s15, s14, 31
	s_ashr_i32 s27, s26, 31
	s_lshl_b32 s46, s14, 3
	s_lshl_b32 s47, s26, 3
	s_branch .LBB161_60
.LBB161_59:                             ;   in Loop: Header=BB161_60 Depth=3
	s_add_nc_u64 s[14:15], s[14:15], s[26:27]
	s_add_co_i32 s46, s46, s47
	s_add_co_i32 s16, s28, s14
	;; [unrolled: 1-line block ×3, first 2 shown]
	s_cmp_ge_i32 s16, s35
	s_cbranch_scc1 .LBB161_56
.LBB161_60:                             ;   Parent Loop BB161_4 Depth=1
                                        ;     Parent Loop BB161_57 Depth=2
                                        ; =>    This Loop Header: Depth=3
                                        ;         Child Loop BB161_62 Depth 4
                                        ;         Child Loop BB161_66 Depth 4
	;; [unrolled: 1-line block ×3, first 2 shown]
                                        ;           Child Loop BB161_72 Depth 5
                                        ;           Child Loop BB161_78 Depth 5
                                        ;         Child Loop BB161_81 Depth 4
                                        ;           Child Loop BB161_83 Depth 5
	s_and_not1_b32 vcc_lo, exec_lo, s30
	s_cbranch_vccnz .LBB161_64
; %bb.61:                               ;   in Loop: Header=BB161_60 Depth=3
	s_mov_b32 s50, s14
	s_wait_xcnt 0x0
	s_mov_b32 s51, s14
	s_mov_b32 s52, 1
	;; [unrolled: 1-line block ×5, first 2 shown]
.LBB161_62:                             ;   Parent Loop BB161_4 Depth=1
                                        ;     Parent Loop BB161_57 Depth=2
                                        ;       Parent Loop BB161_60 Depth=3
                                        ; =>      This Inner Loop Header: Depth=4
	s_add_co_i32 s56, s52, s51
	s_add_co_i32 s58, s53, s50
	s_ashr_i32 s57, s56, 31
	s_ashr_i32 s59, s58, 31
	v_lshl_add_u64 v[16:17], s[56:57], 3, v[12:13]
	v_lshl_add_u64 v[18:19], s[58:59], 3, v[12:13]
	v_mov_b64_e32 v[20:21], s[6:7]
	v_mov_b64_e32 v[22:23], s[22:23]
	s_add_co_i32 s54, s54, -2
	s_clause 0x1
	global_load_b64 v[16:17], v[16:17], off
	global_load_b64 v[18:19], v[18:19], off
	s_add_co_i32 s53, s53, 2
	s_add_co_i32 s52, s52, 2
	s_mov_b32 s16, s31
	s_mov_b32 s56, s45
	s_wait_loadcnt 0x0
	s_wait_xcnt 0x1
	v_dual_mov_b32 v25, v16 :: v_dual_mov_b32 v16, v19
	v_mov_b32_e32 v24, v18
	s_wait_xcnt 0x0
	s_delay_alu instid0(VALU_DEP_2) | instskip(SKIP_1) | instid1(VALU_DEP_2)
	v_pk_mul_f32 v[18:19], v[16:17], v[20:21]
	v_pk_mul_f32 v[16:17], v[16:17], v[22:23]
	v_pk_fma_f32 v[22:23], v[24:25], v[22:23], v[18:19] neg_lo:[0,0,1] neg_hi:[0,0,1]
	s_delay_alu instid0(VALU_DEP_2) | instskip(NEXT) | instid1(VALU_DEP_1)
	v_pk_fma_f32 v[18:19], v[24:25], v[20:21], v[16:17]
	v_dual_mov_b32 v16, v22 :: v_dual_mov_b32 v17, v18
	s_delay_alu instid0(VALU_DEP_3)
	v_mov_b32_e32 v18, v23
	scratch_store_b128 off, v[16:19], s55 offset:-8
	s_wait_xcnt 0x0
	s_add_co_i32 s55, s55, 16
	s_cmp_lg_u32 s54, 0
	s_cbranch_scc1 .LBB161_62
; %bb.63:                               ;   in Loop: Header=BB161_60 Depth=3
	s_and_b32 vcc_lo, exec_lo, s56
	s_cbranch_vccnz .LBB161_65
	s_branch .LBB161_67
.LBB161_64:                             ;   in Loop: Header=BB161_60 Depth=3
	s_mov_b32 s16, 0
	s_cbranch_execz .LBB161_67
.LBB161_65:                             ;   in Loop: Header=BB161_60 Depth=3
	s_wait_xcnt 0x0
	s_add_nc_u64 s[50:51], s[14:15], s[16:17]
	s_delay_alu instid0(SALU_CYCLE_1)
	v_lshl_add_u64 v[16:17], s[50:51], 3, v[14:15]
	s_lshl_b32 s50, s16, 3
	s_sub_co_i32 s16, s29, s16
.LBB161_66:                             ;   Parent Loop BB161_4 Depth=1
                                        ;     Parent Loop BB161_57 Depth=2
                                        ;       Parent Loop BB161_60 Depth=3
                                        ; =>      This Inner Loop Header: Depth=4
	global_load_b64 v[18:19], v[16:17], off offset:-4
	v_mov_b64_e32 v[20:21], s[24:25]
	v_mov_b64_e32 v[22:23], s[18:19]
	s_wait_xcnt 0x0
	v_add_nc_u64_e32 v[16:17], 8, v[16:17]
	s_add_co_i32 s16, s16, -1
	s_wait_loadcnt 0x0
	s_delay_alu instid0(VALU_DEP_3) | instskip(NEXT) | instid1(VALU_DEP_1)
	v_pk_mul_f32 v[20:21], v[18:19], v[20:21] op_sel:[1,0]
	v_pk_fma_f32 v[24:25], v[18:19], v[22:23], v[20:21] op_sel_hi:[0,1,1]
	v_pk_fma_f32 v[18:19], v[18:19], v[22:23], v[20:21] neg_lo:[0,0,1] neg_hi:[0,0,1]
	s_delay_alu instid0(VALU_DEP_2)
	v_mov_b32_e32 v19, v25
	scratch_store_b64 off, v[18:19], s50
	s_wait_xcnt 0x0
	s_add_co_i32 s50, s50, 8
	s_cmp_eq_u32 s16, 0
	s_cbranch_scc0 .LBB161_66
.LBB161_67:                             ;   in Loop: Header=BB161_60 Depth=3
	s_cmp_lt_i32 s14, 1
	s_cbranch_scc1 .LBB161_79
; %bb.68:                               ;   in Loop: Header=BB161_60 Depth=3
	s_mov_b32 s16, 0
	s_mov_b32 s50, s46
	s_branch .LBB161_70
.LBB161_69:                             ;   in Loop: Header=BB161_70 Depth=4
	s_add_co_i32 s16, s16, 1
	s_addk_co_i32 s50, 0xc0
	s_cmp_eq_u32 s16, s14
	s_cbranch_scc1 .LBB161_79
.LBB161_70:                             ;   Parent Loop BB161_4 Depth=1
                                        ;     Parent Loop BB161_57 Depth=2
                                        ;       Parent Loop BB161_60 Depth=3
                                        ; =>      This Loop Header: Depth=4
                                        ;           Child Loop BB161_72 Depth 5
                                        ;           Child Loop BB161_78 Depth 5
	s_wait_xcnt 0x0
	v_lshl_add_u64 v[16:17], s[16:17], 3, v[12:13]
	s_and_b32 vcc_lo, exec_lo, s30
	global_load_b64 v[16:17], v[16:17], off
	s_cbranch_vccz .LBB161_74
; %bb.71:                               ;   in Loop: Header=BB161_70 Depth=4
	s_wait_loadcnt 0x0
	v_dual_mov_b32 v20, v16 :: v_dual_mov_b32 v21, v16
	v_dual_mov_b32 v18, v17 :: v_dual_mov_b32 v22, v17
	v_mov_b32_e32 v23, v17
	s_mov_b32 s51, s31
	s_mov_b32 s52, s39
	;; [unrolled: 1-line block ×3, first 2 shown]
.LBB161_72:                             ;   Parent Loop BB161_4 Depth=1
                                        ;     Parent Loop BB161_57 Depth=2
                                        ;       Parent Loop BB161_60 Depth=3
                                        ;         Parent Loop BB161_70 Depth=4
                                        ; =>        This Inner Loop Header: Depth=5
	scratch_load_b128 v[24:27], off, s52 offset:-8
	v_mov_b32_e32 v19, s53
	s_add_co_i32 s51, s51, -2
	s_add_co_i32 s53, s53, 16
	ds_load_2addr_b64 v[28:31], v19 offset1:1
	s_wait_dscnt 0x0
	v_dual_mov_b32 v33, v30 :: v_dual_mov_b32 v30, v29
	v_mov_b32_e32 v32, v28
	s_delay_alu instid0(VALU_DEP_2) | instskip(SKIP_1) | instid1(VALU_DEP_2)
	v_pk_mul_f32 v[28:29], v[30:31], v[22:23]
	v_pk_mul_f32 v[30:31], v[30:31], v[20:21]
	v_pk_fma_f32 v[28:29], v[32:33], v[20:21], v[28:29] neg_lo:[0,0,1] neg_hi:[0,0,1]
	s_delay_alu instid0(VALU_DEP_2) | instskip(SKIP_2) | instid1(VALU_DEP_1)
	v_pk_fma_f32 v[30:31], v[32:33], v[22:23], v[30:31]
	s_wait_loadcnt 0x0
	v_dual_mov_b32 v32, v24 :: v_dual_mov_b32 v33, v26
	v_pk_add_f32 v[28:29], v[32:33], v[28:29] neg_lo:[0,1] neg_hi:[0,1]
	s_delay_alu instid0(VALU_DEP_1) | instskip(NEXT) | instid1(VALU_DEP_1)
	v_dual_mov_b32 v26, v25 :: v_dual_mov_b32 v24, v28
	v_pk_add_f32 v[26:27], v[26:27], v[30:31] neg_lo:[0,1] neg_hi:[0,1]
	s_delay_alu instid0(VALU_DEP_1)
	v_dual_mov_b32 v25, v26 :: v_dual_mov_b32 v26, v29
	scratch_store_b128 off, v[24:27], s52 offset:-8
	s_wait_xcnt 0x0
	s_add_co_i32 s52, s52, 16
	s_cmp_lg_u32 s51, 0
	s_cbranch_scc1 .LBB161_72
; %bb.73:                               ;   in Loop: Header=BB161_70 Depth=4
	s_mov_b32 s51, s45
	s_mov_b32 s52, s31
	s_branch .LBB161_76
.LBB161_74:                             ;   in Loop: Header=BB161_70 Depth=4
	s_wait_loadcnt 0x0
	v_mov_b32_e32 v18, v17
	s_mov_b32 s51, 0
	s_mov_b32 s52, s31
	s_cbranch_execz .LBB161_76
; %bb.75:                               ;   in Loop: Header=BB161_70 Depth=4
	s_mov_b32 s51, -1
	s_mov_b32 s52, 0
.LBB161_76:                             ;   in Loop: Header=BB161_70 Depth=4
	s_and_not1_b32 vcc_lo, exec_lo, s51
	s_cbranch_vccnz .LBB161_69
; %bb.77:                               ;   in Loop: Header=BB161_70 Depth=4
	s_wait_xcnt 0x0
	v_dual_mov_b32 v19, v17 :: v_dual_mov_b32 v17, v16
	s_sub_co_i32 s51, s29, s52
	s_lshl_b32 s52, s52, 3
.LBB161_78:                             ;   Parent Loop BB161_4 Depth=1
                                        ;     Parent Loop BB161_57 Depth=2
                                        ;       Parent Loop BB161_60 Depth=3
                                        ;         Parent Loop BB161_70 Depth=4
                                        ; =>        This Inner Loop Header: Depth=5
	scratch_load_b64 v[20:21], off, s52
	s_add_co_i32 s54, s50, s52
	s_add_co_i32 s51, s51, -1
	v_mov_b32_e32 v22, s54
	s_mov_b32 s53, s52
	s_wait_xcnt 0x0
	s_add_co_i32 s52, s52, 8
	s_cmp_eq_u32 s51, 0
	ds_load_b64 v[22:23], v22
	s_wait_dscnt 0x0
	v_pk_mul_f32 v[24:25], v[22:23], v[18:19] op_sel:[1,0] op_sel_hi:[0,1]
	s_delay_alu instid0(VALU_DEP_1) | instskip(SKIP_1) | instid1(VALU_DEP_2)
	v_pk_fma_f32 v[26:27], v[22:23], v[16:17], v[24:25]
	v_pk_fma_f32 v[22:23], v[22:23], v[16:17], v[24:25] neg_lo:[0,0,1] neg_hi:[0,0,1]
	v_mov_b32_e32 v23, v27
	s_wait_loadcnt 0x0
	s_delay_alu instid0(VALU_DEP_1)
	v_pk_add_f32 v[20:21], v[20:21], v[22:23] neg_lo:[0,1] neg_hi:[0,1]
	scratch_store_b64 off, v[20:21], s53
	s_cbranch_scc0 .LBB161_78
	s_branch .LBB161_69
.LBB161_79:                             ;   in Loop: Header=BB161_60 Depth=3
	s_mov_b32 s16, 0
	s_mov_b32 s50, s48
	s_branch .LBB161_81
.LBB161_80:                             ;   in Loop: Header=BB161_81 Depth=4
	s_add_co_i32 s52, s16, s14
	s_add_co_i32 s50, s50, 8
	s_mul_i32 s51, s52, 0xc8
	s_wait_xcnt 0x0
	s_ashr_i32 s53, s52, 31
	v_mov_b32_e32 v17, s51
	s_lshl_b32 s51, s16, 3
	s_add_co_i32 s16, s16, 1
	s_delay_alu instid0(SALU_CYCLE_1) | instskip(SKIP_3) | instid1(VALU_DEP_1)
	s_cmp_eq_u32 s16, s29
	ds_load_b64 v[20:21], v17
	s_wait_dscnt 0x0
	v_pk_mul_f32 v[18:19], v[20:21], v[18:19] op_sel:[1,0] op_sel_hi:[0,0]
	v_pk_fma_f32 v[22:23], v[20:21], v[16:17], v[18:19] op_sel_hi:[1,0,1]
	v_pk_fma_f32 v[16:17], v[20:21], v[16:17], v[18:19] neg_lo:[0,0,1] neg_hi:[0,0,1]
	v_lshl_add_u64 v[18:19], s[52:53], 3, v[12:13]
	s_delay_alu instid0(VALU_DEP_3)
	v_mov_b32_e32 v17, v23
	scratch_store_b64 off, v[16:17], s51
	global_store_b64 v[18:19], v[16:17], off
	s_cbranch_scc1 .LBB161_59
.LBB161_81:                             ;   Parent Loop BB161_4 Depth=1
                                        ;     Parent Loop BB161_57 Depth=2
                                        ;       Parent Loop BB161_60 Depth=3
                                        ; =>      This Loop Header: Depth=4
                                        ;           Child Loop BB161_83 Depth 5
	s_cmp_lg_u32 s16, 0
	s_cbranch_scc0 .LBB161_85
; %bb.82:                               ;   in Loop: Header=BB161_81 Depth=4
	s_wait_xcnt 0x0
	s_lshl_b32 s51, s16, 3
	s_mov_b32 s52, 0
	scratch_load_b64 v[16:17], off, s51
	s_mov_b32 s53, s50
	s_mov_b32 s54, s16
.LBB161_83:                             ;   Parent Loop BB161_4 Depth=1
                                        ;     Parent Loop BB161_57 Depth=2
                                        ;       Parent Loop BB161_60 Depth=3
                                        ;         Parent Loop BB161_81 Depth=4
                                        ; =>        This Inner Loop Header: Depth=5
	scratch_load_b64 v[18:19], off, s52
	v_mov_b32_e32 v20, s53
	s_add_co_i32 s54, s54, -1
	s_addk_co_i32 s53, 0xc0
	s_wait_xcnt 0x0
	s_add_co_i32 s52, s52, 8
	s_cmp_eq_u32 s54, 0
	ds_load_b64 v[20:21], v20
	s_wait_loadcnt_dscnt 0x0
	v_pk_mul_f32 v[22:23], v[20:21], v[18:19] op_sel:[1,1] op_sel_hi:[0,1]
	s_delay_alu instid0(VALU_DEP_1) | instskip(SKIP_1) | instid1(VALU_DEP_2)
	v_pk_fma_f32 v[24:25], v[20:21], v[18:19], v[22:23] op_sel_hi:[1,0,1]
	v_pk_fma_f32 v[18:19], v[20:21], v[18:19], v[22:23] neg_lo:[0,0,1] neg_hi:[0,0,1]
	v_mov_b32_e32 v19, v25
	s_delay_alu instid0(VALU_DEP_1)
	v_pk_add_f32 v[16:17], v[16:17], v[18:19] neg_lo:[0,1] neg_hi:[0,1]
	scratch_store_b64 off, v[16:17], s51
	s_cbranch_scc0 .LBB161_83
; %bb.84:                               ;   in Loop: Header=BB161_81 Depth=4
	v_mov_b32_e32 v18, v17
	s_wait_xcnt 0x0
	s_branch .LBB161_80
.LBB161_85:                             ;   in Loop: Header=BB161_81 Depth=4
	s_wait_xcnt 0x0
                                        ; implicit-def: $vgpr16
                                        ; implicit-def: $vgpr18
	s_cbranch_execz .LBB161_80
; %bb.86:                               ;   in Loop: Header=BB161_81 Depth=4
	scratch_load_b64 v[16:17], off, off
	s_wait_loadcnt 0x0
	v_mov_b32_e32 v18, v17
	s_branch .LBB161_80
.LBB161_87:
	s_or_b32 exec_lo, exec_lo, s41
	s_and_saveexec_b32 s0, s42
	s_delay_alu instid0(SALU_CYCLE_1)
	s_xor_b32 s0, exec_lo, s0
.LBB161_88:
	s_endpgm
	.section	.rodata,"a",@progbits
	.p2align	6, 0x0
	.amdhsa_kernel _ZL30rocblas_trsm_small_left_deviceILi24ELi24ELb1E19rocblas_complex_numIfES1_PKS1_PS1_Ev13rocblas_fill_18rocblas_operation_17rocblas_diagonal_iiT3_T4_lilT5_lili
		.amdhsa_group_segment_fixed_size 4608
		.amdhsa_private_segment_fixed_size 208
		.amdhsa_kernarg_size 360
		.amdhsa_user_sgpr_count 2
		.amdhsa_user_sgpr_dispatch_ptr 0
		.amdhsa_user_sgpr_queue_ptr 0
		.amdhsa_user_sgpr_kernarg_segment_ptr 1
		.amdhsa_user_sgpr_dispatch_id 0
		.amdhsa_user_sgpr_kernarg_preload_length 0
		.amdhsa_user_sgpr_kernarg_preload_offset 0
		.amdhsa_user_sgpr_private_segment_size 0
		.amdhsa_wavefront_size32 1
		.amdhsa_uses_dynamic_stack 0
		.amdhsa_enable_private_segment 1
		.amdhsa_system_sgpr_workgroup_id_x 1
		.amdhsa_system_sgpr_workgroup_id_y 0
		.amdhsa_system_sgpr_workgroup_id_z 1
		.amdhsa_system_sgpr_workgroup_info 0
		.amdhsa_system_vgpr_workitem_id 0
		.amdhsa_next_free_vgpr 34
		.amdhsa_next_free_sgpr 61
		.amdhsa_named_barrier_count 0
		.amdhsa_reserve_vcc 1
		.amdhsa_float_round_mode_32 0
		.amdhsa_float_round_mode_16_64 0
		.amdhsa_float_denorm_mode_32 3
		.amdhsa_float_denorm_mode_16_64 3
		.amdhsa_fp16_overflow 0
		.amdhsa_memory_ordered 1
		.amdhsa_forward_progress 1
		.amdhsa_inst_pref_size 33
		.amdhsa_round_robin_scheduling 0
		.amdhsa_exception_fp_ieee_invalid_op 0
		.amdhsa_exception_fp_denorm_src 0
		.amdhsa_exception_fp_ieee_div_zero 0
		.amdhsa_exception_fp_ieee_overflow 0
		.amdhsa_exception_fp_ieee_underflow 0
		.amdhsa_exception_fp_ieee_inexact 0
		.amdhsa_exception_int_div_zero 0
	.end_amdhsa_kernel
	.section	.text._ZL30rocblas_trsm_small_left_deviceILi24ELi24ELb1E19rocblas_complex_numIfES1_PKS1_PS1_Ev13rocblas_fill_18rocblas_operation_17rocblas_diagonal_iiT3_T4_lilT5_lili,"axG",@progbits,_ZL30rocblas_trsm_small_left_deviceILi24ELi24ELb1E19rocblas_complex_numIfES1_PKS1_PS1_Ev13rocblas_fill_18rocblas_operation_17rocblas_diagonal_iiT3_T4_lilT5_lili,comdat
.Lfunc_end161:
	.size	_ZL30rocblas_trsm_small_left_deviceILi24ELi24ELb1E19rocblas_complex_numIfES1_PKS1_PS1_Ev13rocblas_fill_18rocblas_operation_17rocblas_diagonal_iiT3_T4_lilT5_lili, .Lfunc_end161-_ZL30rocblas_trsm_small_left_deviceILi24ELi24ELb1E19rocblas_complex_numIfES1_PKS1_PS1_Ev13rocblas_fill_18rocblas_operation_17rocblas_diagonal_iiT3_T4_lilT5_lili
                                        ; -- End function
	.set _ZL30rocblas_trsm_small_left_deviceILi24ELi24ELb1E19rocblas_complex_numIfES1_PKS1_PS1_Ev13rocblas_fill_18rocblas_operation_17rocblas_diagonal_iiT3_T4_lilT5_lili.num_vgpr, 34
	.set _ZL30rocblas_trsm_small_left_deviceILi24ELi24ELb1E19rocblas_complex_numIfES1_PKS1_PS1_Ev13rocblas_fill_18rocblas_operation_17rocblas_diagonal_iiT3_T4_lilT5_lili.num_agpr, 0
	.set _ZL30rocblas_trsm_small_left_deviceILi24ELi24ELb1E19rocblas_complex_numIfES1_PKS1_PS1_Ev13rocblas_fill_18rocblas_operation_17rocblas_diagonal_iiT3_T4_lilT5_lili.numbered_sgpr, 61
	.set _ZL30rocblas_trsm_small_left_deviceILi24ELi24ELb1E19rocblas_complex_numIfES1_PKS1_PS1_Ev13rocblas_fill_18rocblas_operation_17rocblas_diagonal_iiT3_T4_lilT5_lili.num_named_barrier, 0
	.set _ZL30rocblas_trsm_small_left_deviceILi24ELi24ELb1E19rocblas_complex_numIfES1_PKS1_PS1_Ev13rocblas_fill_18rocblas_operation_17rocblas_diagonal_iiT3_T4_lilT5_lili.private_seg_size, 208
	.set _ZL30rocblas_trsm_small_left_deviceILi24ELi24ELb1E19rocblas_complex_numIfES1_PKS1_PS1_Ev13rocblas_fill_18rocblas_operation_17rocblas_diagonal_iiT3_T4_lilT5_lili.uses_vcc, 1
	.set _ZL30rocblas_trsm_small_left_deviceILi24ELi24ELb1E19rocblas_complex_numIfES1_PKS1_PS1_Ev13rocblas_fill_18rocblas_operation_17rocblas_diagonal_iiT3_T4_lilT5_lili.uses_flat_scratch, 0
	.set _ZL30rocblas_trsm_small_left_deviceILi24ELi24ELb1E19rocblas_complex_numIfES1_PKS1_PS1_Ev13rocblas_fill_18rocblas_operation_17rocblas_diagonal_iiT3_T4_lilT5_lili.has_dyn_sized_stack, 0
	.set _ZL30rocblas_trsm_small_left_deviceILi24ELi24ELb1E19rocblas_complex_numIfES1_PKS1_PS1_Ev13rocblas_fill_18rocblas_operation_17rocblas_diagonal_iiT3_T4_lilT5_lili.has_recursion, 0
	.set _ZL30rocblas_trsm_small_left_deviceILi24ELi24ELb1E19rocblas_complex_numIfES1_PKS1_PS1_Ev13rocblas_fill_18rocblas_operation_17rocblas_diagonal_iiT3_T4_lilT5_lili.has_indirect_call, 0
	.section	.AMDGPU.csdata,"",@progbits
; Kernel info:
; codeLenInByte = 4104
; TotalNumSgprs: 63
; NumVgprs: 34
; ScratchSize: 208
; MemoryBound: 0
; FloatMode: 240
; IeeeMode: 1
; LDSByteSize: 4608 bytes/workgroup (compile time only)
; SGPRBlocks: 0
; VGPRBlocks: 2
; NumSGPRsForWavesPerEU: 63
; NumVGPRsForWavesPerEU: 34
; NamedBarCnt: 0
; Occupancy: 16
; WaveLimiterHint : 1
; COMPUTE_PGM_RSRC2:SCRATCH_EN: 1
; COMPUTE_PGM_RSRC2:USER_SGPR: 2
; COMPUTE_PGM_RSRC2:TRAP_HANDLER: 0
; COMPUTE_PGM_RSRC2:TGID_X_EN: 1
; COMPUTE_PGM_RSRC2:TGID_Y_EN: 0
; COMPUTE_PGM_RSRC2:TGID_Z_EN: 1
; COMPUTE_PGM_RSRC2:TIDIG_COMP_CNT: 0
	.section	.text._ZL31rocblas_trsm_small_right_deviceI19rocblas_complex_numIfES1_PKS1_PS1_Li24EEv13rocblas_fill_18rocblas_operation_17rocblas_diagonal_iiT0_T1_lilT2_lili,"axG",@progbits,_ZL31rocblas_trsm_small_right_deviceI19rocblas_complex_numIfES1_PKS1_PS1_Li24EEv13rocblas_fill_18rocblas_operation_17rocblas_diagonal_iiT0_T1_lilT2_lili,comdat
	.globl	_ZL31rocblas_trsm_small_right_deviceI19rocblas_complex_numIfES1_PKS1_PS1_Li24EEv13rocblas_fill_18rocblas_operation_17rocblas_diagonal_iiT0_T1_lilT2_lili ; -- Begin function _ZL31rocblas_trsm_small_right_deviceI19rocblas_complex_numIfES1_PKS1_PS1_Li24EEv13rocblas_fill_18rocblas_operation_17rocblas_diagonal_iiT0_T1_lilT2_lili
	.p2align	8
	.type	_ZL31rocblas_trsm_small_right_deviceI19rocblas_complex_numIfES1_PKS1_PS1_Li24EEv13rocblas_fill_18rocblas_operation_17rocblas_diagonal_iiT0_T1_lilT2_lili,@function
_ZL31rocblas_trsm_small_right_deviceI19rocblas_complex_numIfES1_PKS1_PS1_Li24EEv13rocblas_fill_18rocblas_operation_17rocblas_diagonal_iiT0_T1_lilT2_lili: ; @_ZL31rocblas_trsm_small_right_deviceI19rocblas_complex_numIfES1_PKS1_PS1_Li24EEv13rocblas_fill_18rocblas_operation_17rocblas_diagonal_iiT0_T1_lilT2_lili
; %bb.0:
	s_load_b32 s33, s[0:1], 0x60
	s_bfe_u32 s2, ttmp6, 0x40014
	s_lshr_b32 s4, ttmp7, 16
	s_add_co_i32 s2, s2, 1
	s_bfe_u32 s5, ttmp6, 0x40008
	s_mul_i32 s2, s4, s2
	s_getreg_b32 s3, hwreg(HW_REG_IB_STS2, 6, 4)
	s_add_co_i32 s5, s5, s2
	s_cmp_eq_u32 s3, 0
	s_mov_b32 s19, 0
	s_cselect_b32 s2, s4, s5
	s_wait_kmcnt 0x0
	s_cmp_ge_u32 s2, s33
	s_cbranch_scc1 .LBB162_155
; %bb.1:
	s_clause 0x7
	s_load_b96 s[20:22], s[0:1], 0x48
	s_load_b32 s26, s[0:1], 0x30
	s_load_b128 s[12:15], s[0:1], 0x0
	s_load_b96 s[16:18], s[0:1], 0x10
	s_load_b32 s23, s[0:1], 0x68
	s_load_b128 s[8:11], s[0:1], 0x20
	s_load_b128 s[4:7], s[0:1], 0x38
	s_load_b64 s[24:25], s[0:1], 0x58
	v_dual_mov_b32 v15, 0 :: v_dual_lshlrev_b32 v12, 3, v0
	v_mul_u32_u24_e32 v1, 0xc0, v0
	v_mov_b64_e32 v[22:23], 0x3f800000
	v_lshlrev_b32_e32 v14, 3, v0
	s_delay_alu instid0(VALU_DEP_4) | instskip(NEXT) | instid1(VALU_DEP_4)
	v_or_b32_e32 v26, 0x1200, v12
	v_dual_mov_b32 v13, v15 :: v_dual_add_nc_u32 v28, v12, v1
	s_wait_kmcnt 0x0
	s_ashr_i32 s29, s22, 31
	s_mov_b32 s28, s22
	s_ashr_i32 s27, s26, 31
	s_cmp_eq_u64 s[28:29], 1
	s_mov_b32 s22, s18
	s_cselect_b32 s34, -1, 0
	s_lshl_b64 s[0:1], s[20:21], 3
	s_cmp_lg_u32 s12, 0x7a
	s_cselect_b32 s35, -1, 0
	s_cmp_lg_u32 s13, 0x71
	s_cselect_b32 s36, -1, 0
	s_bfe_u32 s20, ttmp6, 0x4000c
	s_min_i32 s37, s16, 24
	s_add_co_i32 s20, s20, 1
	s_and_b32 s21, ttmp6, 15
	s_mul_i32 s20, ttmp9, s20
	s_add_co_i32 s23, s23, -1
	s_add_co_i32 s38, s37, -1
	s_add_co_i32 s21, s21, s20
	s_cmp_eq_u32 s3, 0
	s_mov_b32 s20, s17
	s_cselect_b32 s30, ttmp9, s21
	s_mov_b32 s21, s18
	s_mul_i32 s3, s30, 0xffffffe8
	s_delay_alu instid0(SALU_CYCLE_1)
	s_add_co_i32 s3, s15, s3
	s_cmp_ge_u32 s30, s23
	s_mov_b32 s15, s17
	s_cselect_b32 s3, s3, 24
	s_ashr_i32 s31, s30, 31
	s_cmp_eq_u32 s14, 0x84
	v_cmp_gt_i32_e32 vcc_lo, s3, v0
	s_cselect_b32 s39, -1, 0
	s_cmp_gt_i32 s16, 0
	s_mul_u64 s[30:31], s[30:31], 0xc0
	s_cselect_b32 s43, -1, 0
	s_cmp_lg_u32 s13, 0x6f
	s_mov_b32 s14, s17
	s_cselect_b32 s13, -1, 0
	s_cmp_lg_u32 s12, 0x79
	s_mov_b32 s23, s18
	s_cselect_b32 s3, -1, 0
	s_or_b32 s40, s35, s13
	s_or_b32 s41, s3, s13
	s_cmp_gt_i32 s16, 3
	v_cndmask_b32_e64 v27, 0, 1, s3
	s_cselect_b32 s42, -1, 0
	s_and_b32 s43, vcc_lo, s43
	s_cmp_gt_u32 s16, 1
	s_mov_b32 s13, s17
	s_cselect_b32 s3, -1, 0
	s_and_b32 s44, s16, 0x7ffffffe
	s_and_b32 s45, s3, s34
	s_cmp_lg_u32 s16, s44
	s_add_nc_u64 s[34:35], s[30:31], s[0:1]
	s_cselect_b32 s46, -1, 0
	s_lshl_b64 s[10:11], s[10:11], 3
	s_mul_i32 s17, s37, 0xc0
	s_add_nc_u64 s[8:9], s[8:9], s[10:11]
	s_add_nc_u64 s[10:11], s[6:7], s[34:35]
	v_add_nc_u64_e32 v[2:3], s[8:9], v[12:13]
	v_add_nc_u64_e32 v[16:17], s[10:11], v[12:13]
	s_add_nc_u64 s[6:7], s[6:7], s[0:1]
	v_cmp_gt_i32_e64 s0, s37, v0
	v_add3_u32 v13, s17, v12, 0x1140
	s_mul_i32 s1, s37, 0xc8
	s_lshl_b32 s48, s37, 3
	v_add_nc_u64_e32 v[18:19], 4, v[2:3]
	v_add_nc_u64_e32 v[20:21], 4, v[16:17]
	s_mov_b32 s12, s18
	s_add_nc_u64 s[6:7], s[6:7], s[30:31]
	s_lshl_b64 s[4:5], s[4:5], 3
	s_lshl_b64 s[8:9], s[26:27], 3
	;; [unrolled: 1-line block ×4, first 2 shown]
	s_addk_co_i32 s17, 0xff40
	s_add_co_i32 s47, s1, 0xfffffcf8
	s_add_co_i32 s48, s48, -8
	s_branch .LBB162_3
.LBB162_2:                              ;   in Loop: Header=BB162_3 Depth=1
	s_or_b32 exec_lo, exec_lo, s3
	s_add_co_i32 s2, s2, 0x10000
	s_delay_alu instid0(SALU_CYCLE_1)
	s_cmp_lt_u32 s2, s33
	s_cbranch_scc0 .LBB162_155
.LBB162_3:                              ; =>This Loop Header: Depth=1
                                        ;     Child Loop BB162_6 Depth 2
                                        ;     Child Loop BB162_15 Depth 2
	;; [unrolled: 1-line block ×4, first 2 shown]
                                        ;       Child Loop BB162_26 Depth 3
                                        ;     Child Loop BB162_48 Depth 2
                                        ;       Child Loop BB162_49 Depth 3
                                        ;     Child Loop BB162_57 Depth 2
	;; [unrolled: 2-line block ×8, first 2 shown]
	s_mov_b32 s3, s19
	s_and_saveexec_b32 s18, s0
	s_cbranch_execz .LBB162_12
; %bb.4:                                ;   in Loop: Header=BB162_3 Depth=1
	v_mad_nc_u64_u32 v[0:1], s4, s2, v[18:19]
	v_mov_b32_e32 v4, v12
	s_mov_b32 s28, s37
	s_delay_alu instid0(VALU_DEP_2)
	v_mad_u32 v1, s5, s2, v1
	s_branch .LBB162_6
.LBB162_5:                              ;   in Loop: Header=BB162_6 Depth=2
	global_load_b32 v2, v[0:1], off offset:-4
	s_wait_xcnt 0x0
	v_add_nc_u64_e32 v[0:1], s[8:9], v[0:1]
	s_add_co_i32 s28, s28, -1
	s_delay_alu instid0(SALU_CYCLE_1)
	s_cmp_eq_u32 s28, 0
	s_wait_loadcnt 0x0
	ds_store_b64 v4, v[2:3]
	v_add_nc_u32_e32 v4, 0xc0, v4
	s_cbranch_scc1 .LBB162_10
.LBB162_6:                              ;   Parent Loop BB162_3 Depth=1
                                        ; =>  This Inner Loop Header: Depth=2
	s_and_b32 vcc_lo, exec_lo, s36
	s_mov_b32 s29, -1
                                        ; implicit-def: $vgpr3
	s_cbranch_vccz .LBB162_8
; %bb.7:                                ;   in Loop: Header=BB162_6 Depth=2
	global_load_b32 v3, v[0:1], off
	s_mov_b32 s29, 0
.LBB162_8:                              ;   in Loop: Header=BB162_6 Depth=2
	s_delay_alu instid0(SALU_CYCLE_1)
	s_and_not1_b32 vcc_lo, exec_lo, s29
	s_cbranch_vccnz .LBB162_5
; %bb.9:                                ;   in Loop: Header=BB162_6 Depth=2
	global_load_b32 v2, v[0:1], off
	s_wait_loadcnt 0x0
	v_xor_b32_e32 v3, 0x80000000, v2
	s_branch .LBB162_5
.LBB162_10:                             ;   in Loop: Header=BB162_3 Depth=1
	s_and_b32 vcc_lo, exec_lo, s39
	s_cbranch_vccz .LBB162_12
; %bb.11:                               ;   in Loop: Header=BB162_3 Depth=1
	ds_store_b64 v28, v[22:23]
.LBB162_12:                             ;   in Loop: Header=BB162_3 Depth=1
	s_or_b32 exec_lo, exec_lo, s18
	s_mul_u64 s[28:29], s[26:27], s[2:3]
	s_and_saveexec_b32 s49, s43
	s_cbranch_execz .LBB162_20
; %bb.13:                               ;   in Loop: Header=BB162_3 Depth=1
	s_and_not1_b32 vcc_lo, exec_lo, s45
	s_cbranch_vccnz .LBB162_17
; %bb.14:                               ;   in Loop: Header=BB162_3 Depth=1
	s_mul_u64 s[30:31], s[24:25], s[2:3]
	s_mov_b32 s18, 0
	s_lshl_b64 s[30:31], s[30:31], 3
	s_mov_b32 s3, s44
	s_add_nc_u64 s[30:31], s[6:7], s[30:31]
	s_delay_alu instid0(SALU_CYCLE_1)
	v_add_nc_u64_e32 v[0:1], s[30:31], v[14:15]
	s_mov_b32 s30, 1
.LBB162_15:                             ;   Parent Loop BB162_3 Depth=1
                                        ; =>  This Inner Loop Header: Depth=2
	s_mov_b32 s31, s19
	s_delay_alu instid0(VALU_DEP_1)
	v_lshl_add_u64 v[2:3], s[18:19], 3, v[0:1]
	v_lshl_add_u64 v[4:5], s[30:31], 3, v[0:1]
	v_mad_u32 v24, 0xc0, s18, v26
	v_mad_u32 v25, 0xc0, s30, v26
	s_add_co_i32 s3, s3, -2
	s_clause 0x1
	global_load_b64 v[6:7], v[2:3], off
	global_load_b64 v[8:9], v[4:5], off
	s_wait_xcnt 0x1
	v_mov_b64_e32 v[2:3], s[22:23]
	s_wait_xcnt 0x0
	v_mov_b64_e32 v[4:5], s[14:15]
	s_add_co_i32 s18, s18, 2
	s_add_co_i32 s30, s30, 2
	s_mov_b32 s34, s44
	s_mov_b32 s31, s46
	s_cmp_lg_u32 s3, 0
	s_wait_loadcnt 0x0
	v_dual_mov_b32 v10, v6 :: v_dual_mov_b32 v11, v8
	v_mov_b32_e32 v8, v7
	s_delay_alu instid0(VALU_DEP_1) | instskip(SKIP_1) | instid1(VALU_DEP_2)
	v_pk_mul_f32 v[6:7], v[2:3], v[8:9]
	v_pk_mul_f32 v[8:9], v[4:5], v[8:9]
	v_pk_fma_f32 v[4:5], v[4:5], v[10:11], v[6:7] neg_lo:[0,0,1] neg_hi:[0,0,1]
	s_delay_alu instid0(VALU_DEP_2)
	v_pk_fma_f32 v[2:3], v[2:3], v[10:11], v[8:9]
	ds_store_b32 v24, v4
	ds_store_b32 v25, v5
	ds_store_b32 v24, v2 offset:4
	ds_store_b32 v25, v3 offset:4
	s_cbranch_scc1 .LBB162_15
; %bb.16:                               ;   in Loop: Header=BB162_3 Depth=1
	s_and_b32 vcc_lo, exec_lo, s31
	s_cbranch_vccnz .LBB162_18
	s_branch .LBB162_20
.LBB162_17:                             ;   in Loop: Header=BB162_3 Depth=1
	s_mov_b32 s34, 0
	s_cbranch_execz .LBB162_20
.LBB162_18:                             ;   in Loop: Header=BB162_3 Depth=1
	s_mov_b32 s35, s19
	v_mad_u32 v2, 0xc0, s34, v26
	s_mul_u64 s[30:31], s[10:11], s[34:35]
	s_sub_co_i32 s3, s16, s34
	s_add_nc_u64 s[30:31], s[30:31], s[28:29]
	s_delay_alu instid0(SALU_CYCLE_1)
	v_add_nc_u64_e32 v[0:1], s[30:31], v[20:21]
.LBB162_19:                             ;   Parent Loop BB162_3 Depth=1
                                        ; =>  This Inner Loop Header: Depth=2
	global_load_b64 v[4:5], v[0:1], off offset:-4
	v_mov_b64_e32 v[6:7], s[12:13]
	v_mov_b64_e32 v[8:9], s[20:21]
	s_wait_xcnt 0x0
	v_add_nc_u64_e32 v[0:1], s[10:11], v[0:1]
	s_add_co_i32 s3, s3, -1
	s_delay_alu instid0(SALU_CYCLE_1) | instskip(SKIP_2) | instid1(VALU_DEP_1)
	s_cmp_lg_u32 s3, 0
	s_wait_loadcnt 0x0
	v_pk_mul_f32 v[6:7], v[6:7], v[4:5] op_sel:[0,1]
	v_pk_fma_f32 v[10:11], v[8:9], v[4:5], v[6:7] op_sel_hi:[1,0,1]
	v_pk_fma_f32 v[4:5], v[8:9], v[4:5], v[6:7] neg_lo:[0,0,1] neg_hi:[0,0,1]
	s_delay_alu instid0(VALU_DEP_2)
	v_mov_b32_e32 v5, v11
	ds_store_b64 v2, v[4:5]
	v_add_nc_u32_e32 v2, 0xc0, v2
	s_cbranch_scc1 .LBB162_19
.LBB162_20:                             ;   in Loop: Header=BB162_3 Depth=1
	s_or_b32 exec_lo, exec_lo, s49
	s_delay_alu instid0(SALU_CYCLE_1)
	s_and_b32 vcc_lo, exec_lo, s41
	s_mov_b32 s3, -1
	s_wait_dscnt 0x0
	; wave barrier
	s_cbranch_vccz .LBB162_120
; %bb.21:                               ;   in Loop: Header=BB162_3 Depth=1
	s_and_b32 vcc_lo, exec_lo, s40
	s_cbranch_vccz .LBB162_88
; %bb.22:                               ;   in Loop: Header=BB162_3 Depth=1
	v_cmp_ne_u32_e32 vcc_lo, 1, v27
	s_cbranch_vccnz .LBB162_55
; %bb.23:                               ;   in Loop: Header=BB162_3 Depth=1
	s_and_not1_b32 vcc_lo, exec_lo, s42
	s_mov_b32 s30, 0
	s_cbranch_vccnz .LBB162_45
; %bb.24:                               ;   in Loop: Header=BB162_3 Depth=1
	s_mov_b32 s3, 0
	s_mov_b32 s18, 0
.LBB162_25:                             ;   Parent Loop BB162_3 Depth=1
                                        ; =>  This Loop Header: Depth=2
                                        ;       Child Loop BB162_26 Depth 3
	s_delay_alu instid0(SALU_CYCLE_1) | instskip(SKIP_3) | instid1(SALU_CYCLE_1)
	v_mad_u32 v30, 0xc0, s18, v26
	s_or_b32 s30, s18, 3
	s_cmp_eq_u32 s18, 0
	s_mulk_i32 s30, 0xc0
	v_dual_mov_b32 v4, v26 :: v_dual_add_nc_u32 v29, s30, v26
	s_mov_b32 s30, s3
	s_mov_b32 s31, s18
	ds_load_2addr_b64 v[0:3], v30 offset1:24
	ds_load_b64 v[10:11], v30 offset:384
	ds_load_b64 v[8:9], v29
	s_cbranch_scc1 .LBB162_27
.LBB162_26:                             ;   Parent Loop BB162_3 Depth=1
                                        ;     Parent Loop BB162_25 Depth=2
                                        ; =>    This Inner Loop Header: Depth=3
	v_mov_b32_e32 v5, s30
	s_add_co_i32 s31, s31, -1
	s_addk_co_i32 s30, 0xc0
	s_cmp_eq_u32 s31, 0
	ds_load_b64 v[6:7], v4
	ds_load_b128 v[32:35], v5
	ds_load_b128 v[36:39], v5 offset:16
	s_wait_dscnt 0x1
	v_dual_mul_f32 v5, v33, v7 :: v_dual_add_nc_u32 v4, 0xc0, v4
	v_dual_mul_f32 v31, v32, v7 :: v_dual_mul_f32 v42, v35, v7
	v_mul_f32_e32 v43, v35, v6
	s_wait_dscnt 0x0
	v_pk_mul_f32 v[24:25], v[36:37], v[6:7] op_sel:[0,1]
	v_pk_mul_f32 v[40:41], v[38:39], v[6:7] op_sel:[0,1]
	v_dual_fma_f32 v5, v32, v6, -v5 :: v_dual_fmac_f32 v31, v33, v6
	v_dual_fma_f32 v42, v34, v6, -v42 :: v_dual_fmac_f32 v43, v34, v7
	s_delay_alu instid0(VALU_DEP_4) | instskip(NEXT) | instid1(VALU_DEP_4)
	v_pk_fma_f32 v[32:33], v[36:37], v[6:7], v[24:25] op_sel:[0,0,1] op_sel_hi:[1,0,0]
	v_pk_fma_f32 v[34:35], v[38:39], v[6:7], v[40:41] op_sel:[0,0,1] op_sel_hi:[1,0,0]
	v_pk_fma_f32 v[24:25], v[36:37], v[6:7], v[24:25] op_sel:[0,0,1] op_sel_hi:[1,1,0] neg_lo:[0,0,1] neg_hi:[0,0,1]
	v_pk_fma_f32 v[6:7], v[38:39], v[6:7], v[40:41] op_sel:[0,0,1] op_sel_hi:[1,1,0] neg_lo:[0,0,1] neg_hi:[0,0,1]
	s_delay_alu instid0(VALU_DEP_4) | instskip(NEXT) | instid1(VALU_DEP_4)
	v_dual_sub_f32 v0, v0, v5 :: v_dual_mov_b32 v25, v33
	v_dual_mov_b32 v7, v35 :: v_dual_sub_f32 v1, v1, v31
	v_dual_sub_f32 v2, v2, v42 :: v_dual_sub_f32 v3, v3, v43
	s_delay_alu instid0(VALU_DEP_3) | instskip(NEXT) | instid1(VALU_DEP_3)
	v_pk_add_f32 v[10:11], v[10:11], v[24:25] neg_lo:[0,1] neg_hi:[0,1]
	v_pk_add_f32 v[8:9], v[8:9], v[6:7] neg_lo:[0,1] neg_hi:[0,1]
	s_cbranch_scc0 .LBB162_26
.LBB162_27:                             ;   in Loop: Header=BB162_25 Depth=2
	s_lshl_b32 s30, s18, 3
	s_mul_i32 s31, s18, 0xc0
	s_mov_b32 s34, -1
	s_add_co_i32 s31, s30, s31
                                        ; implicit-def: $vgpr25
	s_delay_alu instid0(SALU_CYCLE_1) | instskip(SKIP_4) | instid1(VALU_DEP_1)
	v_mov_b32_e32 v4, s31
	ds_load_b64 v[4:5], v4
	s_wait_dscnt 0x0
	v_and_b32_e32 v6, 0x7fffffff, v4
	v_and_b32_e32 v7, 0x7fffffff, v5
	v_cmp_ngt_f32_e32 vcc_lo, v6, v7
	s_cbranch_vccz .LBB162_29
; %bb.28:                               ;   in Loop: Header=BB162_25 Depth=2
	v_div_scale_f32 v6, null, v5, v5, v4
	v_div_scale_f32 v25, vcc_lo, v4, v5, v4
	s_mov_b32 s34, 0
	v_rcp_f32_e32 v7, v6
	v_nop
	v_xor_b32_e32 v6, 0x80000000, v6
	s_delay_alu instid0(TRANS32_DEP_1) | instid1(VALU_DEP_1)
	v_fma_f32 v24, v6, v7, 1.0
	s_delay_alu instid0(VALU_DEP_1) | instskip(NEXT) | instid1(VALU_DEP_1)
	v_fmac_f32_e32 v7, v24, v7
	v_mul_f32_e32 v24, v25, v7
	s_delay_alu instid0(VALU_DEP_1) | instskip(NEXT) | instid1(VALU_DEP_1)
	v_fma_f32 v31, v6, v24, v25
	v_fmac_f32_e32 v24, v31, v7
	s_delay_alu instid0(VALU_DEP_1) | instskip(NEXT) | instid1(VALU_DEP_1)
	v_fmac_f32_e32 v25, v6, v24
	v_div_fmas_f32 v6, v25, v7, v24
	s_delay_alu instid0(VALU_DEP_1) | instskip(NEXT) | instid1(VALU_DEP_1)
	v_div_fixup_f32 v6, v6, v5, v4
	v_fma_f32 v7, v4, v6, v5
	s_delay_alu instid0(VALU_DEP_1) | instskip(SKIP_1) | instid1(VALU_DEP_2)
	v_div_scale_f32 v24, null, v7, v7, 1.0
	v_div_scale_f32 v32, vcc_lo, 1.0, v7, 1.0
	v_rcp_f32_e32 v25, v24
	v_nop
	v_xor_b32_e32 v24, 0x80000000, v24
	s_delay_alu instid0(TRANS32_DEP_1) | instid1(VALU_DEP_1)
	v_fma_f32 v31, v24, v25, 1.0
	s_delay_alu instid0(VALU_DEP_1) | instskip(NEXT) | instid1(VALU_DEP_1)
	v_fmac_f32_e32 v25, v31, v25
	v_mul_f32_e32 v31, v32, v25
	s_delay_alu instid0(VALU_DEP_1) | instskip(NEXT) | instid1(VALU_DEP_1)
	v_fma_f32 v33, v24, v31, v32
	v_fmac_f32_e32 v31, v33, v25
	s_delay_alu instid0(VALU_DEP_1) | instskip(NEXT) | instid1(VALU_DEP_1)
	v_fmac_f32_e32 v32, v24, v31
	v_div_fmas_f32 v24, v32, v25, v31
	v_dual_fma_f32 v25, v0, v6, v1 :: v_dual_fma_f32 v6, v1, v6, -v0
	s_delay_alu instid0(VALU_DEP_2) | instskip(NEXT) | instid1(VALU_DEP_1)
	v_div_fixup_f32 v7, v24, v7, 1.0
	v_dual_mul_f32 v24, v25, v7 :: v_dual_mul_f32 v25, v6, v7
.LBB162_29:                             ;   in Loop: Header=BB162_25 Depth=2
	s_and_not1_b32 vcc_lo, exec_lo, s34
	s_cbranch_vccnz .LBB162_31
; %bb.30:                               ;   in Loop: Header=BB162_25 Depth=2
	v_div_scale_f32 v6, null, v4, v4, v5
	v_div_scale_f32 v25, vcc_lo, v5, v4, v5
	s_delay_alu instid0(VALU_DEP_2)
	v_rcp_f32_e32 v7, v6
	v_nop
	v_xor_b32_e32 v6, 0x80000000, v6
	s_delay_alu instid0(TRANS32_DEP_1) | instid1(VALU_DEP_1)
	v_fma_f32 v24, v6, v7, 1.0
	s_delay_alu instid0(VALU_DEP_1) | instskip(NEXT) | instid1(VALU_DEP_1)
	v_fmac_f32_e32 v7, v24, v7
	v_mul_f32_e32 v24, v25, v7
	s_delay_alu instid0(VALU_DEP_1) | instskip(NEXT) | instid1(VALU_DEP_1)
	v_fma_f32 v31, v6, v24, v25
	v_fmac_f32_e32 v24, v31, v7
	s_delay_alu instid0(VALU_DEP_1) | instskip(NEXT) | instid1(VALU_DEP_1)
	v_fmac_f32_e32 v25, v6, v24
	v_div_fmas_f32 v6, v25, v7, v24
	s_delay_alu instid0(VALU_DEP_1) | instskip(NEXT) | instid1(VALU_DEP_1)
	v_div_fixup_f32 v6, v6, v4, v5
	v_fmac_f32_e32 v4, v5, v6
	s_delay_alu instid0(VALU_DEP_1) | instskip(SKIP_1) | instid1(VALU_DEP_2)
	v_div_scale_f32 v5, null, v4, v4, 1.0
	v_div_scale_f32 v25, vcc_lo, 1.0, v4, 1.0
	v_rcp_f32_e32 v7, v5
	v_nop
	v_xor_b32_e32 v5, 0x80000000, v5
	s_delay_alu instid0(TRANS32_DEP_1) | instid1(VALU_DEP_1)
	v_fma_f32 v24, v5, v7, 1.0
	s_delay_alu instid0(VALU_DEP_1) | instskip(NEXT) | instid1(VALU_DEP_1)
	v_fmac_f32_e32 v7, v24, v7
	v_mul_f32_e32 v24, v25, v7
	s_delay_alu instid0(VALU_DEP_1) | instskip(NEXT) | instid1(VALU_DEP_1)
	v_fma_f32 v31, v5, v24, v25
	v_fmac_f32_e32 v24, v31, v7
	s_delay_alu instid0(VALU_DEP_1) | instskip(NEXT) | instid1(VALU_DEP_1)
	v_fmac_f32_e32 v25, v5, v24
	v_div_fmas_f32 v5, v25, v7, v24
	v_dual_fma_f32 v7, v1, v6, v0 :: v_dual_fma_f32 v0, -v0, v6, v1
	s_delay_alu instid0(VALU_DEP_2) | instskip(NEXT) | instid1(VALU_DEP_1)
	v_div_fixup_f32 v4, v5, v4, 1.0
	v_dual_mul_f32 v24, v7, v4 :: v_dual_mul_f32 v25, v0, v4
.LBB162_31:                             ;   in Loop: Header=BB162_25 Depth=2
	v_mov_b32_e32 v0, s31
	s_mov_b32 s34, -1
	ds_store_b64 v30, v[24:25]
	ds_load_2addr_b64 v[4:7], v0 offset0:1 offset1:25
	s_wait_dscnt 0x0
	v_dual_mul_f32 v1, v24, v5 :: v_dual_mul_f32 v0, v25, v5
	v_and_b32_e32 v5, 0x7fffffff, v6
	v_and_b32_e32 v31, 0x7fffffff, v7
	s_delay_alu instid0(VALU_DEP_3) | instskip(NEXT) | instid1(VALU_DEP_2)
	v_dual_fmac_f32 v1, v25, v4 :: v_dual_fma_f32 v0, v24, v4, -v0
	v_cmp_ngt_f32_e32 vcc_lo, v5, v31
                                        ; implicit-def: $vgpr5
	s_delay_alu instid0(VALU_DEP_2)
	v_dual_sub_f32 v1, v3, v1 :: v_dual_sub_f32 v0, v2, v0
	s_cbranch_vccz .LBB162_33
; %bb.32:                               ;   in Loop: Header=BB162_25 Depth=2
	v_div_scale_f32 v2, null, v7, v7, v6
	v_div_scale_f32 v5, vcc_lo, v6, v7, v6
	s_mov_b32 s34, 0
	v_rcp_f32_e32 v3, v2
	v_nop
	v_xor_b32_e32 v2, 0x80000000, v2
	s_delay_alu instid0(TRANS32_DEP_1) | instid1(VALU_DEP_1)
	v_fma_f32 v4, v2, v3, 1.0
	s_delay_alu instid0(VALU_DEP_1) | instskip(NEXT) | instid1(VALU_DEP_1)
	v_fmac_f32_e32 v3, v4, v3
	v_mul_f32_e32 v4, v5, v3
	s_delay_alu instid0(VALU_DEP_1) | instskip(NEXT) | instid1(VALU_DEP_1)
	v_fma_f32 v31, v2, v4, v5
	v_fmac_f32_e32 v4, v31, v3
	s_delay_alu instid0(VALU_DEP_1) | instskip(NEXT) | instid1(VALU_DEP_1)
	v_fmac_f32_e32 v5, v2, v4
	v_div_fmas_f32 v2, v5, v3, v4
	s_delay_alu instid0(VALU_DEP_1) | instskip(NEXT) | instid1(VALU_DEP_1)
	v_div_fixup_f32 v2, v2, v7, v6
	v_fma_f32 v3, v6, v2, v7
	s_delay_alu instid0(VALU_DEP_1) | instskip(SKIP_1) | instid1(VALU_DEP_2)
	v_div_scale_f32 v4, null, v3, v3, 1.0
	v_div_scale_f32 v32, vcc_lo, 1.0, v3, 1.0
	v_rcp_f32_e32 v5, v4
	v_nop
	v_xor_b32_e32 v4, 0x80000000, v4
	s_delay_alu instid0(TRANS32_DEP_1) | instid1(VALU_DEP_1)
	v_fma_f32 v31, v4, v5, 1.0
	s_delay_alu instid0(VALU_DEP_1) | instskip(NEXT) | instid1(VALU_DEP_1)
	v_fmac_f32_e32 v5, v31, v5
	v_mul_f32_e32 v31, v32, v5
	s_delay_alu instid0(VALU_DEP_1) | instskip(NEXT) | instid1(VALU_DEP_1)
	v_fma_f32 v33, v4, v31, v32
	v_fmac_f32_e32 v31, v33, v5
	s_delay_alu instid0(VALU_DEP_1) | instskip(NEXT) | instid1(VALU_DEP_1)
	v_fmac_f32_e32 v32, v4, v31
	v_div_fmas_f32 v4, v32, v5, v31
	v_fma_f32 v5, v2, v0, v1
	s_delay_alu instid0(VALU_DEP_2) | instskip(NEXT) | instid1(VALU_DEP_1)
	v_div_fixup_f32 v3, v4, v3, 1.0
	v_dual_fma_f32 v2, v2, v1, -v0 :: v_dual_mul_f32 v4, v5, v3
	s_delay_alu instid0(VALU_DEP_1)
	v_mul_f32_e32 v5, v2, v3
.LBB162_33:                             ;   in Loop: Header=BB162_25 Depth=2
	s_and_not1_b32 vcc_lo, exec_lo, s34
	s_cbranch_vccnz .LBB162_35
; %bb.34:                               ;   in Loop: Header=BB162_25 Depth=2
	v_div_scale_f32 v2, null, v6, v6, v7
	v_div_scale_f32 v5, vcc_lo, v7, v6, v7
	s_delay_alu instid0(VALU_DEP_2)
	v_rcp_f32_e32 v3, v2
	v_nop
	v_xor_b32_e32 v2, 0x80000000, v2
	s_delay_alu instid0(TRANS32_DEP_1) | instid1(VALU_DEP_1)
	v_fma_f32 v4, v2, v3, 1.0
	s_delay_alu instid0(VALU_DEP_1) | instskip(NEXT) | instid1(VALU_DEP_1)
	v_fmac_f32_e32 v3, v4, v3
	v_mul_f32_e32 v4, v5, v3
	s_delay_alu instid0(VALU_DEP_1) | instskip(NEXT) | instid1(VALU_DEP_1)
	v_fma_f32 v31, v2, v4, v5
	v_fmac_f32_e32 v4, v31, v3
	s_delay_alu instid0(VALU_DEP_1) | instskip(NEXT) | instid1(VALU_DEP_1)
	v_fmac_f32_e32 v5, v2, v4
	v_div_fmas_f32 v2, v5, v3, v4
	s_delay_alu instid0(VALU_DEP_1) | instskip(NEXT) | instid1(VALU_DEP_1)
	v_div_fixup_f32 v2, v2, v6, v7
	v_fmac_f32_e32 v6, v7, v2
	s_delay_alu instid0(VALU_DEP_1) | instskip(SKIP_1) | instid1(VALU_DEP_2)
	v_div_scale_f32 v3, null, v6, v6, 1.0
	v_div_scale_f32 v7, vcc_lo, 1.0, v6, 1.0
	v_rcp_f32_e32 v4, v3
	v_nop
	v_xor_b32_e32 v3, 0x80000000, v3
	s_delay_alu instid0(TRANS32_DEP_1) | instid1(VALU_DEP_1)
	v_fma_f32 v5, v3, v4, 1.0
	s_delay_alu instid0(VALU_DEP_1) | instskip(NEXT) | instid1(VALU_DEP_1)
	v_fmac_f32_e32 v4, v5, v4
	v_mul_f32_e32 v5, v7, v4
	s_delay_alu instid0(VALU_DEP_1) | instskip(NEXT) | instid1(VALU_DEP_1)
	v_fma_f32 v31, v3, v5, v7
	v_fmac_f32_e32 v5, v31, v4
	s_delay_alu instid0(VALU_DEP_1) | instskip(NEXT) | instid1(VALU_DEP_1)
	v_fmac_f32_e32 v7, v3, v5
	v_div_fmas_f32 v3, v7, v4, v5
	v_dual_fma_f32 v4, v2, v1, v0 :: v_dual_fma_f32 v0, -v2, v0, v1
	s_delay_alu instid0(VALU_DEP_2) | instskip(NEXT) | instid1(VALU_DEP_1)
	v_div_fixup_f32 v3, v3, v6, 1.0
	v_mul_f32_e32 v4, v4, v3
	s_delay_alu instid0(VALU_DEP_3)
	v_mul_f32_e32 v5, v0, v3
.LBB162_35:                             ;   in Loop: Header=BB162_25 Depth=2
	s_add_co_i32 s34, s31, 0xc8
	s_or_b32 s35, s30, 8
	s_delay_alu instid0(VALU_DEP_1) | instskip(SKIP_3) | instid1(SALU_CYCLE_1)
	v_dual_mov_b32 v32, v25 :: v_dual_mov_b32 v34, v5
	s_sub_co_i32 s35, s34, s35
	s_mov_b32 s49, -1
	s_add_co_i32 s35, s35, s30
	v_dual_mov_b32 v0, s31 :: v_dual_mov_b32 v6, s35
	ds_store_b64 v30, v[4:5] offset:192
	ds_load_2addr_b64 v[0:3], v0 offset0:2 offset1:50
	ds_load_b64 v[6:7], v6 offset:16
	s_wait_dscnt 0x1
	v_pk_mul_f32 v[32:33], v[32:33], v[0:1] op_sel_hi:[0,1]
	s_wait_dscnt 0x0
	v_pk_mul_f32 v[34:35], v[34:35], v[6:7] op_sel_hi:[0,1]
	v_and_b32_e32 v31, 0x7fffffff, v2
	s_delay_alu instid0(VALU_DEP_3) | instskip(SKIP_1) | instid1(VALU_DEP_4)
	v_pk_fma_f32 v[36:37], v[24:25], v[0:1], v[32:33] op_sel:[0,0,1] op_sel_hi:[0,1,0]
	v_pk_fma_f32 v[0:1], v[24:25], v[0:1], v[32:33] op_sel:[0,0,1] op_sel_hi:[1,1,0] neg_lo:[0,0,1] neg_hi:[0,0,1]
	v_pk_fma_f32 v[32:33], v[4:5], v[6:7], v[34:35] op_sel:[0,0,1] op_sel_hi:[0,1,0]
	v_and_b32_e32 v32, 0x7fffffff, v3
	v_pk_fma_f32 v[6:7], v[4:5], v[6:7], v[34:35] op_sel:[0,0,1] op_sel_hi:[1,1,0] neg_lo:[0,0,1] neg_hi:[0,0,1]
	s_delay_alu instid0(VALU_DEP_3) | instskip(NEXT) | instid1(VALU_DEP_3)
	v_dual_mov_b32 v1, v37 :: v_dual_mov_b32 v7, v33
	v_cmp_ngt_f32_e32 vcc_lo, v31, v32
	s_delay_alu instid0(VALU_DEP_2) | instskip(NEXT) | instid1(VALU_DEP_1)
	v_pk_add_f32 v[0:1], v[10:11], v[0:1] neg_lo:[0,1] neg_hi:[0,1]
	v_pk_add_f32 v[0:1], v[0:1], v[6:7] neg_lo:[0,1] neg_hi:[0,1]
                                        ; implicit-def: $vgpr6_vgpr7
	s_cbranch_vccz .LBB162_37
; %bb.36:                               ;   in Loop: Header=BB162_25 Depth=2
	v_div_scale_f32 v6, null, v3, v3, v2
	v_div_scale_f32 v11, vcc_lo, v2, v3, v2
	s_mov_b32 s49, 0
	v_rcp_f32_e32 v7, v6
	v_nop
	v_xor_b32_e32 v6, 0x80000000, v6
	s_delay_alu instid0(TRANS32_DEP_1) | instid1(VALU_DEP_1)
	v_fma_f32 v10, v6, v7, 1.0
	s_delay_alu instid0(VALU_DEP_1) | instskip(NEXT) | instid1(VALU_DEP_1)
	v_fmac_f32_e32 v7, v10, v7
	v_mul_f32_e32 v10, v11, v7
	s_delay_alu instid0(VALU_DEP_1) | instskip(NEXT) | instid1(VALU_DEP_1)
	v_fma_f32 v31, v6, v10, v11
	v_fmac_f32_e32 v10, v31, v7
	s_delay_alu instid0(VALU_DEP_1) | instskip(NEXT) | instid1(VALU_DEP_1)
	v_fmac_f32_e32 v11, v6, v10
	v_div_fmas_f32 v6, v11, v7, v10
	s_delay_alu instid0(VALU_DEP_1) | instskip(NEXT) | instid1(VALU_DEP_1)
	v_div_fixup_f32 v6, v6, v3, v2
	v_fma_f32 v7, v2, v6, v3
	s_delay_alu instid0(VALU_DEP_1) | instskip(NEXT) | instid1(VALU_DEP_1)
	v_div_scale_f32 v10, null, v7, v7, 1.0
	v_rcp_f32_e32 v11, v10
	v_nop
	v_xor_b32_e32 v10, 0x80000000, v10
	s_delay_alu instid0(TRANS32_DEP_1) | instid1(VALU_DEP_1)
	v_fma_f32 v31, v10, v11, 1.0
	s_delay_alu instid0(VALU_DEP_1) | instskip(SKIP_1) | instid1(VALU_DEP_1)
	v_fmac_f32_e32 v11, v31, v11
	v_div_scale_f32 v31, vcc_lo, 1.0, v7, 1.0
	v_mul_f32_e32 v32, v31, v11
	s_delay_alu instid0(VALU_DEP_1) | instskip(NEXT) | instid1(VALU_DEP_1)
	v_fma_f32 v33, v10, v32, v31
	v_fmac_f32_e32 v32, v33, v11
	s_delay_alu instid0(VALU_DEP_1) | instskip(NEXT) | instid1(VALU_DEP_1)
	v_dual_fmac_f32 v31, v10, v32 :: v_dual_mov_b32 v10, v1
	v_div_fmas_f32 v31, v31, v11, v32
	s_delay_alu instid0(VALU_DEP_2) | instskip(NEXT) | instid1(VALU_DEP_2)
	v_pk_fma_f32 v[10:11], v[6:7], v[0:1], v[10:11]
	v_div_fixup_f32 v11, v31, v7, 1.0
	s_delay_alu instid0(VALU_DEP_1) | instskip(NEXT) | instid1(VALU_DEP_1)
	v_dual_fma_f32 v7, v6, v1, -v0 :: v_dual_mov_b32 v6, v11
	v_pk_mul_f32 v[6:7], v[10:11], v[6:7]
.LBB162_37:                             ;   in Loop: Header=BB162_25 Depth=2
	s_and_not1_b32 vcc_lo, exec_lo, s49
	s_cbranch_vccnz .LBB162_39
; %bb.38:                               ;   in Loop: Header=BB162_25 Depth=2
	v_div_scale_f32 v6, null, v2, v2, v3
	v_div_scale_f32 v11, vcc_lo, v3, v2, v3
	s_delay_alu instid0(VALU_DEP_2)
	v_rcp_f32_e32 v7, v6
	v_nop
	v_xor_b32_e32 v6, 0x80000000, v6
	s_delay_alu instid0(TRANS32_DEP_1) | instid1(VALU_DEP_1)
	v_fma_f32 v10, v6, v7, 1.0
	s_delay_alu instid0(VALU_DEP_1) | instskip(NEXT) | instid1(VALU_DEP_1)
	v_fmac_f32_e32 v7, v10, v7
	v_mul_f32_e32 v10, v11, v7
	s_delay_alu instid0(VALU_DEP_1) | instskip(NEXT) | instid1(VALU_DEP_1)
	v_fma_f32 v31, v6, v10, v11
	v_fmac_f32_e32 v10, v31, v7
	s_delay_alu instid0(VALU_DEP_1) | instskip(NEXT) | instid1(VALU_DEP_1)
	v_fmac_f32_e32 v11, v6, v10
	v_div_fmas_f32 v6, v11, v7, v10
	s_delay_alu instid0(VALU_DEP_1) | instskip(NEXT) | instid1(VALU_DEP_1)
	v_div_fixup_f32 v6, v6, v2, v3
	v_fma_f32 v7, v3, v6, v2
	s_delay_alu instid0(VALU_DEP_1) | instskip(NEXT) | instid1(VALU_DEP_1)
	v_div_scale_f32 v2, null, v7, v7, 1.0
	v_rcp_f32_e32 v3, v2
	v_nop
	v_xor_b32_e32 v2, 0x80000000, v2
	s_delay_alu instid0(TRANS32_DEP_1) | instid1(VALU_DEP_1)
	v_fma_f32 v10, v2, v3, 1.0
	s_delay_alu instid0(VALU_DEP_1) | instskip(SKIP_1) | instid1(VALU_DEP_1)
	v_fmac_f32_e32 v3, v10, v3
	v_div_scale_f32 v11, vcc_lo, 1.0, v7, 1.0
	v_mul_f32_e32 v10, v11, v3
	s_delay_alu instid0(VALU_DEP_1) | instskip(NEXT) | instid1(VALU_DEP_1)
	v_fma_f32 v31, v2, v10, v11
	v_fmac_f32_e32 v10, v31, v3
	s_delay_alu instid0(VALU_DEP_1) | instskip(NEXT) | instid1(VALU_DEP_1)
	v_fmac_f32_e32 v11, v2, v10
	v_div_fmas_f32 v10, v11, v3, v10
	v_pk_fma_f32 v[2:3], v[6:7], v[0:1], v[0:1] op_sel:[0,1,0] op_sel_hi:[0,0,1] neg_lo:[1,0,0] neg_hi:[1,0,0]
	v_pk_fma_f32 v[0:1], v[6:7], v[0:1], v[0:1] op_sel:[0,1,0] op_sel_hi:[1,0,1]
	s_delay_alu instid0(VALU_DEP_3) | instskip(NEXT) | instid1(VALU_DEP_3)
	v_div_fixup_f32 v2, v10, v7, 1.0
	v_mov_b32_e32 v1, v3
	s_delay_alu instid0(VALU_DEP_1)
	v_pk_mul_f32 v[6:7], v[0:1], v[2:3] op_sel_hi:[1,0]
.LBB162_39:                             ;   in Loop: Header=BB162_25 Depth=2
	v_dual_mov_b32 v0, s31 :: v_dual_mov_b32 v10, s35
	s_or_b32 s31, s30, 16
	v_mov_b32_e32 v35, v25
	s_sub_co_i32 s31, s34, s31
	ds_load_2addr_b64 v[0:3], v0 offset0:3 offset1:75
	s_add_co_i32 s30, s31, s30
	ds_load_b64 v[10:11], v10 offset:24
	v_dual_mov_b32 v31, s30 :: v_dual_mov_b32 v34, v25
	v_dual_mov_b32 v25, v24 :: v_dual_mov_b32 v36, v5
	v_mov_b32_e32 v37, v5
	ds_load_b64 v[32:33], v31 offset:224
	s_mov_b32 s30, -1
	ds_store_b64 v30, v[6:7] offset:384
	s_wait_dscnt 0x3
	v_pk_mul_f32 v[34:35], v[34:35], v[0:1]
	s_wait_dscnt 0x2
	v_pk_mul_f32 v[36:37], v[36:37], v[10:11]
	s_delay_alu instid0(VALU_DEP_2)
	v_pk_fma_f32 v[38:39], v[24:25], v[0:1], v[34:35] op_sel:[0,0,1] op_sel_hi:[1,1,0]
	v_mov_b32_e32 v5, v4
	v_pk_fma_f32 v[0:1], v[24:25], v[0:1], v[34:35] op_sel:[0,0,1] op_sel_hi:[1,1,0] neg_lo:[0,0,1] neg_hi:[0,0,1]
	s_wait_dscnt 0x1
	v_pk_mul_f32 v[34:35], v[6:7], v[32:33] op_sel:[1,1] op_sel_hi:[1,0]
	v_mov_b32_e32 v1, v39
	v_pk_fma_f32 v[24:25], v[4:5], v[10:11], v[36:37] op_sel:[0,0,1] op_sel_hi:[1,1,0]
	v_pk_fma_f32 v[4:5], v[4:5], v[10:11], v[36:37] op_sel:[0,0,1] op_sel_hi:[1,1,0] neg_lo:[0,0,1] neg_hi:[0,0,1]
	v_and_b32_e32 v24, 0x7fffffff, v3
	v_pk_fma_f32 v[10:11], v[6:7], v[32:33], v[34:35] neg_lo:[0,0,1] neg_hi:[0,0,1]
	v_pk_add_f32 v[0:1], v[8:9], v[0:1] neg_lo:[0,1] neg_hi:[0,1]
	v_pk_fma_f32 v[8:9], v[6:7], v[32:33], v[34:35] op_sel_hi:[0,1,1]
	v_mov_b32_e32 v5, v25
	v_and_b32_e32 v8, 0x7fffffff, v2
	s_delay_alu instid0(VALU_DEP_3) | instskip(NEXT) | instid1(VALU_DEP_3)
	v_mov_b32_e32 v11, v9
	v_pk_add_f32 v[0:1], v[0:1], v[4:5] neg_lo:[0,1] neg_hi:[0,1]
	s_delay_alu instid0(VALU_DEP_3) | instskip(NEXT) | instid1(VALU_DEP_2)
	v_cmp_ngt_f32_e32 vcc_lo, v8, v24
                                        ; implicit-def: $vgpr4_vgpr5
	v_pk_add_f32 v[0:1], v[0:1], v[10:11] neg_lo:[0,1] neg_hi:[0,1]
	s_cbranch_vccz .LBB162_41
; %bb.40:                               ;   in Loop: Header=BB162_25 Depth=2
	v_div_scale_f32 v4, null, v3, v3, v2
	v_div_scale_f32 v7, vcc_lo, v2, v3, v2
	s_mov_b32 s30, 0
	v_rcp_f32_e32 v5, v4
	v_nop
	v_xor_b32_e32 v4, 0x80000000, v4
	s_delay_alu instid0(TRANS32_DEP_1) | instid1(VALU_DEP_1)
	v_fma_f32 v6, v4, v5, 1.0
	s_delay_alu instid0(VALU_DEP_1) | instskip(NEXT) | instid1(VALU_DEP_1)
	v_fmac_f32_e32 v5, v6, v5
	v_mul_f32_e32 v6, v7, v5
	s_delay_alu instid0(VALU_DEP_1) | instskip(NEXT) | instid1(VALU_DEP_1)
	v_fma_f32 v8, v4, v6, v7
	v_fmac_f32_e32 v6, v8, v5
	s_delay_alu instid0(VALU_DEP_1) | instskip(NEXT) | instid1(VALU_DEP_1)
	v_fmac_f32_e32 v7, v4, v6
	v_div_fmas_f32 v4, v7, v5, v6
	s_delay_alu instid0(VALU_DEP_1) | instskip(NEXT) | instid1(VALU_DEP_1)
	v_div_fixup_f32 v4, v4, v3, v2
	v_fma_f32 v5, v2, v4, v3
	s_delay_alu instid0(VALU_DEP_1) | instskip(NEXT) | instid1(VALU_DEP_1)
	v_div_scale_f32 v6, null, v5, v5, 1.0
	v_rcp_f32_e32 v7, v6
	v_nop
	v_xor_b32_e32 v6, 0x80000000, v6
	s_delay_alu instid0(TRANS32_DEP_1) | instid1(VALU_DEP_1)
	v_fma_f32 v8, v6, v7, 1.0
	s_delay_alu instid0(VALU_DEP_1) | instskip(SKIP_1) | instid1(VALU_DEP_1)
	v_fmac_f32_e32 v7, v8, v7
	v_div_scale_f32 v8, vcc_lo, 1.0, v5, 1.0
	v_mul_f32_e32 v9, v8, v7
	s_delay_alu instid0(VALU_DEP_1) | instskip(NEXT) | instid1(VALU_DEP_1)
	v_fma_f32 v10, v6, v9, v8
	v_fmac_f32_e32 v9, v10, v7
	s_delay_alu instid0(VALU_DEP_1) | instskip(NEXT) | instid1(VALU_DEP_1)
	v_dual_fmac_f32 v8, v6, v9 :: v_dual_mov_b32 v6, v1
	v_div_fmas_f32 v8, v8, v7, v9
	s_delay_alu instid0(VALU_DEP_2) | instskip(NEXT) | instid1(VALU_DEP_2)
	v_pk_fma_f32 v[6:7], v[4:5], v[0:1], v[6:7]
	v_div_fixup_f32 v7, v8, v5, 1.0
	s_delay_alu instid0(VALU_DEP_1) | instskip(NEXT) | instid1(VALU_DEP_1)
	v_dual_fma_f32 v5, v4, v1, -v0 :: v_dual_mov_b32 v4, v7
	v_pk_mul_f32 v[4:5], v[6:7], v[4:5]
.LBB162_41:                             ;   in Loop: Header=BB162_25 Depth=2
	s_and_not1_b32 vcc_lo, exec_lo, s30
	s_cbranch_vccnz .LBB162_43
; %bb.42:                               ;   in Loop: Header=BB162_25 Depth=2
	v_div_scale_f32 v4, null, v2, v2, v3
	v_div_scale_f32 v7, vcc_lo, v3, v2, v3
	s_delay_alu instid0(VALU_DEP_2)
	v_rcp_f32_e32 v5, v4
	v_nop
	v_xor_b32_e32 v4, 0x80000000, v4
	s_delay_alu instid0(TRANS32_DEP_1) | instid1(VALU_DEP_1)
	v_fma_f32 v6, v4, v5, 1.0
	s_delay_alu instid0(VALU_DEP_1) | instskip(NEXT) | instid1(VALU_DEP_1)
	v_fmac_f32_e32 v5, v6, v5
	v_mul_f32_e32 v6, v7, v5
	s_delay_alu instid0(VALU_DEP_1) | instskip(NEXT) | instid1(VALU_DEP_1)
	v_fma_f32 v8, v4, v6, v7
	v_fmac_f32_e32 v6, v8, v5
	s_delay_alu instid0(VALU_DEP_1) | instskip(NEXT) | instid1(VALU_DEP_1)
	v_fmac_f32_e32 v7, v4, v6
	v_div_fmas_f32 v4, v7, v5, v6
	s_delay_alu instid0(VALU_DEP_1) | instskip(NEXT) | instid1(VALU_DEP_1)
	v_div_fixup_f32 v4, v4, v2, v3
	v_fma_f32 v5, v3, v4, v2
	s_delay_alu instid0(VALU_DEP_1) | instskip(SKIP_1) | instid1(VALU_DEP_2)
	v_div_scale_f32 v2, null, v5, v5, 1.0
	v_div_scale_f32 v7, vcc_lo, 1.0, v5, 1.0
	v_rcp_f32_e32 v3, v2
	v_nop
	v_xor_b32_e32 v2, 0x80000000, v2
	s_delay_alu instid0(TRANS32_DEP_1) | instid1(VALU_DEP_1)
	v_fma_f32 v6, v2, v3, 1.0
	s_delay_alu instid0(VALU_DEP_1) | instskip(NEXT) | instid1(VALU_DEP_1)
	v_fmac_f32_e32 v3, v6, v3
	v_mul_f32_e32 v6, v7, v3
	s_delay_alu instid0(VALU_DEP_1) | instskip(NEXT) | instid1(VALU_DEP_1)
	v_fma_f32 v8, v2, v6, v7
	v_fmac_f32_e32 v6, v8, v3
	s_delay_alu instid0(VALU_DEP_1) | instskip(NEXT) | instid1(VALU_DEP_1)
	v_fmac_f32_e32 v7, v2, v6
	v_div_fmas_f32 v6, v7, v3, v6
	v_pk_fma_f32 v[2:3], v[4:5], v[0:1], v[0:1] op_sel:[0,1,0] op_sel_hi:[0,0,1] neg_lo:[1,0,0] neg_hi:[1,0,0]
	v_pk_fma_f32 v[0:1], v[4:5], v[0:1], v[0:1] op_sel:[0,1,0] op_sel_hi:[1,0,1]
	s_delay_alu instid0(VALU_DEP_3) | instskip(NEXT) | instid1(VALU_DEP_3)
	v_div_fixup_f32 v2, v6, v5, 1.0
	v_mov_b32_e32 v1, v3
	s_delay_alu instid0(VALU_DEP_1)
	v_pk_mul_f32 v[4:5], v[0:1], v[2:3] op_sel_hi:[1,0]
.LBB162_43:                             ;   in Loop: Header=BB162_25 Depth=2
	s_add_co_i32 s30, s18, 4
	s_add_co_i32 s18, s18, 7
	;; [unrolled: 1-line block ×3, first 2 shown]
	s_cmp_ge_i32 s18, s37
	ds_store_b64 v29, v[4:5]
	s_cbranch_scc1 .LBB162_45
; %bb.44:                               ;   in Loop: Header=BB162_25 Depth=2
	s_mov_b32 s18, s30
	s_branch .LBB162_25
.LBB162_45:                             ;   in Loop: Header=BB162_3 Depth=1
	s_cmp_ge_i32 s30, s37
	s_cbranch_scc1 .LBB162_54
; %bb.46:                               ;   in Loop: Header=BB162_3 Depth=1
	s_lshl_b32 s3, s30, 3
	s_branch .LBB162_48
.LBB162_47:                             ;   in Loop: Header=BB162_48 Depth=2
	s_add_co_i32 s30, s30, 1
	s_add_co_i32 s3, s3, 8
	s_cmp_ge_i32 s30, s37
	ds_store_b64 v6, v[4:5]
	s_cbranch_scc1 .LBB162_54
.LBB162_48:                             ;   Parent Loop BB162_3 Depth=1
                                        ; =>  This Loop Header: Depth=2
                                        ;       Child Loop BB162_49 Depth 3
	s_mul_i32 s18, s30, 0xc0
	s_cmp_eq_u32 s30, 0
	v_dual_add_nc_u32 v6, s18, v26 :: v_dual_mov_b32 v2, v26
	s_mov_b32 s31, s3
	s_mov_b32 s34, s30
	ds_load_b64 v[0:1], v6
	s_cbranch_scc1 .LBB162_50
.LBB162_49:                             ;   Parent Loop BB162_3 Depth=1
                                        ;     Parent Loop BB162_48 Depth=2
                                        ; =>    This Inner Loop Header: Depth=3
	v_mov_b32_e32 v3, s31
	s_add_co_i32 s34, s34, -1
	s_addk_co_i32 s31, 0xc0
	s_cmp_eq_u32 s34, 0
	ds_load_b64 v[4:5], v2
	ds_load_b64 v[8:9], v3
	v_add_nc_u32_e32 v2, 0xc0, v2
	s_wait_dscnt 0x0
	v_pk_mul_f32 v[10:11], v[8:9], v[4:5] op_sel:[1,1] op_sel_hi:[0,1]
	s_delay_alu instid0(VALU_DEP_1) | instskip(SKIP_1) | instid1(VALU_DEP_2)
	v_pk_fma_f32 v[24:25], v[8:9], v[4:5], v[10:11] op_sel_hi:[1,0,1]
	v_pk_fma_f32 v[4:5], v[8:9], v[4:5], v[10:11] op_sel_hi:[1,0,1] neg_lo:[0,0,1] neg_hi:[0,0,1]
	v_mov_b32_e32 v5, v25
	s_delay_alu instid0(VALU_DEP_1)
	v_pk_add_f32 v[0:1], v[0:1], v[4:5] neg_lo:[0,1] neg_hi:[0,1]
	s_cbranch_scc0 .LBB162_49
.LBB162_50:                             ;   in Loop: Header=BB162_48 Depth=2
	s_lshl_b32 s31, s30, 3
	s_delay_alu instid0(SALU_CYCLE_1) | instskip(NEXT) | instid1(SALU_CYCLE_1)
	s_add_co_i32 s18, s31, s18
	v_mov_b32_e32 v2, s18
	s_mov_b32 s18, -1
	ds_load_b64 v[2:3], v2
	s_wait_dscnt 0x0
	v_and_b32_e32 v4, 0x7fffffff, v2
	v_and_b32_e32 v5, 0x7fffffff, v3
	s_delay_alu instid0(VALU_DEP_1)
	v_cmp_ngt_f32_e32 vcc_lo, v4, v5
                                        ; implicit-def: $vgpr4_vgpr5
	s_cbranch_vccz .LBB162_52
; %bb.51:                               ;   in Loop: Header=BB162_48 Depth=2
	v_div_scale_f32 v4, null, v3, v3, v2
	v_div_scale_f32 v8, vcc_lo, v2, v3, v2
	s_mov_b32 s18, 0
	v_rcp_f32_e32 v5, v4
	v_nop
	v_xor_b32_e32 v4, 0x80000000, v4
	s_delay_alu instid0(TRANS32_DEP_1) | instid1(VALU_DEP_1)
	v_fma_f32 v7, v4, v5, 1.0
	s_delay_alu instid0(VALU_DEP_1) | instskip(NEXT) | instid1(VALU_DEP_1)
	v_fmac_f32_e32 v5, v7, v5
	v_mul_f32_e32 v7, v8, v5
	s_delay_alu instid0(VALU_DEP_1) | instskip(NEXT) | instid1(VALU_DEP_1)
	v_fma_f32 v9, v4, v7, v8
	v_fmac_f32_e32 v7, v9, v5
	s_delay_alu instid0(VALU_DEP_1) | instskip(NEXT) | instid1(VALU_DEP_1)
	v_fmac_f32_e32 v8, v4, v7
	v_div_fmas_f32 v4, v8, v5, v7
	s_delay_alu instid0(VALU_DEP_1) | instskip(NEXT) | instid1(VALU_DEP_1)
	v_div_fixup_f32 v4, v4, v3, v2
	v_fma_f32 v7, v2, v4, v3
	s_delay_alu instid0(VALU_DEP_1) | instskip(SKIP_1) | instid1(VALU_DEP_2)
	v_div_scale_f32 v5, null, v7, v7, 1.0
	v_div_scale_f32 v10, vcc_lo, 1.0, v7, 1.0
	v_rcp_f32_e32 v8, v5
	v_nop
	v_xor_b32_e32 v5, 0x80000000, v5
	s_delay_alu instid0(TRANS32_DEP_1) | instid1(VALU_DEP_1)
	v_fma_f32 v9, v5, v8, 1.0
	s_delay_alu instid0(VALU_DEP_1) | instskip(NEXT) | instid1(VALU_DEP_1)
	v_fmac_f32_e32 v8, v9, v8
	v_mul_f32_e32 v9, v10, v8
	s_delay_alu instid0(VALU_DEP_1) | instskip(NEXT) | instid1(VALU_DEP_1)
	v_fma_f32 v11, v5, v9, v10
	v_fmac_f32_e32 v9, v11, v8
	s_delay_alu instid0(VALU_DEP_1) | instskip(NEXT) | instid1(VALU_DEP_1)
	v_fmac_f32_e32 v10, v5, v9
	v_div_fmas_f32 v10, v10, v8, v9
	v_pk_fma_f32 v[8:9], v[0:1], v[4:5], v[0:1] op_sel:[0,0,1] op_sel_hi:[1,0,0] neg_lo:[0,0,1] neg_hi:[0,0,1]
	v_pk_fma_f32 v[4:5], v[0:1], v[4:5], v[0:1] op_sel:[0,0,1] op_sel_hi:[1,0,0]
	s_delay_alu instid0(VALU_DEP_3) | instskip(NEXT) | instid1(VALU_DEP_3)
	v_div_fixup_f32 v8, v10, v7, 1.0
	v_mov_b32_e32 v5, v9
	s_delay_alu instid0(VALU_DEP_1)
	v_pk_mul_f32 v[4:5], v[4:5], v[8:9] op_sel_hi:[1,0]
.LBB162_52:                             ;   in Loop: Header=BB162_48 Depth=2
	s_and_not1_b32 vcc_lo, exec_lo, s18
	s_cbranch_vccnz .LBB162_47
; %bb.53:                               ;   in Loop: Header=BB162_48 Depth=2
	v_div_scale_f32 v4, null, v2, v2, v3
	v_div_scale_f32 v8, vcc_lo, v3, v2, v3
	s_delay_alu instid0(VALU_DEP_2)
	v_rcp_f32_e32 v5, v4
	v_nop
	v_xor_b32_e32 v4, 0x80000000, v4
	s_delay_alu instid0(TRANS32_DEP_1) | instid1(VALU_DEP_1)
	v_fma_f32 v7, v4, v5, 1.0
	s_delay_alu instid0(VALU_DEP_1) | instskip(NEXT) | instid1(VALU_DEP_1)
	v_fmac_f32_e32 v5, v7, v5
	v_mul_f32_e32 v7, v8, v5
	s_delay_alu instid0(VALU_DEP_1) | instskip(NEXT) | instid1(VALU_DEP_1)
	v_fma_f32 v9, v4, v7, v8
	v_fmac_f32_e32 v7, v9, v5
	s_delay_alu instid0(VALU_DEP_1) | instskip(NEXT) | instid1(VALU_DEP_1)
	v_fmac_f32_e32 v8, v4, v7
	v_div_fmas_f32 v4, v8, v5, v7
	s_delay_alu instid0(VALU_DEP_1) | instskip(NEXT) | instid1(VALU_DEP_1)
	v_div_fixup_f32 v4, v4, v2, v3
	v_fmac_f32_e32 v2, v3, v4
	s_delay_alu instid0(VALU_DEP_1) | instskip(SKIP_1) | instid1(VALU_DEP_2)
	v_div_scale_f32 v3, null, v2, v2, 1.0
	v_div_scale_f32 v8, vcc_lo, 1.0, v2, 1.0
	v_rcp_f32_e32 v5, v3
	v_nop
	v_xor_b32_e32 v3, 0x80000000, v3
	s_delay_alu instid0(TRANS32_DEP_1) | instid1(VALU_DEP_1)
	v_fma_f32 v7, v3, v5, 1.0
	s_delay_alu instid0(VALU_DEP_1) | instskip(NEXT) | instid1(VALU_DEP_1)
	v_fmac_f32_e32 v5, v7, v5
	v_mul_f32_e32 v7, v8, v5
	s_delay_alu instid0(VALU_DEP_1) | instskip(NEXT) | instid1(VALU_DEP_1)
	v_fma_f32 v9, v3, v7, v8
	v_fmac_f32_e32 v7, v9, v5
	s_delay_alu instid0(VALU_DEP_1) | instskip(NEXT) | instid1(VALU_DEP_1)
	v_fmac_f32_e32 v8, v3, v7
	v_div_fmas_f32 v3, v8, v5, v7
	v_pk_fma_f32 v[8:9], v[0:1], v[4:5], v[0:1] op_sel:[1,0,0] op_sel_hi:[0,0,1] neg_lo:[1,0,0] neg_hi:[1,0,0]
	v_pk_fma_f32 v[0:1], v[0:1], v[4:5], v[0:1] op_sel:[1,0,0] op_sel_hi:[0,0,1]
	s_delay_alu instid0(VALU_DEP_3) | instskip(NEXT) | instid1(VALU_DEP_3)
	v_div_fixup_f32 v2, v3, v2, 1.0
	v_mov_b32_e32 v1, v9
	s_delay_alu instid0(VALU_DEP_1)
	v_pk_mul_f32 v[4:5], v[0:1], v[2:3] op_sel_hi:[1,0]
	s_branch .LBB162_47
.LBB162_54:                             ;   in Loop: Header=BB162_3 Depth=1
	s_mov_b32 s3, 0
.LBB162_55:                             ;   in Loop: Header=BB162_3 Depth=1
	s_delay_alu instid0(SALU_CYCLE_1)
	s_and_b32 vcc_lo, exec_lo, s3
	s_cbranch_vccz .LBB162_87
; %bb.56:                               ;   in Loop: Header=BB162_3 Depth=1
	s_mov_b32 s30, s38
	s_and_not1_b32 vcc_lo, exec_lo, s42
	s_mov_b32 s3, s1
	s_mov_b32 s18, s38
	s_cbranch_vccnz .LBB162_78
.LBB162_57:                             ;   Parent Loop BB162_3 Depth=1
                                        ; =>  This Loop Header: Depth=2
                                        ;       Child Loop BB162_58 Depth 3
	s_mul_i32 s35, s18, 0xc0
	s_mov_b32 s31, s3
	s_add_co_i32 s30, s35, 0xfffffdc0
	s_delay_alu instid0(SALU_CYCLE_1) | instskip(SKIP_2) | instid1(VALU_DEP_1)
	v_dual_add_nc_u32 v30, s35, v26 :: v_dual_add_nc_u32 v24, s30, v26
	s_cmp_le_i32 s38, s18
	s_mov_b32 s34, s38
	v_dual_mov_b32 v4, v13 :: v_dual_add_nc_u32 v29, 0xffffff40, v30
	v_add_nc_u32_e32 v25, 0xfffffe80, v30
	ds_load_b64 v[8:9], v30
	ds_load_b64 v[6:7], v29
	;; [unrolled: 1-line block ×4, first 2 shown]
	s_cbranch_scc1 .LBB162_59
.LBB162_58:                             ;   Parent Loop BB162_3 Depth=1
                                        ;     Parent Loop BB162_57 Depth=2
                                        ; =>    This Inner Loop Header: Depth=3
	s_add_co_i32 s49, s31, 0xffffff30
	s_add_co_i32 s50, s31, 0xffffff20
	s_delay_alu instid0(SALU_CYCLE_1)
	v_dual_mov_b32 v5, s49 :: v_dual_mov_b32 v31, s50
	ds_load_b64 v[10:11], v4
	s_add_co_i32 s34, s34, -1
	s_addk_co_i32 s31, 0xff40
	ds_load_2addr_b64 v[32:35], v5 offset1:1
	ds_load_2addr_b64 v[36:39], v31 offset1:1
	v_add_nc_u32_e32 v4, 0xffffff40, v4
	s_cmp_le_i32 s34, s18
	s_wait_dscnt 0x1
	v_dual_mul_f32 v5, v35, v11 :: v_dual_mul_f32 v31, v34, v11
	v_dual_mul_f32 v44, v33, v11 :: v_dual_mul_f32 v45, v33, v10
	s_wait_dscnt 0x0
	v_pk_mul_f32 v[40:41], v[38:39], v[10:11] op_sel:[0,1]
	v_pk_mul_f32 v[42:43], v[36:37], v[10:11] op_sel:[0,1]
	v_dual_fma_f32 v5, v34, v10, -v5 :: v_dual_fmac_f32 v31, v35, v10
	v_dual_fma_f32 v44, v32, v10, -v44 :: v_dual_fmac_f32 v45, v32, v11
	s_delay_alu instid0(VALU_DEP_4) | instskip(NEXT) | instid1(VALU_DEP_4)
	v_pk_fma_f32 v[32:33], v[38:39], v[10:11], v[40:41] op_sel:[0,0,1] op_sel_hi:[1,0,0]
	v_pk_fma_f32 v[34:35], v[36:37], v[10:11], v[42:43] op_sel:[0,0,1] op_sel_hi:[1,0,0]
	v_pk_fma_f32 v[38:39], v[38:39], v[10:11], v[40:41] op_sel:[0,0,1] op_sel_hi:[1,1,0] neg_lo:[0,0,1] neg_hi:[0,0,1]
	v_pk_fma_f32 v[10:11], v[36:37], v[10:11], v[42:43] op_sel:[0,0,1] op_sel_hi:[1,1,0] neg_lo:[0,0,1] neg_hi:[0,0,1]
	s_delay_alu instid0(VALU_DEP_4) | instskip(NEXT) | instid1(VALU_DEP_4)
	v_dual_sub_f32 v8, v8, v5 :: v_dual_mov_b32 v39, v33
	v_dual_mov_b32 v11, v35 :: v_dual_sub_f32 v9, v9, v31
	v_dual_sub_f32 v6, v6, v44 :: v_dual_sub_f32 v7, v7, v45
	s_delay_alu instid0(VALU_DEP_3) | instskip(NEXT) | instid1(VALU_DEP_3)
	v_pk_add_f32 v[2:3], v[2:3], v[38:39] neg_lo:[0,1] neg_hi:[0,1]
	v_pk_add_f32 v[0:1], v[0:1], v[10:11] neg_lo:[0,1] neg_hi:[0,1]
	s_cbranch_scc0 .LBB162_58
.LBB162_59:                             ;   in Loop: Header=BB162_57 Depth=2
	s_add_co_i32 s34, s18, -3
; %bb.60:                               ;   in Loop: Header=BB162_57 Depth=2
	s_lshl_b32 s31, s18, 3
	s_mov_b32 s49, -1
	s_add_co_i32 s35, s31, s35
	s_delay_alu instid0(SALU_CYCLE_1) | instskip(SKIP_4) | instid1(VALU_DEP_1)
	v_mov_b32_e32 v4, s35
	ds_load_b64 v[10:11], v4
	s_wait_dscnt 0x0
	v_and_b32_e32 v4, 0x7fffffff, v10
	v_and_b32_e32 v5, 0x7fffffff, v11
	v_cmp_ngt_f32_e32 vcc_lo, v4, v5
                                        ; implicit-def: $vgpr5
	s_cbranch_vccz .LBB162_62
; %bb.61:                               ;   in Loop: Header=BB162_57 Depth=2
	v_div_scale_f32 v4, null, v11, v11, v10
	v_div_scale_f32 v32, vcc_lo, v10, v11, v10
	s_mov_b32 s49, 0
	v_rcp_f32_e32 v5, v4
	v_nop
	v_xor_b32_e32 v4, 0x80000000, v4
	s_delay_alu instid0(TRANS32_DEP_1) | instid1(VALU_DEP_1)
	v_fma_f32 v31, v4, v5, 1.0
	s_delay_alu instid0(VALU_DEP_1) | instskip(NEXT) | instid1(VALU_DEP_1)
	v_fmac_f32_e32 v5, v31, v5
	v_mul_f32_e32 v31, v32, v5
	s_delay_alu instid0(VALU_DEP_1) | instskip(NEXT) | instid1(VALU_DEP_1)
	v_fma_f32 v33, v4, v31, v32
	v_fmac_f32_e32 v31, v33, v5
	s_delay_alu instid0(VALU_DEP_1) | instskip(NEXT) | instid1(VALU_DEP_1)
	v_fmac_f32_e32 v32, v4, v31
	v_div_fmas_f32 v4, v32, v5, v31
	s_delay_alu instid0(VALU_DEP_1) | instskip(NEXT) | instid1(VALU_DEP_1)
	v_div_fixup_f32 v4, v4, v11, v10
	v_fma_f32 v5, v10, v4, v11
	s_delay_alu instid0(VALU_DEP_1) | instskip(SKIP_1) | instid1(VALU_DEP_2)
	v_div_scale_f32 v31, null, v5, v5, 1.0
	v_div_scale_f32 v34, vcc_lo, 1.0, v5, 1.0
	v_rcp_f32_e32 v32, v31
	v_nop
	v_xor_b32_e32 v31, 0x80000000, v31
	s_delay_alu instid0(TRANS32_DEP_1) | instid1(VALU_DEP_1)
	v_fma_f32 v33, v31, v32, 1.0
	s_delay_alu instid0(VALU_DEP_1) | instskip(NEXT) | instid1(VALU_DEP_1)
	v_fmac_f32_e32 v32, v33, v32
	v_mul_f32_e32 v33, v34, v32
	s_delay_alu instid0(VALU_DEP_1) | instskip(NEXT) | instid1(VALU_DEP_1)
	v_fma_f32 v35, v31, v33, v34
	v_fmac_f32_e32 v33, v35, v32
	s_delay_alu instid0(VALU_DEP_1) | instskip(NEXT) | instid1(VALU_DEP_1)
	v_fmac_f32_e32 v34, v31, v33
	v_div_fmas_f32 v31, v34, v32, v33
	v_fma_f32 v32, v8, v4, v9
	s_delay_alu instid0(VALU_DEP_2) | instskip(NEXT) | instid1(VALU_DEP_1)
	v_div_fixup_f32 v5, v31, v5, 1.0
	v_dual_fma_f32 v31, v9, v4, -v8 :: v_dual_mul_f32 v4, v32, v5
	s_delay_alu instid0(VALU_DEP_1)
	v_mul_f32_e32 v5, v31, v5
.LBB162_62:                             ;   in Loop: Header=BB162_57 Depth=2
	s_and_not1_b32 vcc_lo, exec_lo, s49
	s_cbranch_vccnz .LBB162_64
; %bb.63:                               ;   in Loop: Header=BB162_57 Depth=2
	v_div_scale_f32 v4, null, v10, v10, v11
	v_div_scale_f32 v32, vcc_lo, v11, v10, v11
	s_delay_alu instid0(VALU_DEP_2)
	v_rcp_f32_e32 v5, v4
	v_nop
	v_xor_b32_e32 v4, 0x80000000, v4
	s_delay_alu instid0(TRANS32_DEP_1) | instid1(VALU_DEP_1)
	v_fma_f32 v31, v4, v5, 1.0
	s_delay_alu instid0(VALU_DEP_1) | instskip(NEXT) | instid1(VALU_DEP_1)
	v_fmac_f32_e32 v5, v31, v5
	v_mul_f32_e32 v31, v32, v5
	s_delay_alu instid0(VALU_DEP_1) | instskip(NEXT) | instid1(VALU_DEP_1)
	v_fma_f32 v33, v4, v31, v32
	v_fmac_f32_e32 v31, v33, v5
	s_delay_alu instid0(VALU_DEP_1) | instskip(NEXT) | instid1(VALU_DEP_1)
	v_fmac_f32_e32 v32, v4, v31
	v_div_fmas_f32 v4, v32, v5, v31
	s_delay_alu instid0(VALU_DEP_1) | instskip(NEXT) | instid1(VALU_DEP_1)
	v_div_fixup_f32 v4, v4, v10, v11
	v_fmac_f32_e32 v10, v11, v4
	s_delay_alu instid0(VALU_DEP_1) | instskip(SKIP_1) | instid1(VALU_DEP_2)
	v_div_scale_f32 v5, null, v10, v10, 1.0
	v_div_scale_f32 v32, vcc_lo, 1.0, v10, 1.0
	v_rcp_f32_e32 v11, v5
	v_nop
	v_xor_b32_e32 v5, 0x80000000, v5
	s_delay_alu instid0(TRANS32_DEP_1) | instid1(VALU_DEP_1)
	v_fma_f32 v31, v5, v11, 1.0
	s_delay_alu instid0(VALU_DEP_1) | instskip(NEXT) | instid1(VALU_DEP_1)
	v_fmac_f32_e32 v11, v31, v11
	v_mul_f32_e32 v31, v32, v11
	s_delay_alu instid0(VALU_DEP_1) | instskip(NEXT) | instid1(VALU_DEP_1)
	v_fma_f32 v33, v5, v31, v32
	v_fmac_f32_e32 v31, v33, v11
	s_delay_alu instid0(VALU_DEP_1) | instskip(NEXT) | instid1(VALU_DEP_1)
	v_fmac_f32_e32 v32, v5, v31
	v_div_fmas_f32 v5, v32, v11, v31
	v_dual_fma_f32 v11, v9, v4, v8 :: v_dual_fma_f32 v8, -v8, v4, v9
	s_delay_alu instid0(VALU_DEP_2) | instskip(NEXT) | instid1(VALU_DEP_1)
	v_div_fixup_f32 v5, v5, v10, 1.0
	v_dual_mul_f32 v4, v11, v5 :: v_dual_mul_f32 v5, v8, v5
.LBB162_64:                             ;   in Loop: Header=BB162_57 Depth=2
	s_add_co_i32 s50, s35, -8
	s_add_co_i32 s49, s35, 0xffffff38
	s_delay_alu instid0(SALU_CYCLE_1)
	v_dual_mov_b32 v8, s50 :: v_dual_mov_b32 v9, s49
	s_mov_b32 s50, -1
	ds_load_b64 v[10:11], v8
	ds_load_b64 v[8:9], v9
	ds_store_b64 v30, v[4:5]
	s_wait_dscnt 0x2
	v_dual_mul_f32 v31, v5, v11 :: v_dual_mul_f32 v11, v4, v11
	s_wait_dscnt 0x1
	v_and_b32_e32 v32, 0x7fffffff, v8
	v_and_b32_e32 v33, 0x7fffffff, v9
	s_delay_alu instid0(VALU_DEP_3) | instskip(SKIP_1) | instid1(VALU_DEP_3)
	v_fmac_f32_e32 v11, v5, v10
	v_fma_f32 v31, v4, v10, -v31
	v_cmp_ngt_f32_e32 vcc_lo, v32, v33
	s_delay_alu instid0(VALU_DEP_3) | instskip(NEXT) | instid1(VALU_DEP_3)
	v_sub_f32_e32 v11, v7, v11
	v_sub_f32_e32 v10, v6, v31
                                        ; implicit-def: $vgpr7
	s_cbranch_vccz .LBB162_66
; %bb.65:                               ;   in Loop: Header=BB162_57 Depth=2
	v_div_scale_f32 v6, null, v9, v9, v8
	v_div_scale_f32 v31, vcc_lo, v8, v9, v8
	s_mov_b32 s50, 0
	v_rcp_f32_e32 v7, v6
	v_nop
	v_xor_b32_e32 v6, 0x80000000, v6
	s_delay_alu instid0(TRANS32_DEP_1) | instid1(VALU_DEP_1)
	v_fma_f32 v30, v6, v7, 1.0
	s_delay_alu instid0(VALU_DEP_1) | instskip(NEXT) | instid1(VALU_DEP_1)
	v_fmac_f32_e32 v7, v30, v7
	v_mul_f32_e32 v30, v31, v7
	s_delay_alu instid0(VALU_DEP_1) | instskip(NEXT) | instid1(VALU_DEP_1)
	v_fma_f32 v32, v6, v30, v31
	v_fmac_f32_e32 v30, v32, v7
	s_delay_alu instid0(VALU_DEP_1) | instskip(NEXT) | instid1(VALU_DEP_1)
	v_fmac_f32_e32 v31, v6, v30
	v_div_fmas_f32 v6, v31, v7, v30
	s_delay_alu instid0(VALU_DEP_1) | instskip(NEXT) | instid1(VALU_DEP_1)
	v_div_fixup_f32 v6, v6, v9, v8
	v_fma_f32 v7, v8, v6, v9
	s_delay_alu instid0(VALU_DEP_1) | instskip(SKIP_1) | instid1(VALU_DEP_2)
	v_div_scale_f32 v30, null, v7, v7, 1.0
	v_div_scale_f32 v33, vcc_lo, 1.0, v7, 1.0
	v_rcp_f32_e32 v31, v30
	v_nop
	v_xor_b32_e32 v30, 0x80000000, v30
	s_delay_alu instid0(TRANS32_DEP_1) | instid1(VALU_DEP_1)
	v_fma_f32 v32, v30, v31, 1.0
	s_delay_alu instid0(VALU_DEP_1) | instskip(NEXT) | instid1(VALU_DEP_1)
	v_fmac_f32_e32 v31, v32, v31
	v_mul_f32_e32 v32, v33, v31
	s_delay_alu instid0(VALU_DEP_1) | instskip(NEXT) | instid1(VALU_DEP_1)
	v_fma_f32 v34, v30, v32, v33
	v_fmac_f32_e32 v32, v34, v31
	s_delay_alu instid0(VALU_DEP_1) | instskip(NEXT) | instid1(VALU_DEP_1)
	v_fmac_f32_e32 v33, v30, v32
	v_div_fmas_f32 v30, v33, v31, v32
	v_fma_f32 v31, v6, v10, v11
	s_delay_alu instid0(VALU_DEP_2) | instskip(SKIP_1) | instid1(VALU_DEP_1)
	v_div_fixup_f32 v7, v30, v7, 1.0
	v_fma_f32 v30, v6, v11, -v10
	v_dual_mul_f32 v6, v31, v7 :: v_dual_mul_f32 v7, v30, v7
.LBB162_66:                             ;   in Loop: Header=BB162_57 Depth=2
	s_and_not1_b32 vcc_lo, exec_lo, s50
	s_cbranch_vccnz .LBB162_68
; %bb.67:                               ;   in Loop: Header=BB162_57 Depth=2
	v_div_scale_f32 v6, null, v8, v8, v9
	v_div_scale_f32 v31, vcc_lo, v9, v8, v9
	s_delay_alu instid0(VALU_DEP_2)
	v_rcp_f32_e32 v7, v6
	v_nop
	v_xor_b32_e32 v6, 0x80000000, v6
	s_delay_alu instid0(TRANS32_DEP_1) | instid1(VALU_DEP_1)
	v_fma_f32 v30, v6, v7, 1.0
	s_delay_alu instid0(VALU_DEP_1) | instskip(NEXT) | instid1(VALU_DEP_1)
	v_fmac_f32_e32 v7, v30, v7
	v_mul_f32_e32 v30, v31, v7
	s_delay_alu instid0(VALU_DEP_1) | instskip(NEXT) | instid1(VALU_DEP_1)
	v_fma_f32 v32, v6, v30, v31
	v_fmac_f32_e32 v30, v32, v7
	s_delay_alu instid0(VALU_DEP_1) | instskip(NEXT) | instid1(VALU_DEP_1)
	v_fmac_f32_e32 v31, v6, v30
	v_div_fmas_f32 v6, v31, v7, v30
	s_delay_alu instid0(VALU_DEP_1) | instskip(NEXT) | instid1(VALU_DEP_1)
	v_div_fixup_f32 v6, v6, v8, v9
	v_fmac_f32_e32 v8, v9, v6
	s_delay_alu instid0(VALU_DEP_1) | instskip(SKIP_1) | instid1(VALU_DEP_2)
	v_div_scale_f32 v7, null, v8, v8, 1.0
	v_div_scale_f32 v31, vcc_lo, 1.0, v8, 1.0
	v_rcp_f32_e32 v9, v7
	v_nop
	v_xor_b32_e32 v7, 0x80000000, v7
	s_delay_alu instid0(TRANS32_DEP_1) | instid1(VALU_DEP_1)
	v_fma_f32 v30, v7, v9, 1.0
	s_delay_alu instid0(VALU_DEP_1) | instskip(NEXT) | instid1(VALU_DEP_1)
	v_fmac_f32_e32 v9, v30, v9
	v_mul_f32_e32 v30, v31, v9
	s_delay_alu instid0(VALU_DEP_1) | instskip(NEXT) | instid1(VALU_DEP_1)
	v_fma_f32 v32, v7, v30, v31
	v_fmac_f32_e32 v30, v32, v9
	s_delay_alu instid0(VALU_DEP_1) | instskip(NEXT) | instid1(VALU_DEP_1)
	v_fmac_f32_e32 v31, v7, v30
	v_div_fmas_f32 v7, v31, v9, v30
	v_fma_f32 v9, v6, v11, v10
	s_delay_alu instid0(VALU_DEP_2) | instskip(NEXT) | instid1(VALU_DEP_1)
	v_div_fixup_f32 v7, v7, v8, 1.0
	v_dual_fma_f32 v8, -v6, v10, v11 :: v_dual_mul_f32 v6, v9, v7
	s_delay_alu instid0(VALU_DEP_1)
	v_mul_f32_e32 v7, v8, v7
.LBB162_68:                             ;   in Loop: Header=BB162_57 Depth=2
	s_add_co_i32 s52, s35, -16
	s_add_co_i32 s50, s18, -1
	v_dual_mov_b32 v8, s52 :: v_dual_mov_b32 v32, v5
	s_add_co_i32 s51, s18, -2
	s_lshl_b32 s50, s50, 3
	s_mov_b32 s52, -1
	ds_load_b64 v[10:11], v8
	s_sub_co_i32 s50, s49, s50
	s_lshl_b32 s49, s51, 3
	v_mov_b32_e32 v34, v7
	s_add_co_i32 s51, s50, s49
	ds_store_b64 v29, v[6:7]
	v_mov_b32_e32 v8, s51
	s_add_co_i32 s51, s35, 0xfffffe70
	ds_load_b64 v[30:31], v8
	s_wait_dscnt 0x2
	v_pk_mul_f32 v[32:33], v[32:33], v[10:11] op_sel_hi:[0,1]
	s_delay_alu instid0(VALU_DEP_1) | instskip(SKIP_2) | instid1(VALU_DEP_3)
	v_pk_fma_f32 v[36:37], v[4:5], v[10:11], v[32:33] op_sel:[0,0,1] op_sel_hi:[0,1,0]
	v_mov_b32_e32 v8, s51
	v_pk_fma_f32 v[10:11], v[4:5], v[10:11], v[32:33] op_sel:[0,0,1] op_sel_hi:[1,1,0] neg_lo:[0,0,1] neg_hi:[0,0,1]
	v_mov_b32_e32 v11, v37
	ds_load_b64 v[8:9], v8
	s_wait_dscnt 0x1
	v_pk_mul_f32 v[34:35], v[34:35], v[30:31] op_sel_hi:[0,1]
	v_pk_add_f32 v[2:3], v[2:3], v[10:11] neg_lo:[0,1] neg_hi:[0,1]
	s_delay_alu instid0(VALU_DEP_2) | instskip(SKIP_1) | instid1(VALU_DEP_2)
	v_pk_fma_f32 v[32:33], v[6:7], v[30:31], v[34:35] op_sel:[0,0,1] op_sel_hi:[0,1,0]
	v_pk_fma_f32 v[10:11], v[6:7], v[30:31], v[34:35] op_sel:[0,0,1] op_sel_hi:[1,1,0] neg_lo:[0,0,1] neg_hi:[0,0,1]
	v_mov_b32_e32 v11, v33
	s_delay_alu instid0(VALU_DEP_1) | instskip(SKIP_3) | instid1(VALU_DEP_1)
	v_pk_add_f32 v[2:3], v[2:3], v[10:11] neg_lo:[0,1] neg_hi:[0,1]
                                        ; implicit-def: $vgpr10_vgpr11
	s_wait_dscnt 0x0
	v_and_b32_e32 v32, 0x7fffffff, v8
	v_and_b32_e32 v36, 0x7fffffff, v9
	v_cmp_ngt_f32_e32 vcc_lo, v32, v36
	s_cbranch_vccz .LBB162_70
; %bb.69:                               ;   in Loop: Header=BB162_57 Depth=2
	v_div_scale_f32 v10, null, v9, v9, v8
	v_div_scale_f32 v30, vcc_lo, v8, v9, v8
	s_mov_b32 s52, 0
	v_rcp_f32_e32 v11, v10
	v_nop
	v_xor_b32_e32 v10, 0x80000000, v10
	s_delay_alu instid0(TRANS32_DEP_1) | instid1(VALU_DEP_1)
	v_fma_f32 v29, v10, v11, 1.0
	s_delay_alu instid0(VALU_DEP_1) | instskip(NEXT) | instid1(VALU_DEP_1)
	v_fmac_f32_e32 v11, v29, v11
	v_mul_f32_e32 v29, v30, v11
	s_delay_alu instid0(VALU_DEP_1) | instskip(NEXT) | instid1(VALU_DEP_1)
	v_fma_f32 v31, v10, v29, v30
	v_fmac_f32_e32 v29, v31, v11
	s_delay_alu instid0(VALU_DEP_1) | instskip(NEXT) | instid1(VALU_DEP_1)
	v_fmac_f32_e32 v30, v10, v29
	v_div_fmas_f32 v10, v30, v11, v29
	s_delay_alu instid0(VALU_DEP_1) | instskip(NEXT) | instid1(VALU_DEP_1)
	v_div_fixup_f32 v10, v10, v9, v8
	v_fma_f32 v11, v8, v10, v9
	s_delay_alu instid0(VALU_DEP_1) | instskip(SKIP_1) | instid1(VALU_DEP_2)
	v_div_scale_f32 v29, null, v11, v11, 1.0
	v_div_scale_f32 v32, vcc_lo, 1.0, v11, 1.0
	v_rcp_f32_e32 v31, v29
	v_nop
	v_xor_b32_e32 v29, 0x80000000, v29
	s_delay_alu instid0(TRANS32_DEP_1) | instid1(VALU_DEP_1)
	v_fma_f32 v30, v29, v31, 1.0
	s_delay_alu instid0(VALU_DEP_1) | instskip(NEXT) | instid1(VALU_DEP_1)
	v_fmac_f32_e32 v31, v30, v31
	v_mul_f32_e32 v33, v32, v31
	s_delay_alu instid0(VALU_DEP_1) | instskip(NEXT) | instid1(VALU_DEP_1)
	v_fma_f32 v30, v29, v33, v32
	v_dual_fmac_f32 v33, v30, v31 :: v_dual_mov_b32 v30, v3
	s_delay_alu instid0(VALU_DEP_1) | instskip(NEXT) | instid1(VALU_DEP_1)
	v_fmac_f32_e32 v32, v29, v33
	v_div_fmas_f32 v29, v32, v31, v33
	s_delay_alu instid0(VALU_DEP_3) | instskip(NEXT) | instid1(VALU_DEP_2)
	v_pk_fma_f32 v[30:31], v[10:11], v[2:3], v[30:31]
	v_div_fixup_f32 v31, v29, v11, 1.0
	s_delay_alu instid0(VALU_DEP_1) | instskip(NEXT) | instid1(VALU_DEP_1)
	v_dual_fma_f32 v11, v10, v3, -v2 :: v_dual_mov_b32 v10, v31
	v_pk_mul_f32 v[10:11], v[30:31], v[10:11]
.LBB162_70:                             ;   in Loop: Header=BB162_57 Depth=2
	s_and_not1_b32 vcc_lo, exec_lo, s52
	s_cbranch_vccnz .LBB162_72
; %bb.71:                               ;   in Loop: Header=BB162_57 Depth=2
	v_div_scale_f32 v10, null, v8, v8, v9
	v_div_scale_f32 v30, vcc_lo, v9, v8, v9
	s_delay_alu instid0(VALU_DEP_2)
	v_rcp_f32_e32 v11, v10
	v_nop
	v_xor_b32_e32 v10, 0x80000000, v10
	s_delay_alu instid0(TRANS32_DEP_1) | instid1(VALU_DEP_1)
	v_fma_f32 v29, v10, v11, 1.0
	s_delay_alu instid0(VALU_DEP_1) | instskip(NEXT) | instid1(VALU_DEP_1)
	v_fmac_f32_e32 v11, v29, v11
	v_mul_f32_e32 v29, v30, v11
	s_delay_alu instid0(VALU_DEP_1) | instskip(NEXT) | instid1(VALU_DEP_1)
	v_fma_f32 v31, v10, v29, v30
	v_fmac_f32_e32 v29, v31, v11
	s_delay_alu instid0(VALU_DEP_1) | instskip(NEXT) | instid1(VALU_DEP_1)
	v_fmac_f32_e32 v30, v10, v29
	v_div_fmas_f32 v10, v30, v11, v29
	s_delay_alu instid0(VALU_DEP_1) | instskip(NEXT) | instid1(VALU_DEP_1)
	v_div_fixup_f32 v10, v10, v8, v9
	v_fmac_f32_e32 v8, v9, v10
	s_delay_alu instid0(VALU_DEP_1) | instskip(SKIP_1) | instid1(VALU_DEP_2)
	v_div_scale_f32 v9, null, v8, v8, 1.0
	v_div_scale_f32 v30, vcc_lo, 1.0, v8, 1.0
	v_rcp_f32_e32 v11, v9
	v_nop
	v_xor_b32_e32 v9, 0x80000000, v9
	s_delay_alu instid0(TRANS32_DEP_1) | instid1(VALU_DEP_1)
	v_fma_f32 v29, v9, v11, 1.0
	s_delay_alu instid0(VALU_DEP_1) | instskip(NEXT) | instid1(VALU_DEP_1)
	v_fmac_f32_e32 v11, v29, v11
	v_mul_f32_e32 v29, v30, v11
	s_delay_alu instid0(VALU_DEP_1) | instskip(NEXT) | instid1(VALU_DEP_1)
	v_fma_f32 v31, v9, v29, v30
	v_fmac_f32_e32 v29, v31, v11
	s_delay_alu instid0(VALU_DEP_1) | instskip(NEXT) | instid1(VALU_DEP_1)
	v_fmac_f32_e32 v30, v9, v29
	v_div_fmas_f32 v9, v30, v11, v29
	v_pk_fma_f32 v[30:31], v[10:11], v[2:3], v[2:3] op_sel:[0,1,0] op_sel_hi:[0,0,1] neg_lo:[1,0,0] neg_hi:[1,0,0]
	v_pk_fma_f32 v[2:3], v[10:11], v[2:3], v[2:3] op_sel:[0,1,0] op_sel_hi:[1,0,1]
	s_delay_alu instid0(VALU_DEP_3) | instskip(NEXT) | instid1(VALU_DEP_3)
	v_div_fixup_f32 v8, v9, v8, 1.0
	v_mov_b32_e32 v3, v31
	s_delay_alu instid0(VALU_DEP_1)
	v_pk_mul_f32 v[10:11], v[2:3], v[8:9] op_sel_hi:[1,0]
.LBB162_72:                             ;   in Loop: Header=BB162_57 Depth=2
	s_sub_co_i32 s35, s35, 24
	s_lshl_b32 s34, s34, 3
	v_mov_b32_e32 v2, s35
	s_add_co_i32 s35, s50, s34
	s_add_co_i32 s31, s31, s30
	v_mov_b32_e32 v3, s35
	s_sub_co_i32 s35, s51, s49
	ds_load_b64 v[8:9], v2
	s_add_co_i32 s34, s35, s34
	v_mov_b32_e32 v34, v5
	ds_load_b64 v[30:31], v3
	v_mov_b32_e32 v2, s34
	s_sub_co_i32 s30, s31, 24
	v_dual_mov_b32 v37, v7 :: v_dual_mov_b32 v35, v5
	v_dual_mov_b32 v5, v4 :: v_dual_mov_b32 v36, v7
	ds_load_b64 v[32:33], v2
	v_dual_mov_b32 v2, s30 :: v_dual_mov_b32 v7, v6
	s_mov_b32 s30, -1
	ds_store_b64 v25, v[10:11]
	ds_load_b64 v[2:3], v2
	s_wait_dscnt 0x4
	v_pk_mul_f32 v[34:35], v[34:35], v[8:9]
	s_wait_dscnt 0x3
	v_pk_mul_f32 v[36:37], v[36:37], v[30:31]
	s_delay_alu instid0(VALU_DEP_2) | instskip(SKIP_1) | instid1(VALU_DEP_3)
	v_pk_fma_f32 v[38:39], v[4:5], v[8:9], v[34:35] op_sel:[0,0,1] op_sel_hi:[1,1,0]
	v_pk_fma_f32 v[4:5], v[4:5], v[8:9], v[34:35] op_sel:[0,0,1] op_sel_hi:[1,1,0] neg_lo:[0,0,1] neg_hi:[0,0,1]
	v_pk_fma_f32 v[8:9], v[6:7], v[30:31], v[36:37] op_sel:[0,0,1] op_sel_hi:[1,1,0]
	v_pk_fma_f32 v[6:7], v[6:7], v[30:31], v[36:37] op_sel:[0,0,1] op_sel_hi:[1,1,0] neg_lo:[0,0,1] neg_hi:[0,0,1]
	s_delay_alu instid0(VALU_DEP_4) | instskip(SKIP_3) | instid1(VALU_DEP_3)
	v_mov_b32_e32 v5, v39
	s_wait_dscnt 0x2
	v_pk_mul_f32 v[34:35], v[10:11], v[32:33] op_sel:[1,1] op_sel_hi:[1,0]
	v_mov_b32_e32 v7, v9
	v_pk_add_f32 v[0:1], v[0:1], v[4:5] neg_lo:[0,1] neg_hi:[0,1]
	s_delay_alu instid0(VALU_DEP_3)
	v_pk_fma_f32 v[4:5], v[10:11], v[32:33], v[34:35] op_sel_hi:[0,1,1]
	s_wait_dscnt 0x0
	v_and_b32_e32 v4, 0x7fffffff, v2
	v_and_b32_e32 v29, 0x7fffffff, v3
	v_pk_fma_f32 v[8:9], v[10:11], v[32:33], v[34:35] neg_lo:[0,0,1] neg_hi:[0,0,1]
	v_pk_add_f32 v[0:1], v[0:1], v[6:7] neg_lo:[0,1] neg_hi:[0,1]
	v_mov_b32_e32 v9, v5
	s_delay_alu instid0(VALU_DEP_4) | instskip(NEXT) | instid1(VALU_DEP_2)
	v_cmp_ngt_f32_e32 vcc_lo, v4, v29
                                        ; implicit-def: $vgpr4_vgpr5
	v_pk_add_f32 v[0:1], v[0:1], v[8:9] neg_lo:[0,1] neg_hi:[0,1]
	s_cbranch_vccz .LBB162_74
; %bb.73:                               ;   in Loop: Header=BB162_57 Depth=2
	v_div_scale_f32 v4, null, v3, v3, v2
	v_div_scale_f32 v7, vcc_lo, v2, v3, v2
	s_mov_b32 s30, 0
	v_rcp_f32_e32 v5, v4
	v_nop
	v_xor_b32_e32 v4, 0x80000000, v4
	s_delay_alu instid0(TRANS32_DEP_1) | instid1(VALU_DEP_1)
	v_fma_f32 v6, v4, v5, 1.0
	s_delay_alu instid0(VALU_DEP_1) | instskip(NEXT) | instid1(VALU_DEP_1)
	v_fmac_f32_e32 v5, v6, v5
	v_mul_f32_e32 v6, v7, v5
	s_delay_alu instid0(VALU_DEP_1) | instskip(NEXT) | instid1(VALU_DEP_1)
	v_fma_f32 v8, v4, v6, v7
	v_fmac_f32_e32 v6, v8, v5
	s_delay_alu instid0(VALU_DEP_1) | instskip(NEXT) | instid1(VALU_DEP_1)
	v_fmac_f32_e32 v7, v4, v6
	v_div_fmas_f32 v4, v7, v5, v6
	s_delay_alu instid0(VALU_DEP_1) | instskip(NEXT) | instid1(VALU_DEP_1)
	v_div_fixup_f32 v4, v4, v3, v2
	v_fma_f32 v5, v2, v4, v3
	s_delay_alu instid0(VALU_DEP_1) | instskip(NEXT) | instid1(VALU_DEP_1)
	v_div_scale_f32 v6, null, v5, v5, 1.0
	v_rcp_f32_e32 v7, v6
	v_nop
	v_xor_b32_e32 v6, 0x80000000, v6
	s_delay_alu instid0(TRANS32_DEP_1) | instid1(VALU_DEP_1)
	v_fma_f32 v8, v6, v7, 1.0
	s_delay_alu instid0(VALU_DEP_1) | instskip(SKIP_1) | instid1(VALU_DEP_1)
	v_fmac_f32_e32 v7, v8, v7
	v_div_scale_f32 v8, vcc_lo, 1.0, v5, 1.0
	v_mul_f32_e32 v9, v8, v7
	s_delay_alu instid0(VALU_DEP_1) | instskip(NEXT) | instid1(VALU_DEP_1)
	v_fma_f32 v10, v6, v9, v8
	v_fmac_f32_e32 v9, v10, v7
	s_delay_alu instid0(VALU_DEP_1) | instskip(NEXT) | instid1(VALU_DEP_1)
	v_dual_fmac_f32 v8, v6, v9 :: v_dual_mov_b32 v6, v1
	v_div_fmas_f32 v8, v8, v7, v9
	s_delay_alu instid0(VALU_DEP_2) | instskip(NEXT) | instid1(VALU_DEP_2)
	v_pk_fma_f32 v[6:7], v[4:5], v[0:1], v[6:7]
	v_div_fixup_f32 v7, v8, v5, 1.0
	s_delay_alu instid0(VALU_DEP_1) | instskip(NEXT) | instid1(VALU_DEP_1)
	v_dual_fma_f32 v5, v4, v1, -v0 :: v_dual_mov_b32 v4, v7
	v_pk_mul_f32 v[4:5], v[6:7], v[4:5]
.LBB162_74:                             ;   in Loop: Header=BB162_57 Depth=2
	s_and_not1_b32 vcc_lo, exec_lo, s30
	s_cbranch_vccnz .LBB162_76
; %bb.75:                               ;   in Loop: Header=BB162_57 Depth=2
	v_div_scale_f32 v4, null, v2, v2, v3
	v_div_scale_f32 v7, vcc_lo, v3, v2, v3
	s_delay_alu instid0(VALU_DEP_2)
	v_rcp_f32_e32 v5, v4
	v_nop
	v_xor_b32_e32 v4, 0x80000000, v4
	s_delay_alu instid0(TRANS32_DEP_1) | instid1(VALU_DEP_1)
	v_fma_f32 v6, v4, v5, 1.0
	s_delay_alu instid0(VALU_DEP_1) | instskip(NEXT) | instid1(VALU_DEP_1)
	v_fmac_f32_e32 v5, v6, v5
	v_mul_f32_e32 v6, v7, v5
	s_delay_alu instid0(VALU_DEP_1) | instskip(NEXT) | instid1(VALU_DEP_1)
	v_fma_f32 v8, v4, v6, v7
	v_fmac_f32_e32 v6, v8, v5
	s_delay_alu instid0(VALU_DEP_1) | instskip(NEXT) | instid1(VALU_DEP_1)
	v_fmac_f32_e32 v7, v4, v6
	v_div_fmas_f32 v4, v7, v5, v6
	s_delay_alu instid0(VALU_DEP_1) | instskip(NEXT) | instid1(VALU_DEP_1)
	v_div_fixup_f32 v4, v4, v2, v3
	v_fmac_f32_e32 v2, v3, v4
	s_delay_alu instid0(VALU_DEP_1) | instskip(SKIP_1) | instid1(VALU_DEP_2)
	v_div_scale_f32 v3, null, v2, v2, 1.0
	v_div_scale_f32 v7, vcc_lo, 1.0, v2, 1.0
	v_rcp_f32_e32 v5, v3
	v_nop
	v_xor_b32_e32 v3, 0x80000000, v3
	s_delay_alu instid0(TRANS32_DEP_1) | instid1(VALU_DEP_1)
	v_fma_f32 v6, v3, v5, 1.0
	s_delay_alu instid0(VALU_DEP_1) | instskip(NEXT) | instid1(VALU_DEP_1)
	v_fmac_f32_e32 v5, v6, v5
	v_mul_f32_e32 v6, v7, v5
	s_delay_alu instid0(VALU_DEP_1) | instskip(NEXT) | instid1(VALU_DEP_1)
	v_fma_f32 v8, v3, v6, v7
	v_fmac_f32_e32 v6, v8, v5
	s_delay_alu instid0(VALU_DEP_1) | instskip(NEXT) | instid1(VALU_DEP_1)
	v_fmac_f32_e32 v7, v3, v6
	v_div_fmas_f32 v3, v7, v5, v6
	v_pk_fma_f32 v[6:7], v[4:5], v[0:1], v[0:1] op_sel:[0,1,0] op_sel_hi:[0,0,1] neg_lo:[1,0,0] neg_hi:[1,0,0]
	v_pk_fma_f32 v[0:1], v[4:5], v[0:1], v[0:1] op_sel:[0,1,0] op_sel_hi:[1,0,1]
	s_delay_alu instid0(VALU_DEP_3) | instskip(NEXT) | instid1(VALU_DEP_3)
	v_div_fixup_f32 v2, v3, v2, 1.0
	v_mov_b32_e32 v1, v7
	s_delay_alu instid0(VALU_DEP_1)
	v_pk_mul_f32 v[4:5], v[0:1], v[2:3] op_sel_hi:[1,0]
.LBB162_76:                             ;   in Loop: Header=BB162_57 Depth=2
	s_add_co_i32 s30, s18, -4
	s_sub_co_i32 s3, s3, 32
	s_cmp_lt_i32 s18, 7
	ds_store_b64 v24, v[4:5]
	s_cbranch_scc1 .LBB162_78
; %bb.77:                               ;   in Loop: Header=BB162_57 Depth=2
	s_mov_b32 s18, s30
	s_branch .LBB162_57
.LBB162_78:                             ;   in Loop: Header=BB162_3 Depth=1
	s_cmp_lt_i32 s30, 0
	s_cbranch_scc1 .LBB162_87
; %bb.79:                               ;   in Loop: Header=BB162_3 Depth=1
	s_lshl_b32 s3, s30, 3
	s_delay_alu instid0(SALU_CYCLE_1)
	s_add_co_i32 s3, s17, s3
	s_branch .LBB162_81
.LBB162_80:                             ;   in Loop: Header=BB162_81 Depth=2
	s_add_co_i32 s18, s30, -1
	s_add_co_i32 s3, s3, -8
	s_cmp_lt_i32 s30, 1
	s_mov_b32 s30, s18
	ds_store_b64 v6, v[4:5]
	s_cbranch_scc1 .LBB162_87
.LBB162_81:                             ;   Parent Loop BB162_3 Depth=1
                                        ; =>  This Loop Header: Depth=2
                                        ;       Child Loop BB162_82 Depth 3
	s_mul_i32 s18, s30, 0xc0
	s_cmp_le_i32 s38, s30
	v_dual_add_nc_u32 v6, s18, v26 :: v_dual_mov_b32 v2, v13
	s_mov_b32 s31, s3
	s_mov_b32 s34, s38
	ds_load_b64 v[0:1], v6
	s_cbranch_scc1 .LBB162_83
.LBB162_82:                             ;   Parent Loop BB162_3 Depth=1
                                        ;     Parent Loop BB162_81 Depth=2
                                        ; =>    This Inner Loop Header: Depth=3
	v_mov_b32_e32 v3, s31
	s_add_co_i32 s34, s34, -1
	s_addk_co_i32 s31, 0xff40
	s_cmp_le_i32 s34, s30
	ds_load_b64 v[4:5], v2
	ds_load_b64 v[8:9], v3
	v_add_nc_u32_e32 v2, 0xffffff40, v2
	s_wait_dscnt 0x0
	v_pk_mul_f32 v[10:11], v[8:9], v[4:5] op_sel:[1,1] op_sel_hi:[0,1]
	s_delay_alu instid0(VALU_DEP_1) | instskip(SKIP_1) | instid1(VALU_DEP_2)
	v_pk_fma_f32 v[24:25], v[8:9], v[4:5], v[10:11] op_sel_hi:[1,0,1]
	v_pk_fma_f32 v[4:5], v[8:9], v[4:5], v[10:11] op_sel_hi:[1,0,1] neg_lo:[0,0,1] neg_hi:[0,0,1]
	v_mov_b32_e32 v5, v25
	s_delay_alu instid0(VALU_DEP_1)
	v_pk_add_f32 v[0:1], v[0:1], v[4:5] neg_lo:[0,1] neg_hi:[0,1]
	s_cbranch_scc0 .LBB162_82
.LBB162_83:                             ;   in Loop: Header=BB162_81 Depth=2
	s_lshl_b32 s31, s30, 3
	s_delay_alu instid0(SALU_CYCLE_1) | instskip(NEXT) | instid1(SALU_CYCLE_1)
	s_add_co_i32 s18, s31, s18
	v_mov_b32_e32 v2, s18
	s_mov_b32 s18, -1
	ds_load_b64 v[2:3], v2
	s_wait_dscnt 0x0
	v_and_b32_e32 v4, 0x7fffffff, v2
	v_and_b32_e32 v5, 0x7fffffff, v3
	s_delay_alu instid0(VALU_DEP_1)
	v_cmp_ngt_f32_e32 vcc_lo, v4, v5
                                        ; implicit-def: $vgpr4_vgpr5
	s_cbranch_vccz .LBB162_85
; %bb.84:                               ;   in Loop: Header=BB162_81 Depth=2
	v_div_scale_f32 v4, null, v3, v3, v2
	v_div_scale_f32 v8, vcc_lo, v2, v3, v2
	s_mov_b32 s18, 0
	v_rcp_f32_e32 v5, v4
	v_nop
	v_xor_b32_e32 v4, 0x80000000, v4
	s_delay_alu instid0(TRANS32_DEP_1) | instid1(VALU_DEP_1)
	v_fma_f32 v7, v4, v5, 1.0
	s_delay_alu instid0(VALU_DEP_1) | instskip(NEXT) | instid1(VALU_DEP_1)
	v_fmac_f32_e32 v5, v7, v5
	v_mul_f32_e32 v7, v8, v5
	s_delay_alu instid0(VALU_DEP_1) | instskip(NEXT) | instid1(VALU_DEP_1)
	v_fma_f32 v9, v4, v7, v8
	v_fmac_f32_e32 v7, v9, v5
	s_delay_alu instid0(VALU_DEP_1) | instskip(NEXT) | instid1(VALU_DEP_1)
	v_fmac_f32_e32 v8, v4, v7
	v_div_fmas_f32 v4, v8, v5, v7
	s_delay_alu instid0(VALU_DEP_1) | instskip(NEXT) | instid1(VALU_DEP_1)
	v_div_fixup_f32 v4, v4, v3, v2
	v_fma_f32 v7, v2, v4, v3
	s_delay_alu instid0(VALU_DEP_1) | instskip(SKIP_1) | instid1(VALU_DEP_2)
	v_div_scale_f32 v5, null, v7, v7, 1.0
	v_div_scale_f32 v10, vcc_lo, 1.0, v7, 1.0
	v_rcp_f32_e32 v8, v5
	v_nop
	v_xor_b32_e32 v5, 0x80000000, v5
	s_delay_alu instid0(TRANS32_DEP_1) | instid1(VALU_DEP_1)
	v_fma_f32 v9, v5, v8, 1.0
	s_delay_alu instid0(VALU_DEP_1) | instskip(NEXT) | instid1(VALU_DEP_1)
	v_fmac_f32_e32 v8, v9, v8
	v_mul_f32_e32 v9, v10, v8
	s_delay_alu instid0(VALU_DEP_1) | instskip(NEXT) | instid1(VALU_DEP_1)
	v_fma_f32 v11, v5, v9, v10
	v_fmac_f32_e32 v9, v11, v8
	s_delay_alu instid0(VALU_DEP_1) | instskip(NEXT) | instid1(VALU_DEP_1)
	v_fmac_f32_e32 v10, v5, v9
	v_div_fmas_f32 v10, v10, v8, v9
	v_pk_fma_f32 v[8:9], v[0:1], v[4:5], v[0:1] op_sel:[0,0,1] op_sel_hi:[1,0,0] neg_lo:[0,0,1] neg_hi:[0,0,1]
	v_pk_fma_f32 v[4:5], v[0:1], v[4:5], v[0:1] op_sel:[0,0,1] op_sel_hi:[1,0,0]
	s_delay_alu instid0(VALU_DEP_3) | instskip(NEXT) | instid1(VALU_DEP_3)
	v_div_fixup_f32 v8, v10, v7, 1.0
	v_mov_b32_e32 v5, v9
	s_delay_alu instid0(VALU_DEP_1)
	v_pk_mul_f32 v[4:5], v[4:5], v[8:9] op_sel_hi:[1,0]
.LBB162_85:                             ;   in Loop: Header=BB162_81 Depth=2
	s_and_not1_b32 vcc_lo, exec_lo, s18
	s_cbranch_vccnz .LBB162_80
; %bb.86:                               ;   in Loop: Header=BB162_81 Depth=2
	v_div_scale_f32 v4, null, v2, v2, v3
	v_div_scale_f32 v8, vcc_lo, v3, v2, v3
	s_delay_alu instid0(VALU_DEP_2)
	v_rcp_f32_e32 v5, v4
	v_nop
	v_xor_b32_e32 v4, 0x80000000, v4
	s_delay_alu instid0(TRANS32_DEP_1) | instid1(VALU_DEP_1)
	v_fma_f32 v7, v4, v5, 1.0
	s_delay_alu instid0(VALU_DEP_1) | instskip(NEXT) | instid1(VALU_DEP_1)
	v_fmac_f32_e32 v5, v7, v5
	v_mul_f32_e32 v7, v8, v5
	s_delay_alu instid0(VALU_DEP_1) | instskip(NEXT) | instid1(VALU_DEP_1)
	v_fma_f32 v9, v4, v7, v8
	v_fmac_f32_e32 v7, v9, v5
	s_delay_alu instid0(VALU_DEP_1) | instskip(NEXT) | instid1(VALU_DEP_1)
	v_fmac_f32_e32 v8, v4, v7
	v_div_fmas_f32 v4, v8, v5, v7
	s_delay_alu instid0(VALU_DEP_1) | instskip(NEXT) | instid1(VALU_DEP_1)
	v_div_fixup_f32 v4, v4, v2, v3
	v_fmac_f32_e32 v2, v3, v4
	s_delay_alu instid0(VALU_DEP_1) | instskip(SKIP_1) | instid1(VALU_DEP_2)
	v_div_scale_f32 v3, null, v2, v2, 1.0
	v_div_scale_f32 v8, vcc_lo, 1.0, v2, 1.0
	v_rcp_f32_e32 v5, v3
	v_nop
	v_xor_b32_e32 v3, 0x80000000, v3
	s_delay_alu instid0(TRANS32_DEP_1) | instid1(VALU_DEP_1)
	v_fma_f32 v7, v3, v5, 1.0
	s_delay_alu instid0(VALU_DEP_1) | instskip(NEXT) | instid1(VALU_DEP_1)
	v_fmac_f32_e32 v5, v7, v5
	v_mul_f32_e32 v7, v8, v5
	s_delay_alu instid0(VALU_DEP_1) | instskip(NEXT) | instid1(VALU_DEP_1)
	v_fma_f32 v9, v3, v7, v8
	v_fmac_f32_e32 v7, v9, v5
	s_delay_alu instid0(VALU_DEP_1) | instskip(NEXT) | instid1(VALU_DEP_1)
	v_fmac_f32_e32 v8, v3, v7
	v_div_fmas_f32 v3, v8, v5, v7
	v_pk_fma_f32 v[8:9], v[0:1], v[4:5], v[0:1] op_sel:[1,0,0] op_sel_hi:[0,0,1] neg_lo:[1,0,0] neg_hi:[1,0,0]
	v_pk_fma_f32 v[0:1], v[0:1], v[4:5], v[0:1] op_sel:[1,0,0] op_sel_hi:[0,0,1]
	s_delay_alu instid0(VALU_DEP_3) | instskip(NEXT) | instid1(VALU_DEP_3)
	v_div_fixup_f32 v2, v3, v2, 1.0
	v_mov_b32_e32 v1, v9
	s_delay_alu instid0(VALU_DEP_1)
	v_pk_mul_f32 v[4:5], v[0:1], v[2:3] op_sel_hi:[1,0]
	s_branch .LBB162_80
.LBB162_87:                             ;   in Loop: Header=BB162_3 Depth=1
	s_mov_b32 s3, 0
.LBB162_88:                             ;   in Loop: Header=BB162_3 Depth=1
	s_delay_alu instid0(SALU_CYCLE_1)
	s_and_not1_b32 vcc_lo, exec_lo, s3
	s_cbranch_vccnz .LBB162_119
; %bb.89:                               ;   in Loop: Header=BB162_3 Depth=1
	s_mov_b32 s30, s38
	s_and_not1_b32 vcc_lo, exec_lo, s42
	s_mov_b32 s3, s47
	s_mov_b32 s18, s38
	s_cbranch_vccnz .LBB162_110
.LBB162_90:                             ;   Parent Loop BB162_3 Depth=1
                                        ; =>  This Loop Header: Depth=2
                                        ;       Child Loop BB162_91 Depth 3
	s_mul_i32 s30, s18, 24
	s_cmp_le_i32 s38, s18
	v_lshl_add_u32 v30, s30, 3, v26
	s_mov_b32 s31, s3
	s_mov_b32 s34, s38
	s_delay_alu instid0(VALU_DEP_1)
	v_dual_mov_b32 v2, v13 :: v_dual_add_nc_u32 v29, 0xffffff40, v30
	v_add_nc_u32_e32 v25, 0xfffffe80, v30
	v_add_nc_u32_e32 v24, 0xfffffdc0, v30
	ds_load_b64 v[0:1], v30
	ds_load_b64 v[10:11], v29
	;; [unrolled: 1-line block ×4, first 2 shown]
	s_cbranch_scc1 .LBB162_92
.LBB162_91:                             ;   Parent Loop BB162_3 Depth=1
                                        ;     Parent Loop BB162_90 Depth=2
                                        ; =>    This Inner Loop Header: Depth=3
	v_mov_b32_e32 v3, s31
	s_add_co_i32 s34, s34, -1
	s_add_co_i32 s31, s31, -8
	s_cmp_le_i32 s34, s18
	ds_load_b64 v[8:9], v2
	ds_load_2addr_b64 v[32:35], v3 offset1:24
	ds_load_2addr_b64 v[36:39], v3 offset0:48 offset1:72
	v_add_nc_u32_e32 v2, 0xffffff40, v2
	s_wait_dscnt 0x1
	v_pk_mul_f32 v[40:41], v[34:35], v[8:9] op_sel:[0,1]
	s_wait_dscnt 0x0
	v_dual_mul_f32 v3, v39, v9 :: v_dual_mul_f32 v31, v38, v9
	v_dual_mul_f32 v44, v37, v9 :: v_dual_mul_f32 v45, v37, v8
	v_pk_mul_f32 v[42:43], v[32:33], v[8:9] op_sel:[0,1]
	s_delay_alu instid0(VALU_DEP_3) | instskip(NEXT) | instid1(VALU_DEP_3)
	v_fma_f32 v3, v38, v8, -v3
	v_dual_fmac_f32 v31, v39, v8 :: v_dual_fma_f32 v44, v36, v8, -v44
	s_delay_alu instid0(VALU_DEP_4) | instskip(SKIP_4) | instid1(VALU_DEP_4)
	v_fmac_f32_e32 v45, v36, v9
	v_pk_fma_f32 v[36:37], v[34:35], v[8:9], v[40:41] op_sel:[0,0,1] op_sel_hi:[1,0,0]
	v_pk_fma_f32 v[38:39], v[32:33], v[8:9], v[42:43] op_sel:[0,0,1] op_sel_hi:[1,0,0]
	v_pk_fma_f32 v[34:35], v[34:35], v[8:9], v[40:41] op_sel:[0,0,1] op_sel_hi:[1,1,0] neg_lo:[0,0,1] neg_hi:[0,0,1]
	v_pk_fma_f32 v[8:9], v[32:33], v[8:9], v[42:43] op_sel:[0,0,1] op_sel_hi:[1,1,0] neg_lo:[0,0,1] neg_hi:[0,0,1]
	v_dual_sub_f32 v0, v0, v3 :: v_dual_mov_b32 v35, v37
	s_delay_alu instid0(VALU_DEP_4) | instskip(SKIP_1) | instid1(VALU_DEP_3)
	v_dual_mov_b32 v9, v39 :: v_dual_sub_f32 v1, v1, v31
	v_dual_sub_f32 v10, v10, v44 :: v_dual_sub_f32 v11, v11, v45
	v_pk_add_f32 v[6:7], v[6:7], v[34:35] neg_lo:[0,1] neg_hi:[0,1]
	s_delay_alu instid0(VALU_DEP_3)
	v_pk_add_f32 v[4:5], v[4:5], v[8:9] neg_lo:[0,1] neg_hi:[0,1]
	s_cbranch_scc0 .LBB162_91
.LBB162_92:                             ;   in Loop: Header=BB162_90 Depth=2
	s_mul_i32 s31, s18, 0xc8
	s_delay_alu instid0(SALU_CYCLE_1)
	v_mov_b32_e32 v2, s31
	s_mov_b32 s31, -1
	ds_load_b64 v[2:3], v2
	s_wait_dscnt 0x0
	v_and_b32_e32 v8, 0x7fffffff, v2
	v_and_b32_e32 v9, 0x7fffffff, v3
	s_delay_alu instid0(VALU_DEP_1)
	v_cmp_ngt_f32_e32 vcc_lo, v8, v9
                                        ; implicit-def: $vgpr9
	s_cbranch_vccz .LBB162_94
; %bb.93:                               ;   in Loop: Header=BB162_90 Depth=2
	v_div_scale_f32 v8, null, v3, v3, v2
	v_div_scale_f32 v32, vcc_lo, v2, v3, v2
	s_mov_b32 s31, 0
	v_rcp_f32_e32 v9, v8
	v_nop
	v_xor_b32_e32 v8, 0x80000000, v8
	s_delay_alu instid0(TRANS32_DEP_1) | instid1(VALU_DEP_1)
	v_fma_f32 v31, v8, v9, 1.0
	s_delay_alu instid0(VALU_DEP_1) | instskip(NEXT) | instid1(VALU_DEP_1)
	v_fmac_f32_e32 v9, v31, v9
	v_mul_f32_e32 v31, v32, v9
	s_delay_alu instid0(VALU_DEP_1) | instskip(NEXT) | instid1(VALU_DEP_1)
	v_fma_f32 v33, v8, v31, v32
	v_fmac_f32_e32 v31, v33, v9
	s_delay_alu instid0(VALU_DEP_1) | instskip(NEXT) | instid1(VALU_DEP_1)
	v_fmac_f32_e32 v32, v8, v31
	v_div_fmas_f32 v8, v32, v9, v31
	s_delay_alu instid0(VALU_DEP_1) | instskip(NEXT) | instid1(VALU_DEP_1)
	v_div_fixup_f32 v8, v8, v3, v2
	v_fma_f32 v9, v2, v8, v3
	s_delay_alu instid0(VALU_DEP_1) | instskip(SKIP_1) | instid1(VALU_DEP_2)
	v_div_scale_f32 v31, null, v9, v9, 1.0
	v_div_scale_f32 v34, vcc_lo, 1.0, v9, 1.0
	v_rcp_f32_e32 v32, v31
	v_nop
	v_xor_b32_e32 v31, 0x80000000, v31
	s_delay_alu instid0(TRANS32_DEP_1) | instid1(VALU_DEP_1)
	v_fma_f32 v33, v31, v32, 1.0
	s_delay_alu instid0(VALU_DEP_1) | instskip(NEXT) | instid1(VALU_DEP_1)
	v_fmac_f32_e32 v32, v33, v32
	v_mul_f32_e32 v33, v34, v32
	s_delay_alu instid0(VALU_DEP_1) | instskip(NEXT) | instid1(VALU_DEP_1)
	v_fma_f32 v35, v31, v33, v34
	v_fmac_f32_e32 v33, v35, v32
	s_delay_alu instid0(VALU_DEP_1) | instskip(NEXT) | instid1(VALU_DEP_1)
	v_fmac_f32_e32 v34, v31, v33
	v_div_fmas_f32 v31, v34, v32, v33
	v_fma_f32 v32, v0, v8, v1
	s_delay_alu instid0(VALU_DEP_2) | instskip(NEXT) | instid1(VALU_DEP_1)
	v_div_fixup_f32 v9, v31, v9, 1.0
	v_dual_fma_f32 v31, v1, v8, -v0 :: v_dual_mul_f32 v8, v32, v9
	s_delay_alu instid0(VALU_DEP_1)
	v_mul_f32_e32 v9, v31, v9
.LBB162_94:                             ;   in Loop: Header=BB162_90 Depth=2
	s_and_not1_b32 vcc_lo, exec_lo, s31
	s_cbranch_vccnz .LBB162_96
; %bb.95:                               ;   in Loop: Header=BB162_90 Depth=2
	v_div_scale_f32 v8, null, v2, v2, v3
	v_div_scale_f32 v32, vcc_lo, v3, v2, v3
	s_delay_alu instid0(VALU_DEP_2)
	v_rcp_f32_e32 v9, v8
	v_nop
	v_xor_b32_e32 v8, 0x80000000, v8
	s_delay_alu instid0(TRANS32_DEP_1) | instid1(VALU_DEP_1)
	v_fma_f32 v31, v8, v9, 1.0
	s_delay_alu instid0(VALU_DEP_1) | instskip(NEXT) | instid1(VALU_DEP_1)
	v_fmac_f32_e32 v9, v31, v9
	v_mul_f32_e32 v31, v32, v9
	s_delay_alu instid0(VALU_DEP_1) | instskip(NEXT) | instid1(VALU_DEP_1)
	v_fma_f32 v33, v8, v31, v32
	v_fmac_f32_e32 v31, v33, v9
	s_delay_alu instid0(VALU_DEP_1) | instskip(NEXT) | instid1(VALU_DEP_1)
	v_fmac_f32_e32 v32, v8, v31
	v_div_fmas_f32 v8, v32, v9, v31
	s_delay_alu instid0(VALU_DEP_1) | instskip(NEXT) | instid1(VALU_DEP_1)
	v_div_fixup_f32 v8, v8, v2, v3
	v_fmac_f32_e32 v2, v3, v8
	s_delay_alu instid0(VALU_DEP_1) | instskip(SKIP_1) | instid1(VALU_DEP_2)
	v_div_scale_f32 v3, null, v2, v2, 1.0
	v_div_scale_f32 v32, vcc_lo, 1.0, v2, 1.0
	v_rcp_f32_e32 v9, v3
	v_nop
	v_xor_b32_e32 v3, 0x80000000, v3
	s_delay_alu instid0(TRANS32_DEP_1) | instid1(VALU_DEP_1)
	v_fma_f32 v31, v3, v9, 1.0
	s_delay_alu instid0(VALU_DEP_1) | instskip(NEXT) | instid1(VALU_DEP_1)
	v_fmac_f32_e32 v9, v31, v9
	v_mul_f32_e32 v31, v32, v9
	s_delay_alu instid0(VALU_DEP_1) | instskip(NEXT) | instid1(VALU_DEP_1)
	v_fma_f32 v33, v3, v31, v32
	v_fmac_f32_e32 v31, v33, v9
	s_delay_alu instid0(VALU_DEP_1) | instskip(NEXT) | instid1(VALU_DEP_1)
	v_fmac_f32_e32 v32, v3, v31
	v_div_fmas_f32 v3, v32, v9, v31
	v_dual_fma_f32 v9, v1, v8, v0 :: v_dual_fma_f32 v0, -v0, v8, v1
	s_delay_alu instid0(VALU_DEP_2) | instskip(NEXT) | instid1(VALU_DEP_1)
	v_div_fixup_f32 v2, v3, v2, 1.0
	v_dual_mul_f32 v8, v9, v2 :: v_dual_mul_f32 v9, v0, v2
.LBB162_96:                             ;   in Loop: Header=BB162_90 Depth=2
	s_lshl_b32 s31, s30, 3
	s_lshl_b32 s30, s18, 3
	s_addk_co_i32 s31, 0xff40
	ds_store_b64 v30, v[8:9]
	s_add_co_i32 s34, s30, s31
	s_delay_alu instid0(SALU_CYCLE_1) | instskip(NEXT) | instid1(SALU_CYCLE_1)
	s_add_co_i32 s34, s34, -8
	v_mov_b32_e32 v0, s34
	s_mov_b32 s34, -1
	ds_load_2addr_b64 v[0:3], v0 offset1:1
	s_wait_dscnt 0x0
	v_dual_mul_f32 v31, v9, v3 :: v_dual_mul_f32 v3, v8, v3
	v_and_b32_e32 v32, 0x7fffffff, v0
	v_and_b32_e32 v33, 0x7fffffff, v1
	s_delay_alu instid0(VALU_DEP_3) | instskip(NEXT) | instid1(VALU_DEP_4)
	v_fma_f32 v31, v8, v2, -v31
	v_fmac_f32_e32 v3, v9, v2
	s_delay_alu instid0(VALU_DEP_3) | instskip(NEXT) | instid1(VALU_DEP_3)
	v_cmp_ngt_f32_e32 vcc_lo, v32, v33
	v_sub_f32_e32 v2, v10, v31
	s_delay_alu instid0(VALU_DEP_3)
	v_sub_f32_e32 v3, v11, v3
                                        ; implicit-def: $vgpr11
	s_cbranch_vccz .LBB162_98
; %bb.97:                               ;   in Loop: Header=BB162_90 Depth=2
	v_div_scale_f32 v10, null, v1, v1, v0
	v_div_scale_f32 v31, vcc_lo, v0, v1, v0
	s_mov_b32 s34, 0
	v_rcp_f32_e32 v11, v10
	v_nop
	v_xor_b32_e32 v10, 0x80000000, v10
	s_delay_alu instid0(TRANS32_DEP_1) | instid1(VALU_DEP_1)
	v_fma_f32 v30, v10, v11, 1.0
	s_delay_alu instid0(VALU_DEP_1) | instskip(NEXT) | instid1(VALU_DEP_1)
	v_fmac_f32_e32 v11, v30, v11
	v_mul_f32_e32 v30, v31, v11
	s_delay_alu instid0(VALU_DEP_1) | instskip(NEXT) | instid1(VALU_DEP_1)
	v_fma_f32 v32, v10, v30, v31
	v_fmac_f32_e32 v30, v32, v11
	s_delay_alu instid0(VALU_DEP_1) | instskip(NEXT) | instid1(VALU_DEP_1)
	v_fmac_f32_e32 v31, v10, v30
	v_div_fmas_f32 v10, v31, v11, v30
	s_delay_alu instid0(VALU_DEP_1) | instskip(NEXT) | instid1(VALU_DEP_1)
	v_div_fixup_f32 v10, v10, v1, v0
	v_fma_f32 v11, v0, v10, v1
	s_delay_alu instid0(VALU_DEP_1) | instskip(SKIP_1) | instid1(VALU_DEP_2)
	v_div_scale_f32 v30, null, v11, v11, 1.0
	v_div_scale_f32 v33, vcc_lo, 1.0, v11, 1.0
	v_rcp_f32_e32 v31, v30
	v_nop
	v_xor_b32_e32 v30, 0x80000000, v30
	s_delay_alu instid0(TRANS32_DEP_1) | instid1(VALU_DEP_1)
	v_fma_f32 v32, v30, v31, 1.0
	s_delay_alu instid0(VALU_DEP_1) | instskip(NEXT) | instid1(VALU_DEP_1)
	v_fmac_f32_e32 v31, v32, v31
	v_mul_f32_e32 v32, v33, v31
	s_delay_alu instid0(VALU_DEP_1) | instskip(NEXT) | instid1(VALU_DEP_1)
	v_fma_f32 v34, v30, v32, v33
	v_fmac_f32_e32 v32, v34, v31
	s_delay_alu instid0(VALU_DEP_1) | instskip(NEXT) | instid1(VALU_DEP_1)
	v_fmac_f32_e32 v33, v30, v32
	v_div_fmas_f32 v30, v33, v31, v32
	v_fma_f32 v31, v10, v2, v3
	s_delay_alu instid0(VALU_DEP_2) | instskip(SKIP_1) | instid1(VALU_DEP_1)
	v_div_fixup_f32 v11, v30, v11, 1.0
	v_fma_f32 v30, v10, v3, -v2
	v_dual_mul_f32 v10, v31, v11 :: v_dual_mul_f32 v11, v30, v11
.LBB162_98:                             ;   in Loop: Header=BB162_90 Depth=2
	s_and_not1_b32 vcc_lo, exec_lo, s34
	s_cbranch_vccnz .LBB162_100
; %bb.99:                               ;   in Loop: Header=BB162_90 Depth=2
	v_div_scale_f32 v10, null, v0, v0, v1
	v_div_scale_f32 v31, vcc_lo, v1, v0, v1
	s_delay_alu instid0(VALU_DEP_2)
	v_rcp_f32_e32 v11, v10
	v_nop
	v_xor_b32_e32 v10, 0x80000000, v10
	s_delay_alu instid0(TRANS32_DEP_1) | instid1(VALU_DEP_1)
	v_fma_f32 v30, v10, v11, 1.0
	s_delay_alu instid0(VALU_DEP_1) | instskip(NEXT) | instid1(VALU_DEP_1)
	v_fmac_f32_e32 v11, v30, v11
	v_mul_f32_e32 v30, v31, v11
	s_delay_alu instid0(VALU_DEP_1) | instskip(NEXT) | instid1(VALU_DEP_1)
	v_fma_f32 v32, v10, v30, v31
	v_fmac_f32_e32 v30, v32, v11
	s_delay_alu instid0(VALU_DEP_1) | instskip(NEXT) | instid1(VALU_DEP_1)
	v_fmac_f32_e32 v31, v10, v30
	v_div_fmas_f32 v10, v31, v11, v30
	s_delay_alu instid0(VALU_DEP_1) | instskip(NEXT) | instid1(VALU_DEP_1)
	v_div_fixup_f32 v10, v10, v0, v1
	v_fmac_f32_e32 v0, v1, v10
	s_delay_alu instid0(VALU_DEP_1) | instskip(SKIP_1) | instid1(VALU_DEP_2)
	v_div_scale_f32 v1, null, v0, v0, 1.0
	v_div_scale_f32 v31, vcc_lo, 1.0, v0, 1.0
	v_rcp_f32_e32 v11, v1
	v_nop
	v_xor_b32_e32 v1, 0x80000000, v1
	s_delay_alu instid0(TRANS32_DEP_1) | instid1(VALU_DEP_1)
	v_fma_f32 v30, v1, v11, 1.0
	s_delay_alu instid0(VALU_DEP_1) | instskip(NEXT) | instid1(VALU_DEP_1)
	v_fmac_f32_e32 v11, v30, v11
	v_mul_f32_e32 v30, v31, v11
	s_delay_alu instid0(VALU_DEP_1) | instskip(NEXT) | instid1(VALU_DEP_1)
	v_fma_f32 v32, v1, v30, v31
	v_fmac_f32_e32 v30, v32, v11
	s_delay_alu instid0(VALU_DEP_1) | instskip(NEXT) | instid1(VALU_DEP_1)
	v_fmac_f32_e32 v31, v1, v30
	v_div_fmas_f32 v1, v31, v11, v30
	v_fma_f32 v11, v10, v3, v2
	s_delay_alu instid0(VALU_DEP_2) | instskip(NEXT) | instid1(VALU_DEP_1)
	v_div_fixup_f32 v0, v1, v0, 1.0
	v_dual_fma_f32 v1, -v10, v2, v3 :: v_dual_mul_f32 v10, v11, v0
	s_delay_alu instid0(VALU_DEP_1)
	v_mul_f32_e32 v11, v1, v0
.LBB162_100:                            ;   in Loop: Header=BB162_90 Depth=2
	s_addk_co_i32 s31, 0xff40
	ds_store_b64 v29, v[10:11]
	s_add_co_i32 s30, s31, s30
	s_delay_alu instid0(SALU_CYCLE_1)
	v_dual_mov_b32 v32, v9 :: v_dual_mov_b32 v0, s30
	s_add_co_i32 s31, s30, -16
	v_mov_b32_e32 v34, v11
	ds_load_b64 v[30:31], v0
	v_mov_b32_e32 v0, s31
	s_mov_b32 s31, -1
	ds_load_2addr_b64 v[0:3], v0 offset1:1
	s_wait_dscnt 0x1
	v_pk_mul_f32 v[32:33], v[32:33], v[30:31] op_sel_hi:[0,1]
	s_delay_alu instid0(VALU_DEP_1) | instskip(SKIP_4) | instid1(VALU_DEP_3)
	v_pk_fma_f32 v[36:37], v[8:9], v[30:31], v[32:33] op_sel:[0,0,1] op_sel_hi:[0,1,0]
	s_wait_dscnt 0x0
	v_pk_mul_f32 v[34:35], v[34:35], v[2:3] op_sel_hi:[0,1]
	v_pk_fma_f32 v[30:31], v[8:9], v[30:31], v[32:33] op_sel:[0,0,1] op_sel_hi:[1,1,0] neg_lo:[0,0,1] neg_hi:[0,0,1]
	v_and_b32_e32 v36, 0x7fffffff, v1
	v_pk_fma_f32 v[32:33], v[10:11], v[2:3], v[34:35] op_sel:[0,0,1] op_sel_hi:[0,1,0]
	v_mov_b32_e32 v31, v37
	v_and_b32_e32 v32, 0x7fffffff, v0
	v_pk_fma_f32 v[2:3], v[10:11], v[2:3], v[34:35] op_sel:[0,0,1] op_sel_hi:[1,1,0] neg_lo:[0,0,1] neg_hi:[0,0,1]
	s_delay_alu instid0(VALU_DEP_4) | instskip(NEXT) | instid1(VALU_DEP_4)
	v_mov_b32_e32 v3, v33
	v_pk_add_f32 v[6:7], v[6:7], v[30:31] neg_lo:[0,1] neg_hi:[0,1]
	s_delay_alu instid0(VALU_DEP_4) | instskip(NEXT) | instid1(VALU_DEP_2)
	v_cmp_ngt_f32_e32 vcc_lo, v32, v36
	v_pk_add_f32 v[2:3], v[6:7], v[2:3] neg_lo:[0,1] neg_hi:[0,1]
                                        ; implicit-def: $vgpr6_vgpr7
	s_cbranch_vccz .LBB162_102
; %bb.101:                              ;   in Loop: Header=BB162_90 Depth=2
	v_div_scale_f32 v6, null, v1, v1, v0
	v_div_scale_f32 v30, vcc_lo, v0, v1, v0
	s_mov_b32 s31, 0
	v_rcp_f32_e32 v7, v6
	v_nop
	v_xor_b32_e32 v6, 0x80000000, v6
	s_delay_alu instid0(TRANS32_DEP_1) | instid1(VALU_DEP_1)
	v_fma_f32 v29, v6, v7, 1.0
	s_delay_alu instid0(VALU_DEP_1) | instskip(NEXT) | instid1(VALU_DEP_1)
	v_fmac_f32_e32 v7, v29, v7
	v_mul_f32_e32 v29, v30, v7
	s_delay_alu instid0(VALU_DEP_1) | instskip(NEXT) | instid1(VALU_DEP_1)
	v_fma_f32 v31, v6, v29, v30
	v_fmac_f32_e32 v29, v31, v7
	s_delay_alu instid0(VALU_DEP_1) | instskip(NEXT) | instid1(VALU_DEP_1)
	v_fmac_f32_e32 v30, v6, v29
	v_div_fmas_f32 v6, v30, v7, v29
	s_delay_alu instid0(VALU_DEP_1) | instskip(NEXT) | instid1(VALU_DEP_1)
	v_div_fixup_f32 v6, v6, v1, v0
	v_fma_f32 v7, v0, v6, v1
	s_delay_alu instid0(VALU_DEP_1) | instskip(SKIP_1) | instid1(VALU_DEP_2)
	v_div_scale_f32 v29, null, v7, v7, 1.0
	v_div_scale_f32 v32, vcc_lo, 1.0, v7, 1.0
	v_rcp_f32_e32 v31, v29
	v_nop
	v_xor_b32_e32 v29, 0x80000000, v29
	s_delay_alu instid0(TRANS32_DEP_1) | instid1(VALU_DEP_1)
	v_fma_f32 v30, v29, v31, 1.0
	s_delay_alu instid0(VALU_DEP_1) | instskip(NEXT) | instid1(VALU_DEP_1)
	v_fmac_f32_e32 v31, v30, v31
	v_mul_f32_e32 v33, v32, v31
	s_delay_alu instid0(VALU_DEP_1) | instskip(NEXT) | instid1(VALU_DEP_1)
	v_fma_f32 v30, v29, v33, v32
	v_dual_fmac_f32 v33, v30, v31 :: v_dual_mov_b32 v30, v3
	s_delay_alu instid0(VALU_DEP_1) | instskip(NEXT) | instid1(VALU_DEP_1)
	v_fmac_f32_e32 v32, v29, v33
	v_div_fmas_f32 v29, v32, v31, v33
	s_delay_alu instid0(VALU_DEP_3) | instskip(NEXT) | instid1(VALU_DEP_2)
	v_pk_fma_f32 v[30:31], v[6:7], v[2:3], v[30:31]
	v_div_fixup_f32 v31, v29, v7, 1.0
	s_delay_alu instid0(VALU_DEP_1) | instskip(NEXT) | instid1(VALU_DEP_1)
	v_dual_fma_f32 v7, v6, v3, -v2 :: v_dual_mov_b32 v6, v31
	v_pk_mul_f32 v[6:7], v[30:31], v[6:7]
.LBB162_102:                            ;   in Loop: Header=BB162_90 Depth=2
	s_and_not1_b32 vcc_lo, exec_lo, s31
	s_cbranch_vccnz .LBB162_104
; %bb.103:                              ;   in Loop: Header=BB162_90 Depth=2
	v_div_scale_f32 v6, null, v0, v0, v1
	v_div_scale_f32 v30, vcc_lo, v1, v0, v1
	s_delay_alu instid0(VALU_DEP_2)
	v_rcp_f32_e32 v7, v6
	v_nop
	v_xor_b32_e32 v6, 0x80000000, v6
	s_delay_alu instid0(TRANS32_DEP_1) | instid1(VALU_DEP_1)
	v_fma_f32 v29, v6, v7, 1.0
	s_delay_alu instid0(VALU_DEP_1) | instskip(NEXT) | instid1(VALU_DEP_1)
	v_fmac_f32_e32 v7, v29, v7
	v_mul_f32_e32 v29, v30, v7
	s_delay_alu instid0(VALU_DEP_1) | instskip(NEXT) | instid1(VALU_DEP_1)
	v_fma_f32 v31, v6, v29, v30
	v_fmac_f32_e32 v29, v31, v7
	s_delay_alu instid0(VALU_DEP_1) | instskip(NEXT) | instid1(VALU_DEP_1)
	v_fmac_f32_e32 v30, v6, v29
	v_div_fmas_f32 v6, v30, v7, v29
	s_delay_alu instid0(VALU_DEP_1) | instskip(NEXT) | instid1(VALU_DEP_1)
	v_div_fixup_f32 v6, v6, v0, v1
	v_fmac_f32_e32 v0, v1, v6
	s_delay_alu instid0(VALU_DEP_1) | instskip(SKIP_1) | instid1(VALU_DEP_2)
	v_div_scale_f32 v1, null, v0, v0, 1.0
	v_div_scale_f32 v30, vcc_lo, 1.0, v0, 1.0
	v_rcp_f32_e32 v7, v1
	v_nop
	v_xor_b32_e32 v1, 0x80000000, v1
	s_delay_alu instid0(TRANS32_DEP_1) | instid1(VALU_DEP_1)
	v_fma_f32 v29, v1, v7, 1.0
	s_delay_alu instid0(VALU_DEP_1) | instskip(NEXT) | instid1(VALU_DEP_1)
	v_fmac_f32_e32 v7, v29, v7
	v_mul_f32_e32 v29, v30, v7
	s_delay_alu instid0(VALU_DEP_1) | instskip(NEXT) | instid1(VALU_DEP_1)
	v_fma_f32 v31, v1, v29, v30
	v_fmac_f32_e32 v29, v31, v7
	s_delay_alu instid0(VALU_DEP_1) | instskip(NEXT) | instid1(VALU_DEP_1)
	v_fmac_f32_e32 v30, v1, v29
	v_div_fmas_f32 v1, v30, v7, v29
	v_pk_fma_f32 v[30:31], v[6:7], v[2:3], v[2:3] op_sel:[0,1,0] op_sel_hi:[0,0,1] neg_lo:[1,0,0] neg_hi:[1,0,0]
	v_pk_fma_f32 v[2:3], v[6:7], v[2:3], v[2:3] op_sel:[0,1,0] op_sel_hi:[1,0,1]
	s_delay_alu instid0(VALU_DEP_3) | instskip(NEXT) | instid1(VALU_DEP_3)
	v_div_fixup_f32 v0, v1, v0, 1.0
	v_mov_b32_e32 v3, v31
	s_delay_alu instid0(VALU_DEP_1)
	v_pk_mul_f32 v[6:7], v[2:3], v[0:1] op_sel_hi:[1,0]
.LBB162_104:                            ;   in Loop: Header=BB162_90 Depth=2
	s_add_co_i32 s31, s30, 0xffffff38
	s_addk_co_i32 s30, 0xff28
	s_delay_alu instid0(SALU_CYCLE_1)
	v_dual_mov_b32 v0, s31 :: v_dual_mov_b32 v1, s30
	v_dual_mov_b32 v34, v9 :: v_dual_mov_b32 v35, v9
	;; [unrolled: 1-line block ×3, first 2 shown]
	ds_load_2addr_b64 v[30:33], v0 offset1:1
	ds_load_2addr_b64 v[0:3], v1 offset1:1
	v_dual_mov_b32 v9, v8 :: v_dual_mov_b32 v11, v10
	s_mov_b32 s30, -1
	ds_store_b64 v25, v[6:7]
	s_wait_dscnt 0x2
	v_pk_mul_f32 v[34:35], v[34:35], v[32:33]
	v_pk_mul_f32 v[36:37], v[36:37], v[30:31]
	s_wait_dscnt 0x1
	v_dual_mov_b32 v38, v3 :: v_dual_mov_b32 v39, v2
	v_and_b32_e32 v29, 0x7fffffff, v1
	v_pk_fma_f32 v[40:41], v[8:9], v[32:33], v[34:35] op_sel:[0,0,1] op_sel_hi:[1,1,0]
	v_pk_fma_f32 v[8:9], v[8:9], v[32:33], v[34:35] op_sel:[0,0,1] op_sel_hi:[1,1,0] neg_lo:[0,0,1] neg_hi:[0,0,1]
	v_pk_fma_f32 v[32:33], v[10:11], v[30:31], v[36:37] op_sel:[0,0,1] op_sel_hi:[1,1,0]
	v_pk_mul_f32 v[34:35], v[6:7], v[38:39] op_sel:[1,0]
	v_pk_fma_f32 v[10:11], v[10:11], v[30:31], v[36:37] op_sel:[0,0,1] op_sel_hi:[1,1,0] neg_lo:[0,0,1] neg_hi:[0,0,1]
	s_delay_alu instid0(VALU_DEP_3) | instskip(NEXT) | instid1(VALU_DEP_1)
	v_dual_mov_b32 v9, v41 :: v_dual_mov_b32 v11, v33
	v_pk_add_f32 v[4:5], v[4:5], v[8:9] neg_lo:[0,1] neg_hi:[0,1]
	s_delay_alu instid0(VALU_DEP_4) | instskip(SKIP_2) | instid1(VALU_DEP_4)
	v_pk_fma_f32 v[8:9], v[6:7], v[2:3], v[34:35] op_sel_hi:[0,1,1]
	v_and_b32_e32 v8, 0x7fffffff, v0
	v_pk_fma_f32 v[2:3], v[6:7], v[2:3], v[34:35] neg_lo:[0,0,1] neg_hi:[0,0,1]
	v_pk_add_f32 v[4:5], v[4:5], v[10:11] neg_lo:[0,1] neg_hi:[0,1]
	s_delay_alu instid0(VALU_DEP_4) | instskip(NEXT) | instid1(VALU_DEP_4)
	v_mov_b32_e32 v3, v9
	v_cmp_ngt_f32_e32 vcc_lo, v8, v29
	s_delay_alu instid0(VALU_DEP_2)
	v_pk_add_f32 v[2:3], v[4:5], v[2:3] neg_lo:[0,1] neg_hi:[0,1]
                                        ; implicit-def: $vgpr4_vgpr5
	s_cbranch_vccz .LBB162_106
; %bb.105:                              ;   in Loop: Header=BB162_90 Depth=2
	v_div_scale_f32 v4, null, v1, v1, v0
	v_div_scale_f32 v7, vcc_lo, v0, v1, v0
	s_mov_b32 s30, 0
	v_rcp_f32_e32 v5, v4
	v_nop
	v_xor_b32_e32 v4, 0x80000000, v4
	s_delay_alu instid0(TRANS32_DEP_1) | instid1(VALU_DEP_1)
	v_fma_f32 v6, v4, v5, 1.0
	s_delay_alu instid0(VALU_DEP_1) | instskip(NEXT) | instid1(VALU_DEP_1)
	v_fmac_f32_e32 v5, v6, v5
	v_mul_f32_e32 v6, v7, v5
	s_delay_alu instid0(VALU_DEP_1) | instskip(NEXT) | instid1(VALU_DEP_1)
	v_fma_f32 v8, v4, v6, v7
	v_fmac_f32_e32 v6, v8, v5
	s_delay_alu instid0(VALU_DEP_1) | instskip(NEXT) | instid1(VALU_DEP_1)
	v_fmac_f32_e32 v7, v4, v6
	v_div_fmas_f32 v4, v7, v5, v6
	s_delay_alu instid0(VALU_DEP_1) | instskip(NEXT) | instid1(VALU_DEP_1)
	v_div_fixup_f32 v4, v4, v1, v0
	v_fma_f32 v5, v0, v4, v1
	s_delay_alu instid0(VALU_DEP_1) | instskip(NEXT) | instid1(VALU_DEP_1)
	v_div_scale_f32 v6, null, v5, v5, 1.0
	v_rcp_f32_e32 v7, v6
	v_nop
	v_xor_b32_e32 v6, 0x80000000, v6
	s_delay_alu instid0(TRANS32_DEP_1) | instid1(VALU_DEP_1)
	v_fma_f32 v8, v6, v7, 1.0
	s_delay_alu instid0(VALU_DEP_1) | instskip(SKIP_1) | instid1(VALU_DEP_1)
	v_fmac_f32_e32 v7, v8, v7
	v_div_scale_f32 v8, vcc_lo, 1.0, v5, 1.0
	v_mul_f32_e32 v9, v8, v7
	s_delay_alu instid0(VALU_DEP_1) | instskip(NEXT) | instid1(VALU_DEP_1)
	v_fma_f32 v10, v6, v9, v8
	v_fmac_f32_e32 v9, v10, v7
	s_delay_alu instid0(VALU_DEP_1) | instskip(NEXT) | instid1(VALU_DEP_1)
	v_dual_fmac_f32 v8, v6, v9 :: v_dual_mov_b32 v6, v3
	v_div_fmas_f32 v8, v8, v7, v9
	s_delay_alu instid0(VALU_DEP_2) | instskip(NEXT) | instid1(VALU_DEP_2)
	v_pk_fma_f32 v[6:7], v[4:5], v[2:3], v[6:7]
	v_div_fixup_f32 v7, v8, v5, 1.0
	s_delay_alu instid0(VALU_DEP_1) | instskip(NEXT) | instid1(VALU_DEP_1)
	v_dual_fma_f32 v5, v4, v3, -v2 :: v_dual_mov_b32 v4, v7
	v_pk_mul_f32 v[4:5], v[6:7], v[4:5]
.LBB162_106:                            ;   in Loop: Header=BB162_90 Depth=2
	s_and_not1_b32 vcc_lo, exec_lo, s30
	s_cbranch_vccnz .LBB162_108
; %bb.107:                              ;   in Loop: Header=BB162_90 Depth=2
	v_div_scale_f32 v4, null, v0, v0, v1
	v_div_scale_f32 v7, vcc_lo, v1, v0, v1
	s_delay_alu instid0(VALU_DEP_2)
	v_rcp_f32_e32 v5, v4
	v_nop
	v_xor_b32_e32 v4, 0x80000000, v4
	s_delay_alu instid0(TRANS32_DEP_1) | instid1(VALU_DEP_1)
	v_fma_f32 v6, v4, v5, 1.0
	s_delay_alu instid0(VALU_DEP_1) | instskip(NEXT) | instid1(VALU_DEP_1)
	v_fmac_f32_e32 v5, v6, v5
	v_mul_f32_e32 v6, v7, v5
	s_delay_alu instid0(VALU_DEP_1) | instskip(NEXT) | instid1(VALU_DEP_1)
	v_fma_f32 v8, v4, v6, v7
	v_fmac_f32_e32 v6, v8, v5
	s_delay_alu instid0(VALU_DEP_1) | instskip(NEXT) | instid1(VALU_DEP_1)
	v_fmac_f32_e32 v7, v4, v6
	v_div_fmas_f32 v4, v7, v5, v6
	s_delay_alu instid0(VALU_DEP_1) | instskip(NEXT) | instid1(VALU_DEP_1)
	v_div_fixup_f32 v4, v4, v0, v1
	v_fmac_f32_e32 v0, v1, v4
	s_delay_alu instid0(VALU_DEP_1) | instskip(SKIP_1) | instid1(VALU_DEP_2)
	v_div_scale_f32 v1, null, v0, v0, 1.0
	v_div_scale_f32 v7, vcc_lo, 1.0, v0, 1.0
	v_rcp_f32_e32 v5, v1
	v_nop
	v_xor_b32_e32 v1, 0x80000000, v1
	s_delay_alu instid0(TRANS32_DEP_1) | instid1(VALU_DEP_1)
	v_fma_f32 v6, v1, v5, 1.0
	s_delay_alu instid0(VALU_DEP_1) | instskip(NEXT) | instid1(VALU_DEP_1)
	v_fmac_f32_e32 v5, v6, v5
	v_mul_f32_e32 v6, v7, v5
	s_delay_alu instid0(VALU_DEP_1) | instskip(NEXT) | instid1(VALU_DEP_1)
	v_fma_f32 v8, v1, v6, v7
	v_fmac_f32_e32 v6, v8, v5
	s_delay_alu instid0(VALU_DEP_1) | instskip(NEXT) | instid1(VALU_DEP_1)
	v_fmac_f32_e32 v7, v1, v6
	v_div_fmas_f32 v1, v7, v5, v6
	v_pk_fma_f32 v[6:7], v[4:5], v[2:3], v[2:3] op_sel:[0,1,0] op_sel_hi:[0,0,1] neg_lo:[1,0,0] neg_hi:[1,0,0]
	v_pk_fma_f32 v[2:3], v[4:5], v[2:3], v[2:3] op_sel:[0,1,0] op_sel_hi:[1,0,1]
	s_delay_alu instid0(VALU_DEP_3) | instskip(NEXT) | instid1(VALU_DEP_3)
	v_div_fixup_f32 v0, v1, v0, 1.0
	v_mov_b32_e32 v3, v7
	s_delay_alu instid0(VALU_DEP_1)
	v_pk_mul_f32 v[4:5], v[2:3], v[0:1] op_sel_hi:[1,0]
.LBB162_108:                            ;   in Loop: Header=BB162_90 Depth=2
	s_add_co_i32 s30, s18, -4
	s_addk_co_i32 s3, 0xfd00
	s_cmp_lt_i32 s18, 7
	ds_store_b64 v24, v[4:5]
	s_cbranch_scc1 .LBB162_110
; %bb.109:                              ;   in Loop: Header=BB162_90 Depth=2
	s_mov_b32 s18, s30
	s_branch .LBB162_90
.LBB162_110:                            ;   in Loop: Header=BB162_3 Depth=1
	s_cmp_lt_i32 s30, 0
	s_cbranch_scc1 .LBB162_119
; %bb.111:                              ;   in Loop: Header=BB162_3 Depth=1
	s_mul_i32 s3, s30, 0xc0
	s_delay_alu instid0(SALU_CYCLE_1)
	s_add_co_i32 s3, s48, s3
	s_branch .LBB162_113
.LBB162_112:                            ;   in Loop: Header=BB162_113 Depth=2
	v_sub_co_u32 v0, s18, s30, 1
	s_and_b32 vcc_lo, exec_lo, s18
	s_addk_co_i32 s3, 0xff40
	ds_store_b64 v6, v[4:5]
	v_readfirstlane_b32 s30, v0
	s_cbranch_vccnz .LBB162_119
.LBB162_113:                            ;   Parent Loop BB162_3 Depth=1
                                        ; =>  This Loop Header: Depth=2
                                        ;       Child Loop BB162_114 Depth 3
	v_mad_u32 v6, 0xc0, s30, v26
	v_mov_b32_e32 v2, v13
	s_cmp_le_i32 s38, s30
	s_mov_b32 s18, s3
	s_mov_b32 s31, s38
	ds_load_b64 v[0:1], v6
	s_cbranch_scc1 .LBB162_115
.LBB162_114:                            ;   Parent Loop BB162_3 Depth=1
                                        ;     Parent Loop BB162_113 Depth=2
                                        ; =>    This Inner Loop Header: Depth=3
	v_mov_b32_e32 v3, s18
	s_add_co_i32 s31, s31, -1
	s_add_co_i32 s18, s18, -8
	s_cmp_le_u32 s31, s30
	ds_load_b64 v[4:5], v2
	ds_load_b64 v[8:9], v3
	v_add_nc_u32_e32 v2, 0xffffff40, v2
	s_wait_dscnt 0x0
	v_pk_mul_f32 v[10:11], v[8:9], v[4:5] op_sel:[1,1] op_sel_hi:[0,1]
	s_delay_alu instid0(VALU_DEP_1) | instskip(SKIP_1) | instid1(VALU_DEP_2)
	v_pk_fma_f32 v[24:25], v[8:9], v[4:5], v[10:11] op_sel_hi:[1,0,1]
	v_pk_fma_f32 v[4:5], v[8:9], v[4:5], v[10:11] op_sel_hi:[1,0,1] neg_lo:[0,0,1] neg_hi:[0,0,1]
	v_mov_b32_e32 v5, v25
	s_delay_alu instid0(VALU_DEP_1)
	v_pk_add_f32 v[0:1], v[0:1], v[4:5] neg_lo:[0,1] neg_hi:[0,1]
	s_cbranch_scc0 .LBB162_114
.LBB162_115:                            ;   in Loop: Header=BB162_113 Depth=2
	s_mul_i32 s18, s30, 0xc8
	s_delay_alu instid0(SALU_CYCLE_1)
	v_mov_b32_e32 v2, s18
	s_mov_b32 s18, -1
	ds_load_b64 v[2:3], v2
	s_wait_dscnt 0x0
	v_and_b32_e32 v4, 0x7fffffff, v2
	v_and_b32_e32 v5, 0x7fffffff, v3
	s_delay_alu instid0(VALU_DEP_1)
	v_cmp_ngt_f32_e32 vcc_lo, v4, v5
                                        ; implicit-def: $vgpr4_vgpr5
	s_cbranch_vccz .LBB162_117
; %bb.116:                              ;   in Loop: Header=BB162_113 Depth=2
	v_div_scale_f32 v4, null, v3, v3, v2
	v_div_scale_f32 v8, vcc_lo, v2, v3, v2
	s_mov_b32 s18, 0
	v_rcp_f32_e32 v5, v4
	v_nop
	v_xor_b32_e32 v4, 0x80000000, v4
	s_delay_alu instid0(TRANS32_DEP_1) | instid1(VALU_DEP_1)
	v_fma_f32 v7, v4, v5, 1.0
	s_delay_alu instid0(VALU_DEP_1) | instskip(NEXT) | instid1(VALU_DEP_1)
	v_fmac_f32_e32 v5, v7, v5
	v_mul_f32_e32 v7, v8, v5
	s_delay_alu instid0(VALU_DEP_1) | instskip(NEXT) | instid1(VALU_DEP_1)
	v_fma_f32 v9, v4, v7, v8
	v_fmac_f32_e32 v7, v9, v5
	s_delay_alu instid0(VALU_DEP_1) | instskip(NEXT) | instid1(VALU_DEP_1)
	v_fmac_f32_e32 v8, v4, v7
	v_div_fmas_f32 v4, v8, v5, v7
	s_delay_alu instid0(VALU_DEP_1) | instskip(NEXT) | instid1(VALU_DEP_1)
	v_div_fixup_f32 v4, v4, v3, v2
	v_fma_f32 v7, v2, v4, v3
	s_delay_alu instid0(VALU_DEP_1) | instskip(SKIP_1) | instid1(VALU_DEP_2)
	v_div_scale_f32 v5, null, v7, v7, 1.0
	v_div_scale_f32 v10, vcc_lo, 1.0, v7, 1.0
	v_rcp_f32_e32 v8, v5
	v_nop
	v_xor_b32_e32 v5, 0x80000000, v5
	s_delay_alu instid0(TRANS32_DEP_1) | instid1(VALU_DEP_1)
	v_fma_f32 v9, v5, v8, 1.0
	s_delay_alu instid0(VALU_DEP_1) | instskip(NEXT) | instid1(VALU_DEP_1)
	v_fmac_f32_e32 v8, v9, v8
	v_mul_f32_e32 v9, v10, v8
	s_delay_alu instid0(VALU_DEP_1) | instskip(NEXT) | instid1(VALU_DEP_1)
	v_fma_f32 v11, v5, v9, v10
	v_fmac_f32_e32 v9, v11, v8
	s_delay_alu instid0(VALU_DEP_1) | instskip(NEXT) | instid1(VALU_DEP_1)
	v_fmac_f32_e32 v10, v5, v9
	v_div_fmas_f32 v10, v10, v8, v9
	v_pk_fma_f32 v[8:9], v[0:1], v[4:5], v[0:1] op_sel:[0,0,1] op_sel_hi:[1,0,0] neg_lo:[0,0,1] neg_hi:[0,0,1]
	v_pk_fma_f32 v[4:5], v[0:1], v[4:5], v[0:1] op_sel:[0,0,1] op_sel_hi:[1,0,0]
	s_delay_alu instid0(VALU_DEP_3) | instskip(NEXT) | instid1(VALU_DEP_3)
	v_div_fixup_f32 v8, v10, v7, 1.0
	v_mov_b32_e32 v5, v9
	s_delay_alu instid0(VALU_DEP_1)
	v_pk_mul_f32 v[4:5], v[4:5], v[8:9] op_sel_hi:[1,0]
.LBB162_117:                            ;   in Loop: Header=BB162_113 Depth=2
	s_and_not1_b32 vcc_lo, exec_lo, s18
	s_cbranch_vccnz .LBB162_112
; %bb.118:                              ;   in Loop: Header=BB162_113 Depth=2
	v_div_scale_f32 v4, null, v2, v2, v3
	v_div_scale_f32 v8, vcc_lo, v3, v2, v3
	s_delay_alu instid0(VALU_DEP_2)
	v_rcp_f32_e32 v5, v4
	v_nop
	v_xor_b32_e32 v4, 0x80000000, v4
	s_delay_alu instid0(TRANS32_DEP_1) | instid1(VALU_DEP_1)
	v_fma_f32 v7, v4, v5, 1.0
	s_delay_alu instid0(VALU_DEP_1) | instskip(NEXT) | instid1(VALU_DEP_1)
	v_fmac_f32_e32 v5, v7, v5
	v_mul_f32_e32 v7, v8, v5
	s_delay_alu instid0(VALU_DEP_1) | instskip(NEXT) | instid1(VALU_DEP_1)
	v_fma_f32 v9, v4, v7, v8
	v_fmac_f32_e32 v7, v9, v5
	s_delay_alu instid0(VALU_DEP_1) | instskip(NEXT) | instid1(VALU_DEP_1)
	v_fmac_f32_e32 v8, v4, v7
	v_div_fmas_f32 v4, v8, v5, v7
	s_delay_alu instid0(VALU_DEP_1) | instskip(NEXT) | instid1(VALU_DEP_1)
	v_div_fixup_f32 v4, v4, v2, v3
	v_fmac_f32_e32 v2, v3, v4
	s_delay_alu instid0(VALU_DEP_1) | instskip(SKIP_1) | instid1(VALU_DEP_2)
	v_div_scale_f32 v3, null, v2, v2, 1.0
	v_div_scale_f32 v8, vcc_lo, 1.0, v2, 1.0
	v_rcp_f32_e32 v5, v3
	v_nop
	v_xor_b32_e32 v3, 0x80000000, v3
	s_delay_alu instid0(TRANS32_DEP_1) | instid1(VALU_DEP_1)
	v_fma_f32 v7, v3, v5, 1.0
	s_delay_alu instid0(VALU_DEP_1) | instskip(NEXT) | instid1(VALU_DEP_1)
	v_fmac_f32_e32 v5, v7, v5
	v_mul_f32_e32 v7, v8, v5
	s_delay_alu instid0(VALU_DEP_1) | instskip(NEXT) | instid1(VALU_DEP_1)
	v_fma_f32 v9, v3, v7, v8
	v_fmac_f32_e32 v7, v9, v5
	s_delay_alu instid0(VALU_DEP_1) | instskip(NEXT) | instid1(VALU_DEP_1)
	v_fmac_f32_e32 v8, v3, v7
	v_div_fmas_f32 v3, v8, v5, v7
	v_pk_fma_f32 v[8:9], v[0:1], v[4:5], v[0:1] op_sel:[1,0,0] op_sel_hi:[0,0,1] neg_lo:[1,0,0] neg_hi:[1,0,0]
	v_pk_fma_f32 v[0:1], v[0:1], v[4:5], v[0:1] op_sel:[1,0,0] op_sel_hi:[0,0,1]
	s_delay_alu instid0(VALU_DEP_3) | instskip(NEXT) | instid1(VALU_DEP_3)
	v_div_fixup_f32 v2, v3, v2, 1.0
	v_mov_b32_e32 v1, v9
	s_delay_alu instid0(VALU_DEP_1)
	v_pk_mul_f32 v[4:5], v[0:1], v[2:3] op_sel_hi:[1,0]
	s_branch .LBB162_112
.LBB162_119:                            ;   in Loop: Header=BB162_3 Depth=1
	s_mov_b32 s3, 0
.LBB162_120:                            ;   in Loop: Header=BB162_3 Depth=1
	s_delay_alu instid0(SALU_CYCLE_1)
	s_and_not1_b32 vcc_lo, exec_lo, s3
	s_cbranch_vccnz .LBB162_152
; %bb.121:                              ;   in Loop: Header=BB162_3 Depth=1
	s_and_not1_b32 vcc_lo, exec_lo, s42
	s_mov_b32 s30, 0
	s_cbranch_vccnz .LBB162_143
; %bb.122:                              ;   in Loop: Header=BB162_3 Depth=1
	s_mov_b32 s3, 0
	s_mov_b32 s18, 0
.LBB162_123:                            ;   Parent Loop BB162_3 Depth=1
                                        ; =>  This Loop Header: Depth=2
                                        ;       Child Loop BB162_124 Depth 3
	s_delay_alu instid0(SALU_CYCLE_1)
	s_mul_i32 s30, s18, 24
	v_mov_b32_e32 v8, v26
	v_lshl_add_u32 v29, s30, 3, v26
	s_cmp_eq_u32 s18, 0
	s_mov_b32 s31, s3
	s_mov_b32 s34, s18
	ds_load_2addr_b64 v[4:7], v29 offset1:24
	ds_load_2addr_b64 v[0:3], v29 offset0:48 offset1:72
	s_cbranch_scc1 .LBB162_125
.LBB162_124:                            ;   Parent Loop BB162_3 Depth=1
                                        ;     Parent Loop BB162_123 Depth=2
                                        ; =>    This Inner Loop Header: Depth=3
	v_mov_b32_e32 v9, s31
	s_add_co_i32 s34, s34, -1
	s_add_co_i32 s31, s31, 8
	s_cmp_eq_u32 s34, 0
	ds_load_b64 v[10:11], v8
	ds_load_2addr_b64 v[30:33], v9 offset0:48 offset1:72
	ds_load_2addr_b64 v[34:37], v9 offset1:24
	v_add_nc_u32_e32 v8, 0xc0, v8
	s_wait_dscnt 0x1
	v_pk_mul_f32 v[24:25], v[30:31], v[10:11] op_sel:[0,1]
	s_wait_dscnt 0x0
	v_dual_mul_f32 v9, v35, v11 :: v_dual_mul_f32 v40, v34, v11
	v_dual_mul_f32 v41, v37, v11 :: v_dual_mul_f32 v42, v37, v10
	v_pk_mul_f32 v[38:39], v[32:33], v[10:11] op_sel:[0,1]
	s_delay_alu instid0(VALU_DEP_3) | instskip(NEXT) | instid1(VALU_DEP_3)
	v_dual_fma_f32 v9, v34, v10, -v9 :: v_dual_fmac_f32 v40, v35, v10
	v_dual_fma_f32 v41, v36, v10, -v41 :: v_dual_fmac_f32 v42, v36, v11
	v_pk_fma_f32 v[34:35], v[30:31], v[10:11], v[24:25] op_sel:[0,0,1] op_sel_hi:[1,0,0]
	s_delay_alu instid0(VALU_DEP_4) | instskip(SKIP_2) | instid1(VALU_DEP_4)
	v_pk_fma_f32 v[36:37], v[32:33], v[10:11], v[38:39] op_sel:[0,0,1] op_sel_hi:[1,0,0]
	v_pk_fma_f32 v[24:25], v[30:31], v[10:11], v[24:25] op_sel:[0,0,1] op_sel_hi:[1,1,0] neg_lo:[0,0,1] neg_hi:[0,0,1]
	v_pk_fma_f32 v[10:11], v[32:33], v[10:11], v[38:39] op_sel:[0,0,1] op_sel_hi:[1,1,0] neg_lo:[0,0,1] neg_hi:[0,0,1]
	v_dual_sub_f32 v4, v4, v9 :: v_dual_mov_b32 v25, v35
	s_delay_alu instid0(VALU_DEP_4) | instskip(SKIP_1) | instid1(VALU_DEP_3)
	v_dual_mov_b32 v11, v37 :: v_dual_sub_f32 v6, v6, v41
	v_dual_sub_f32 v5, v5, v40 :: v_dual_sub_f32 v7, v7, v42
	v_pk_add_f32 v[0:1], v[0:1], v[24:25] neg_lo:[0,1] neg_hi:[0,1]
	s_delay_alu instid0(VALU_DEP_3)
	v_pk_add_f32 v[2:3], v[2:3], v[10:11] neg_lo:[0,1] neg_hi:[0,1]
	s_cbranch_scc0 .LBB162_124
.LBB162_125:                            ;   in Loop: Header=BB162_123 Depth=2
	s_mul_i32 s31, s18, 0xc8
                                        ; implicit-def: $vgpr25
	s_delay_alu instid0(SALU_CYCLE_1)
	v_mov_b32_e32 v8, s31
	s_mov_b32 s31, -1
	ds_load_b64 v[8:9], v8
	s_wait_dscnt 0x0
	v_and_b32_e32 v10, 0x7fffffff, v8
	v_and_b32_e32 v11, 0x7fffffff, v9
	s_delay_alu instid0(VALU_DEP_1)
	v_cmp_ngt_f32_e32 vcc_lo, v10, v11
	s_cbranch_vccz .LBB162_127
; %bb.126:                              ;   in Loop: Header=BB162_123 Depth=2
	v_div_scale_f32 v10, null, v9, v9, v8
	v_div_scale_f32 v25, vcc_lo, v8, v9, v8
	s_mov_b32 s31, 0
	v_rcp_f32_e32 v11, v10
	v_nop
	v_xor_b32_e32 v10, 0x80000000, v10
	s_delay_alu instid0(TRANS32_DEP_1) | instid1(VALU_DEP_1)
	v_fma_f32 v24, v10, v11, 1.0
	s_delay_alu instid0(VALU_DEP_1) | instskip(NEXT) | instid1(VALU_DEP_1)
	v_fmac_f32_e32 v11, v24, v11
	v_mul_f32_e32 v24, v25, v11
	s_delay_alu instid0(VALU_DEP_1) | instskip(NEXT) | instid1(VALU_DEP_1)
	v_fma_f32 v30, v10, v24, v25
	v_fmac_f32_e32 v24, v30, v11
	s_delay_alu instid0(VALU_DEP_1) | instskip(NEXT) | instid1(VALU_DEP_1)
	v_fmac_f32_e32 v25, v10, v24
	v_div_fmas_f32 v10, v25, v11, v24
	s_delay_alu instid0(VALU_DEP_1) | instskip(NEXT) | instid1(VALU_DEP_1)
	v_div_fixup_f32 v10, v10, v9, v8
	v_fma_f32 v11, v8, v10, v9
	s_delay_alu instid0(VALU_DEP_1) | instskip(SKIP_1) | instid1(VALU_DEP_2)
	v_div_scale_f32 v24, null, v11, v11, 1.0
	v_div_scale_f32 v31, vcc_lo, 1.0, v11, 1.0
	v_rcp_f32_e32 v25, v24
	v_nop
	v_xor_b32_e32 v24, 0x80000000, v24
	s_delay_alu instid0(TRANS32_DEP_1) | instid1(VALU_DEP_1)
	v_fma_f32 v30, v24, v25, 1.0
	s_delay_alu instid0(VALU_DEP_1) | instskip(NEXT) | instid1(VALU_DEP_1)
	v_fmac_f32_e32 v25, v30, v25
	v_mul_f32_e32 v30, v31, v25
	s_delay_alu instid0(VALU_DEP_1) | instskip(NEXT) | instid1(VALU_DEP_1)
	v_fma_f32 v32, v24, v30, v31
	v_fmac_f32_e32 v30, v32, v25
	s_delay_alu instid0(VALU_DEP_1) | instskip(NEXT) | instid1(VALU_DEP_1)
	v_fmac_f32_e32 v31, v24, v30
	v_div_fmas_f32 v24, v31, v25, v30
	v_dual_fma_f32 v25, v4, v10, v5 :: v_dual_fma_f32 v10, v5, v10, -v4
	s_delay_alu instid0(VALU_DEP_2) | instskip(NEXT) | instid1(VALU_DEP_1)
	v_div_fixup_f32 v11, v24, v11, 1.0
	v_dual_mul_f32 v24, v25, v11 :: v_dual_mul_f32 v25, v10, v11
.LBB162_127:                            ;   in Loop: Header=BB162_123 Depth=2
	s_and_not1_b32 vcc_lo, exec_lo, s31
	s_cbranch_vccnz .LBB162_129
; %bb.128:                              ;   in Loop: Header=BB162_123 Depth=2
	v_div_scale_f32 v10, null, v8, v8, v9
	v_div_scale_f32 v25, vcc_lo, v9, v8, v9
	s_delay_alu instid0(VALU_DEP_2)
	v_rcp_f32_e32 v11, v10
	v_nop
	v_xor_b32_e32 v10, 0x80000000, v10
	s_delay_alu instid0(TRANS32_DEP_1) | instid1(VALU_DEP_1)
	v_fma_f32 v24, v10, v11, 1.0
	s_delay_alu instid0(VALU_DEP_1) | instskip(NEXT) | instid1(VALU_DEP_1)
	v_fmac_f32_e32 v11, v24, v11
	v_mul_f32_e32 v24, v25, v11
	s_delay_alu instid0(VALU_DEP_1) | instskip(NEXT) | instid1(VALU_DEP_1)
	v_fma_f32 v30, v10, v24, v25
	v_fmac_f32_e32 v24, v30, v11
	s_delay_alu instid0(VALU_DEP_1) | instskip(NEXT) | instid1(VALU_DEP_1)
	v_fmac_f32_e32 v25, v10, v24
	v_div_fmas_f32 v10, v25, v11, v24
	s_delay_alu instid0(VALU_DEP_1) | instskip(NEXT) | instid1(VALU_DEP_1)
	v_div_fixup_f32 v10, v10, v8, v9
	v_fmac_f32_e32 v8, v9, v10
	s_delay_alu instid0(VALU_DEP_1) | instskip(SKIP_1) | instid1(VALU_DEP_2)
	v_div_scale_f32 v9, null, v8, v8, 1.0
	v_div_scale_f32 v25, vcc_lo, 1.0, v8, 1.0
	v_rcp_f32_e32 v11, v9
	v_nop
	v_xor_b32_e32 v9, 0x80000000, v9
	s_delay_alu instid0(TRANS32_DEP_1) | instid1(VALU_DEP_1)
	v_fma_f32 v24, v9, v11, 1.0
	s_delay_alu instid0(VALU_DEP_1) | instskip(NEXT) | instid1(VALU_DEP_1)
	v_fmac_f32_e32 v11, v24, v11
	v_mul_f32_e32 v24, v25, v11
	s_delay_alu instid0(VALU_DEP_1) | instskip(NEXT) | instid1(VALU_DEP_1)
	v_fma_f32 v30, v9, v24, v25
	v_fmac_f32_e32 v24, v30, v11
	s_delay_alu instid0(VALU_DEP_1) | instskip(NEXT) | instid1(VALU_DEP_1)
	v_fmac_f32_e32 v25, v9, v24
	v_div_fmas_f32 v9, v25, v11, v24
	v_dual_fma_f32 v11, v5, v10, v4 :: v_dual_fma_f32 v4, -v4, v10, v5
	s_delay_alu instid0(VALU_DEP_2) | instskip(NEXT) | instid1(VALU_DEP_1)
	v_div_fixup_f32 v8, v9, v8, 1.0
	v_dual_mul_f32 v24, v11, v8 :: v_dual_mul_f32 v25, v4, v8
.LBB162_129:                            ;   in Loop: Header=BB162_123 Depth=2
	s_lshl_b32 s31, s30, 3
	s_lshl_b32 s30, s18, 3
	s_addk_co_i32 s31, 0xc0
	ds_store_b64 v29, v[24:25]
	s_add_co_i32 s34, s31, s30
	s_delay_alu instid0(SALU_CYCLE_1)
	v_mov_b32_e32 v4, s34
	s_mov_b32 s34, -1
	ds_load_b128 v[8:11], v4
	s_wait_dscnt 0x0
	v_dual_mul_f32 v5, v24, v9 :: v_dual_mul_f32 v4, v25, v9
	v_and_b32_e32 v9, 0x7fffffff, v10
	v_and_b32_e32 v30, 0x7fffffff, v11
	s_delay_alu instid0(VALU_DEP_3) | instskip(NEXT) | instid1(VALU_DEP_2)
	v_dual_fmac_f32 v5, v25, v8 :: v_dual_fma_f32 v4, v24, v8, -v4
	v_cmp_ngt_f32_e32 vcc_lo, v9, v30
                                        ; implicit-def: $vgpr9
	s_delay_alu instid0(VALU_DEP_2)
	v_dual_sub_f32 v5, v7, v5 :: v_dual_sub_f32 v4, v6, v4
	s_cbranch_vccz .LBB162_131
; %bb.130:                              ;   in Loop: Header=BB162_123 Depth=2
	v_div_scale_f32 v6, null, v11, v11, v10
	v_div_scale_f32 v9, vcc_lo, v10, v11, v10
	s_mov_b32 s34, 0
	v_rcp_f32_e32 v7, v6
	v_nop
	v_xor_b32_e32 v6, 0x80000000, v6
	s_delay_alu instid0(TRANS32_DEP_1) | instid1(VALU_DEP_1)
	v_fma_f32 v8, v6, v7, 1.0
	s_delay_alu instid0(VALU_DEP_1) | instskip(NEXT) | instid1(VALU_DEP_1)
	v_fmac_f32_e32 v7, v8, v7
	v_mul_f32_e32 v8, v9, v7
	s_delay_alu instid0(VALU_DEP_1) | instskip(NEXT) | instid1(VALU_DEP_1)
	v_fma_f32 v30, v6, v8, v9
	v_fmac_f32_e32 v8, v30, v7
	s_delay_alu instid0(VALU_DEP_1) | instskip(NEXT) | instid1(VALU_DEP_1)
	v_fmac_f32_e32 v9, v6, v8
	v_div_fmas_f32 v6, v9, v7, v8
	s_delay_alu instid0(VALU_DEP_1) | instskip(NEXT) | instid1(VALU_DEP_1)
	v_div_fixup_f32 v6, v6, v11, v10
	v_fma_f32 v7, v10, v6, v11
	s_delay_alu instid0(VALU_DEP_1) | instskip(SKIP_1) | instid1(VALU_DEP_2)
	v_div_scale_f32 v8, null, v7, v7, 1.0
	v_div_scale_f32 v31, vcc_lo, 1.0, v7, 1.0
	v_rcp_f32_e32 v9, v8
	v_nop
	v_xor_b32_e32 v8, 0x80000000, v8
	s_delay_alu instid0(TRANS32_DEP_1) | instid1(VALU_DEP_1)
	v_fma_f32 v30, v8, v9, 1.0
	s_delay_alu instid0(VALU_DEP_1) | instskip(NEXT) | instid1(VALU_DEP_1)
	v_fmac_f32_e32 v9, v30, v9
	v_mul_f32_e32 v30, v31, v9
	s_delay_alu instid0(VALU_DEP_1) | instskip(NEXT) | instid1(VALU_DEP_1)
	v_fma_f32 v32, v8, v30, v31
	v_fmac_f32_e32 v30, v32, v9
	s_delay_alu instid0(VALU_DEP_1) | instskip(NEXT) | instid1(VALU_DEP_1)
	v_fmac_f32_e32 v31, v8, v30
	v_div_fmas_f32 v8, v31, v9, v30
	v_dual_fma_f32 v9, v6, v4, v5 :: v_dual_fma_f32 v6, v6, v5, -v4
	s_delay_alu instid0(VALU_DEP_2) | instskip(NEXT) | instid1(VALU_DEP_1)
	v_div_fixup_f32 v7, v8, v7, 1.0
	v_dual_mul_f32 v8, v9, v7 :: v_dual_mul_f32 v9, v6, v7
.LBB162_131:                            ;   in Loop: Header=BB162_123 Depth=2
	s_and_not1_b32 vcc_lo, exec_lo, s34
	s_cbranch_vccnz .LBB162_133
; %bb.132:                              ;   in Loop: Header=BB162_123 Depth=2
	v_div_scale_f32 v6, null, v10, v10, v11
	v_div_scale_f32 v9, vcc_lo, v11, v10, v11
	s_delay_alu instid0(VALU_DEP_2)
	v_rcp_f32_e32 v7, v6
	v_nop
	v_xor_b32_e32 v6, 0x80000000, v6
	s_delay_alu instid0(TRANS32_DEP_1) | instid1(VALU_DEP_1)
	v_fma_f32 v8, v6, v7, 1.0
	s_delay_alu instid0(VALU_DEP_1) | instskip(NEXT) | instid1(VALU_DEP_1)
	v_fmac_f32_e32 v7, v8, v7
	v_mul_f32_e32 v8, v9, v7
	s_delay_alu instid0(VALU_DEP_1) | instskip(NEXT) | instid1(VALU_DEP_1)
	v_fma_f32 v30, v6, v8, v9
	v_fmac_f32_e32 v8, v30, v7
	s_delay_alu instid0(VALU_DEP_1) | instskip(NEXT) | instid1(VALU_DEP_1)
	v_fmac_f32_e32 v9, v6, v8
	v_div_fmas_f32 v6, v9, v7, v8
	s_delay_alu instid0(VALU_DEP_1) | instskip(NEXT) | instid1(VALU_DEP_1)
	v_div_fixup_f32 v6, v6, v10, v11
	v_fmac_f32_e32 v10, v11, v6
	s_delay_alu instid0(VALU_DEP_1) | instskip(SKIP_1) | instid1(VALU_DEP_2)
	v_div_scale_f32 v7, null, v10, v10, 1.0
	v_div_scale_f32 v11, vcc_lo, 1.0, v10, 1.0
	v_rcp_f32_e32 v8, v7
	v_nop
	v_xor_b32_e32 v7, 0x80000000, v7
	s_delay_alu instid0(TRANS32_DEP_1) | instid1(VALU_DEP_1)
	v_fma_f32 v9, v7, v8, 1.0
	s_delay_alu instid0(VALU_DEP_1) | instskip(NEXT) | instid1(VALU_DEP_1)
	v_fmac_f32_e32 v8, v9, v8
	v_mul_f32_e32 v9, v11, v8
	s_delay_alu instid0(VALU_DEP_1) | instskip(NEXT) | instid1(VALU_DEP_1)
	v_fma_f32 v30, v7, v9, v11
	v_fmac_f32_e32 v9, v30, v8
	s_delay_alu instid0(VALU_DEP_1) | instskip(NEXT) | instid1(VALU_DEP_1)
	v_fmac_f32_e32 v11, v7, v9
	v_div_fmas_f32 v7, v11, v8, v9
	v_dual_fma_f32 v8, v6, v5, v4 :: v_dual_fma_f32 v4, -v6, v4, v5
	s_delay_alu instid0(VALU_DEP_2) | instskip(NEXT) | instid1(VALU_DEP_1)
	v_div_fixup_f32 v7, v7, v10, 1.0
	v_mul_f32_e32 v8, v8, v7
	s_delay_alu instid0(VALU_DEP_3)
	v_mul_f32_e32 v9, v4, v7
.LBB162_133:                            ;   in Loop: Header=BB162_123 Depth=2
	s_addk_co_i32 s31, 0xc0
	v_mov_b32_e32 v6, v25
	s_add_co_i32 s30, s31, s30
	s_mov_b32 s31, -1
	v_mov_b32_e32 v4, s30
	ds_load_b128 v[30:33], v4
	ds_load_b64 v[4:5], v4 offset:16
	ds_store_b64 v29, v[8:9] offset:192
	s_wait_dscnt 0x2
	v_pk_mul_f32 v[6:7], v[6:7], v[30:31] op_sel_hi:[0,1]
	s_delay_alu instid0(VALU_DEP_1)
	v_pk_fma_f32 v[34:35], v[24:25], v[30:31], v[6:7] op_sel:[0,0,1] op_sel_hi:[0,1,0]
	v_mov_b32_e32 v10, v9
	v_pk_fma_f32 v[6:7], v[24:25], v[30:31], v[6:7] op_sel:[0,0,1] op_sel_hi:[1,1,0] neg_lo:[0,0,1] neg_hi:[0,0,1]
	s_wait_dscnt 0x1
	v_and_b32_e32 v34, 0x7fffffff, v5
	v_mov_b32_e32 v7, v35
	v_pk_mul_f32 v[10:11], v[10:11], v[32:33] op_sel_hi:[0,1]
	s_delay_alu instid0(VALU_DEP_2) | instskip(NEXT) | instid1(VALU_DEP_2)
	v_pk_add_f32 v[0:1], v[0:1], v[6:7] neg_lo:[0,1] neg_hi:[0,1]
	v_pk_fma_f32 v[30:31], v[8:9], v[32:33], v[10:11] op_sel:[0,0,1] op_sel_hi:[0,1,0]
	v_and_b32_e32 v30, 0x7fffffff, v4
	v_pk_fma_f32 v[10:11], v[8:9], v[32:33], v[10:11] op_sel:[0,0,1] op_sel_hi:[1,1,0] neg_lo:[0,0,1] neg_hi:[0,0,1]
	s_delay_alu instid0(VALU_DEP_3) | instskip(NEXT) | instid1(VALU_DEP_3)
	v_mov_b32_e32 v11, v31
	v_cmp_ngt_f32_e32 vcc_lo, v30, v34
	s_delay_alu instid0(VALU_DEP_2)
	v_pk_add_f32 v[0:1], v[0:1], v[10:11] neg_lo:[0,1] neg_hi:[0,1]
                                        ; implicit-def: $vgpr10_vgpr11
	s_cbranch_vccz .LBB162_135
; %bb.134:                              ;   in Loop: Header=BB162_123 Depth=2
	v_div_scale_f32 v6, null, v5, v5, v4
	v_div_scale_f32 v11, vcc_lo, v4, v5, v4
	s_mov_b32 s31, 0
	v_rcp_f32_e32 v7, v6
	v_nop
	v_xor_b32_e32 v6, 0x80000000, v6
	s_delay_alu instid0(TRANS32_DEP_1) | instid1(VALU_DEP_1)
	v_fma_f32 v10, v6, v7, 1.0
	s_delay_alu instid0(VALU_DEP_1) | instskip(NEXT) | instid1(VALU_DEP_1)
	v_fmac_f32_e32 v7, v10, v7
	v_mul_f32_e32 v10, v11, v7
	s_delay_alu instid0(VALU_DEP_1) | instskip(NEXT) | instid1(VALU_DEP_1)
	v_fma_f32 v30, v6, v10, v11
	v_fmac_f32_e32 v10, v30, v7
	s_delay_alu instid0(VALU_DEP_1) | instskip(NEXT) | instid1(VALU_DEP_1)
	v_fmac_f32_e32 v11, v6, v10
	v_div_fmas_f32 v6, v11, v7, v10
	s_delay_alu instid0(VALU_DEP_1) | instskip(NEXT) | instid1(VALU_DEP_1)
	v_div_fixup_f32 v6, v6, v5, v4
	v_fma_f32 v7, v4, v6, v5
	s_delay_alu instid0(VALU_DEP_1) | instskip(NEXT) | instid1(VALU_DEP_1)
	v_div_scale_f32 v10, null, v7, v7, 1.0
	v_rcp_f32_e32 v11, v10
	v_nop
	v_xor_b32_e32 v10, 0x80000000, v10
	s_delay_alu instid0(TRANS32_DEP_1) | instid1(VALU_DEP_1)
	v_fma_f32 v30, v10, v11, 1.0
	s_delay_alu instid0(VALU_DEP_1) | instskip(SKIP_1) | instid1(VALU_DEP_1)
	v_fmac_f32_e32 v11, v30, v11
	v_div_scale_f32 v30, vcc_lo, 1.0, v7, 1.0
	v_mul_f32_e32 v31, v30, v11
	s_delay_alu instid0(VALU_DEP_1) | instskip(NEXT) | instid1(VALU_DEP_1)
	v_fma_f32 v32, v10, v31, v30
	v_fmac_f32_e32 v31, v32, v11
	s_delay_alu instid0(VALU_DEP_1) | instskip(NEXT) | instid1(VALU_DEP_1)
	v_dual_fmac_f32 v30, v10, v31 :: v_dual_mov_b32 v10, v1
	v_div_fmas_f32 v30, v30, v11, v31
	s_delay_alu instid0(VALU_DEP_2) | instskip(NEXT) | instid1(VALU_DEP_2)
	v_pk_fma_f32 v[10:11], v[6:7], v[0:1], v[10:11]
	v_div_fixup_f32 v11, v30, v7, 1.0
	s_delay_alu instid0(VALU_DEP_1) | instskip(NEXT) | instid1(VALU_DEP_1)
	v_dual_fma_f32 v7, v6, v1, -v0 :: v_dual_mov_b32 v6, v11
	v_pk_mul_f32 v[10:11], v[10:11], v[6:7]
.LBB162_135:                            ;   in Loop: Header=BB162_123 Depth=2
	s_and_not1_b32 vcc_lo, exec_lo, s31
	s_cbranch_vccnz .LBB162_137
; %bb.136:                              ;   in Loop: Header=BB162_123 Depth=2
	v_div_scale_f32 v6, null, v4, v4, v5
	v_div_scale_f32 v11, vcc_lo, v5, v4, v5
	s_delay_alu instid0(VALU_DEP_2)
	v_rcp_f32_e32 v7, v6
	v_nop
	v_xor_b32_e32 v6, 0x80000000, v6
	s_delay_alu instid0(TRANS32_DEP_1) | instid1(VALU_DEP_1)
	v_fma_f32 v10, v6, v7, 1.0
	s_delay_alu instid0(VALU_DEP_1) | instskip(NEXT) | instid1(VALU_DEP_1)
	v_fmac_f32_e32 v7, v10, v7
	v_mul_f32_e32 v10, v11, v7
	s_delay_alu instid0(VALU_DEP_1) | instskip(NEXT) | instid1(VALU_DEP_1)
	v_fma_f32 v30, v6, v10, v11
	v_fmac_f32_e32 v10, v30, v7
	s_delay_alu instid0(VALU_DEP_1) | instskip(NEXT) | instid1(VALU_DEP_1)
	v_fmac_f32_e32 v11, v6, v10
	v_div_fmas_f32 v6, v11, v7, v10
	s_delay_alu instid0(VALU_DEP_1) | instskip(NEXT) | instid1(VALU_DEP_1)
	v_div_fixup_f32 v6, v6, v4, v5
	v_fmac_f32_e32 v4, v5, v6
	s_delay_alu instid0(VALU_DEP_1) | instskip(SKIP_1) | instid1(VALU_DEP_2)
	v_div_scale_f32 v5, null, v4, v4, 1.0
	v_div_scale_f32 v11, vcc_lo, 1.0, v4, 1.0
	v_rcp_f32_e32 v7, v5
	v_nop
	v_xor_b32_e32 v5, 0x80000000, v5
	s_delay_alu instid0(TRANS32_DEP_1) | instid1(VALU_DEP_1)
	v_fma_f32 v10, v5, v7, 1.0
	s_delay_alu instid0(VALU_DEP_1) | instskip(NEXT) | instid1(VALU_DEP_1)
	v_fmac_f32_e32 v7, v10, v7
	v_mul_f32_e32 v10, v11, v7
	s_delay_alu instid0(VALU_DEP_1) | instskip(NEXT) | instid1(VALU_DEP_1)
	v_fma_f32 v30, v5, v10, v11
	v_fmac_f32_e32 v10, v30, v7
	s_delay_alu instid0(VALU_DEP_1) | instskip(NEXT) | instid1(VALU_DEP_1)
	v_fmac_f32_e32 v11, v5, v10
	v_div_fmas_f32 v5, v11, v7, v10
	v_pk_fma_f32 v[10:11], v[6:7], v[0:1], v[0:1] op_sel:[0,1,0] op_sel_hi:[0,0,1] neg_lo:[1,0,0] neg_hi:[1,0,0]
	v_pk_fma_f32 v[0:1], v[6:7], v[0:1], v[0:1] op_sel:[0,1,0] op_sel_hi:[1,0,1]
	s_delay_alu instid0(VALU_DEP_3) | instskip(NEXT) | instid1(VALU_DEP_3)
	v_div_fixup_f32 v4, v5, v4, 1.0
	v_mov_b32_e32 v1, v11
	s_delay_alu instid0(VALU_DEP_1)
	v_pk_mul_f32 v[10:11], v[0:1], v[4:5] op_sel_hi:[1,0]
.LBB162_137:                            ;   in Loop: Header=BB162_123 Depth=2
	v_dual_mov_b32 v0, s30 :: v_dual_mov_b32 v1, v25
	v_dual_mov_b32 v34, v9 :: v_dual_mov_b32 v35, v9
	s_mov_b32 s30, -1
	ds_load_b128 v[30:33], v0 offset:192
	ds_load_b128 v[4:7], v0 offset:208
	v_dual_mov_b32 v0, v25 :: v_dual_mov_b32 v25, v24
	ds_store_b64 v29, v[10:11] offset:384
	s_wait_dscnt 0x2
	v_pk_mul_f32 v[0:1], v[0:1], v[30:31]
	v_pk_mul_f32 v[34:35], v[34:35], v[32:33]
	s_delay_alu instid0(VALU_DEP_2)
	v_pk_fma_f32 v[36:37], v[24:25], v[30:31], v[0:1] op_sel:[0,0,1] op_sel_hi:[1,1,0]
	v_mov_b32_e32 v9, v8
	v_pk_fma_f32 v[0:1], v[24:25], v[30:31], v[0:1] op_sel:[0,0,1] op_sel_hi:[1,1,0] neg_lo:[0,0,1] neg_hi:[0,0,1]
	s_wait_dscnt 0x1
	v_pk_mul_f32 v[30:31], v[10:11], v[4:5] op_sel:[1,1] op_sel_hi:[1,0]
	v_mov_b32_e32 v1, v37
	v_pk_fma_f32 v[24:25], v[8:9], v[32:33], v[34:35] op_sel:[0,0,1] op_sel_hi:[1,1,0]
	v_pk_fma_f32 v[8:9], v[8:9], v[32:33], v[34:35] op_sel:[0,0,1] op_sel_hi:[1,1,0] neg_lo:[0,0,1] neg_hi:[0,0,1]
	v_and_b32_e32 v24, 0x7fffffff, v7
	s_delay_alu instid0(VALU_DEP_4) | instskip(SKIP_4) | instid1(VALU_DEP_4)
	v_pk_add_f32 v[0:1], v[2:3], v[0:1] neg_lo:[0,1] neg_hi:[0,1]
	v_pk_fma_f32 v[2:3], v[10:11], v[4:5], v[30:31] op_sel_hi:[0,1,1]
	v_mov_b32_e32 v9, v25
	v_and_b32_e32 v2, 0x7fffffff, v6
	v_pk_fma_f32 v[4:5], v[10:11], v[4:5], v[30:31] neg_lo:[0,0,1] neg_hi:[0,0,1]
	v_mov_b32_e32 v5, v3
	s_delay_alu instid0(VALU_DEP_4) | instskip(NEXT) | instid1(VALU_DEP_4)
	v_pk_add_f32 v[0:1], v[0:1], v[8:9] neg_lo:[0,1] neg_hi:[0,1]
	v_cmp_ngt_f32_e32 vcc_lo, v2, v24
                                        ; implicit-def: $vgpr2_vgpr3
	s_delay_alu instid0(VALU_DEP_2)
	v_pk_add_f32 v[0:1], v[0:1], v[4:5] neg_lo:[0,1] neg_hi:[0,1]
	s_cbranch_vccz .LBB162_139
; %bb.138:                              ;   in Loop: Header=BB162_123 Depth=2
	v_div_scale_f32 v2, null, v7, v7, v6
	v_div_scale_f32 v5, vcc_lo, v6, v7, v6
	s_mov_b32 s30, 0
	v_rcp_f32_e32 v3, v2
	v_nop
	v_xor_b32_e32 v2, 0x80000000, v2
	s_delay_alu instid0(TRANS32_DEP_1) | instid1(VALU_DEP_1)
	v_fma_f32 v4, v2, v3, 1.0
	s_delay_alu instid0(VALU_DEP_1) | instskip(NEXT) | instid1(VALU_DEP_1)
	v_fmac_f32_e32 v3, v4, v3
	v_mul_f32_e32 v4, v5, v3
	s_delay_alu instid0(VALU_DEP_1) | instskip(NEXT) | instid1(VALU_DEP_1)
	v_fma_f32 v8, v2, v4, v5
	v_fmac_f32_e32 v4, v8, v3
	s_delay_alu instid0(VALU_DEP_1) | instskip(NEXT) | instid1(VALU_DEP_1)
	v_fmac_f32_e32 v5, v2, v4
	v_div_fmas_f32 v2, v5, v3, v4
	s_delay_alu instid0(VALU_DEP_1) | instskip(NEXT) | instid1(VALU_DEP_1)
	v_div_fixup_f32 v2, v2, v7, v6
	v_fma_f32 v3, v6, v2, v7
	s_delay_alu instid0(VALU_DEP_1) | instskip(NEXT) | instid1(VALU_DEP_1)
	v_div_scale_f32 v4, null, v3, v3, 1.0
	v_rcp_f32_e32 v5, v4
	v_nop
	v_xor_b32_e32 v4, 0x80000000, v4
	s_delay_alu instid0(TRANS32_DEP_1) | instid1(VALU_DEP_1)
	v_fma_f32 v8, v4, v5, 1.0
	s_delay_alu instid0(VALU_DEP_1) | instskip(SKIP_1) | instid1(VALU_DEP_1)
	v_fmac_f32_e32 v5, v8, v5
	v_div_scale_f32 v8, vcc_lo, 1.0, v3, 1.0
	v_mul_f32_e32 v9, v8, v5
	s_delay_alu instid0(VALU_DEP_1) | instskip(NEXT) | instid1(VALU_DEP_1)
	v_fma_f32 v10, v4, v9, v8
	v_fmac_f32_e32 v9, v10, v5
	s_delay_alu instid0(VALU_DEP_1) | instskip(NEXT) | instid1(VALU_DEP_1)
	v_dual_fmac_f32 v8, v4, v9 :: v_dual_mov_b32 v4, v1
	v_div_fmas_f32 v8, v8, v5, v9
	s_delay_alu instid0(VALU_DEP_2) | instskip(NEXT) | instid1(VALU_DEP_2)
	v_pk_fma_f32 v[4:5], v[2:3], v[0:1], v[4:5]
	v_div_fixup_f32 v5, v8, v3, 1.0
	s_delay_alu instid0(VALU_DEP_1) | instskip(NEXT) | instid1(VALU_DEP_1)
	v_dual_fma_f32 v3, v2, v1, -v0 :: v_dual_mov_b32 v2, v5
	v_pk_mul_f32 v[2:3], v[4:5], v[2:3]
.LBB162_139:                            ;   in Loop: Header=BB162_123 Depth=2
	s_and_not1_b32 vcc_lo, exec_lo, s30
	s_cbranch_vccnz .LBB162_141
; %bb.140:                              ;   in Loop: Header=BB162_123 Depth=2
	v_div_scale_f32 v2, null, v6, v6, v7
	v_div_scale_f32 v5, vcc_lo, v7, v6, v7
	s_delay_alu instid0(VALU_DEP_2)
	v_rcp_f32_e32 v3, v2
	v_nop
	v_xor_b32_e32 v2, 0x80000000, v2
	s_delay_alu instid0(TRANS32_DEP_1) | instid1(VALU_DEP_1)
	v_fma_f32 v4, v2, v3, 1.0
	s_delay_alu instid0(VALU_DEP_1) | instskip(NEXT) | instid1(VALU_DEP_1)
	v_fmac_f32_e32 v3, v4, v3
	v_mul_f32_e32 v4, v5, v3
	s_delay_alu instid0(VALU_DEP_1) | instskip(NEXT) | instid1(VALU_DEP_1)
	v_fma_f32 v8, v2, v4, v5
	v_fmac_f32_e32 v4, v8, v3
	s_delay_alu instid0(VALU_DEP_1) | instskip(NEXT) | instid1(VALU_DEP_1)
	v_fmac_f32_e32 v5, v2, v4
	v_div_fmas_f32 v2, v5, v3, v4
	s_delay_alu instid0(VALU_DEP_1) | instskip(NEXT) | instid1(VALU_DEP_1)
	v_div_fixup_f32 v2, v2, v6, v7
	v_fmac_f32_e32 v6, v7, v2
	s_delay_alu instid0(VALU_DEP_1) | instskip(SKIP_1) | instid1(VALU_DEP_2)
	v_div_scale_f32 v3, null, v6, v6, 1.0
	v_div_scale_f32 v7, vcc_lo, 1.0, v6, 1.0
	v_rcp_f32_e32 v4, v3
	v_nop
	v_xor_b32_e32 v3, 0x80000000, v3
	s_delay_alu instid0(TRANS32_DEP_1) | instid1(VALU_DEP_1)
	v_fma_f32 v5, v3, v4, 1.0
	s_delay_alu instid0(VALU_DEP_1) | instskip(NEXT) | instid1(VALU_DEP_1)
	v_fmac_f32_e32 v4, v5, v4
	v_mul_f32_e32 v5, v7, v4
	s_delay_alu instid0(VALU_DEP_1) | instskip(NEXT) | instid1(VALU_DEP_1)
	v_fma_f32 v8, v3, v5, v7
	v_fmac_f32_e32 v5, v8, v4
	s_delay_alu instid0(VALU_DEP_1) | instskip(NEXT) | instid1(VALU_DEP_1)
	v_fmac_f32_e32 v7, v3, v5
	v_div_fmas_f32 v3, v7, v4, v5
	s_delay_alu instid0(VALU_DEP_1) | instskip(SKIP_2) | instid1(VALU_DEP_3)
	v_pk_fma_f32 v[4:5], v[2:3], v[0:1], v[0:1] op_sel:[0,1,0] op_sel_hi:[0,0,1] neg_lo:[1,0,0] neg_hi:[1,0,0]
	v_pk_fma_f32 v[0:1], v[2:3], v[0:1], v[0:1] op_sel:[0,1,0] op_sel_hi:[1,0,1]
	v_div_fixup_f32 v2, v3, v6, 1.0
	v_mov_b32_e32 v1, v5
	s_delay_alu instid0(VALU_DEP_1)
	v_pk_mul_f32 v[2:3], v[0:1], v[2:3] op_sel_hi:[1,0]
.LBB162_141:                            ;   in Loop: Header=BB162_123 Depth=2
	s_add_co_i32 s30, s18, 4
	s_add_co_i32 s18, s18, 7
	s_addk_co_i32 s3, 0x300
	s_cmp_ge_i32 s18, s37
	ds_store_b64 v29, v[2:3] offset:576
	s_cbranch_scc1 .LBB162_143
; %bb.142:                              ;   in Loop: Header=BB162_123 Depth=2
	s_mov_b32 s18, s30
	s_branch .LBB162_123
.LBB162_143:                            ;   in Loop: Header=BB162_3 Depth=1
	s_cmp_ge_i32 s30, s37
	s_cbranch_scc1 .LBB162_152
; %bb.144:                              ;   in Loop: Header=BB162_3 Depth=1
	s_mul_i32 s3, s30, 0xc0
	s_branch .LBB162_146
.LBB162_145:                            ;   in Loop: Header=BB162_146 Depth=2
	s_add_co_i32 s30, s30, 1
	s_addk_co_i32 s3, 0xc0
	s_cmp_ge_i32 s30, s37
	ds_store_b64 v6, v[4:5]
	s_cbranch_scc1 .LBB162_152
.LBB162_146:                            ;   Parent Loop BB162_3 Depth=1
                                        ; =>  This Loop Header: Depth=2
                                        ;       Child Loop BB162_147 Depth 3
	v_mad_u32 v6, 0xc0, s30, v26
	v_mov_b32_e32 v2, v26
	s_cmp_eq_u32 s30, 0
	s_mov_b32 s18, s3
	s_mov_b32 s31, s30
	ds_load_b64 v[0:1], v6
	s_cbranch_scc1 .LBB162_148
.LBB162_147:                            ;   Parent Loop BB162_3 Depth=1
                                        ;     Parent Loop BB162_146 Depth=2
                                        ; =>    This Inner Loop Header: Depth=3
	v_mov_b32_e32 v3, s18
	s_add_co_i32 s31, s31, -1
	s_add_co_i32 s18, s18, 8
	s_cmp_eq_u32 s31, 0
	ds_load_b64 v[4:5], v2
	ds_load_b64 v[8:9], v3
	v_add_nc_u32_e32 v2, 0xc0, v2
	s_wait_dscnt 0x0
	v_pk_mul_f32 v[10:11], v[8:9], v[4:5] op_sel:[1,1] op_sel_hi:[0,1]
	s_delay_alu instid0(VALU_DEP_1) | instskip(SKIP_1) | instid1(VALU_DEP_2)
	v_pk_fma_f32 v[24:25], v[8:9], v[4:5], v[10:11] op_sel_hi:[1,0,1]
	v_pk_fma_f32 v[4:5], v[8:9], v[4:5], v[10:11] op_sel_hi:[1,0,1] neg_lo:[0,0,1] neg_hi:[0,0,1]
	v_mov_b32_e32 v5, v25
	s_delay_alu instid0(VALU_DEP_1)
	v_pk_add_f32 v[0:1], v[0:1], v[4:5] neg_lo:[0,1] neg_hi:[0,1]
	s_cbranch_scc0 .LBB162_147
.LBB162_148:                            ;   in Loop: Header=BB162_146 Depth=2
	s_mul_i32 s18, s30, 0xc8
	s_delay_alu instid0(SALU_CYCLE_1)
	v_mov_b32_e32 v2, s18
	s_mov_b32 s18, -1
	ds_load_b64 v[2:3], v2
	s_wait_dscnt 0x0
	v_and_b32_e32 v4, 0x7fffffff, v2
	v_and_b32_e32 v5, 0x7fffffff, v3
	s_delay_alu instid0(VALU_DEP_1)
	v_cmp_ngt_f32_e32 vcc_lo, v4, v5
                                        ; implicit-def: $vgpr4_vgpr5
	s_cbranch_vccz .LBB162_150
; %bb.149:                              ;   in Loop: Header=BB162_146 Depth=2
	v_div_scale_f32 v4, null, v3, v3, v2
	v_div_scale_f32 v8, vcc_lo, v2, v3, v2
	s_mov_b32 s18, 0
	v_rcp_f32_e32 v5, v4
	v_nop
	v_xor_b32_e32 v4, 0x80000000, v4
	s_delay_alu instid0(TRANS32_DEP_1) | instid1(VALU_DEP_1)
	v_fma_f32 v7, v4, v5, 1.0
	s_delay_alu instid0(VALU_DEP_1) | instskip(NEXT) | instid1(VALU_DEP_1)
	v_fmac_f32_e32 v5, v7, v5
	v_mul_f32_e32 v7, v8, v5
	s_delay_alu instid0(VALU_DEP_1) | instskip(NEXT) | instid1(VALU_DEP_1)
	v_fma_f32 v9, v4, v7, v8
	v_fmac_f32_e32 v7, v9, v5
	s_delay_alu instid0(VALU_DEP_1) | instskip(NEXT) | instid1(VALU_DEP_1)
	v_fmac_f32_e32 v8, v4, v7
	v_div_fmas_f32 v4, v8, v5, v7
	s_delay_alu instid0(VALU_DEP_1) | instskip(NEXT) | instid1(VALU_DEP_1)
	v_div_fixup_f32 v4, v4, v3, v2
	v_fma_f32 v7, v2, v4, v3
	s_delay_alu instid0(VALU_DEP_1) | instskip(SKIP_1) | instid1(VALU_DEP_2)
	v_div_scale_f32 v5, null, v7, v7, 1.0
	v_div_scale_f32 v10, vcc_lo, 1.0, v7, 1.0
	v_rcp_f32_e32 v8, v5
	v_nop
	v_xor_b32_e32 v5, 0x80000000, v5
	s_delay_alu instid0(TRANS32_DEP_1) | instid1(VALU_DEP_1)
	v_fma_f32 v9, v5, v8, 1.0
	s_delay_alu instid0(VALU_DEP_1) | instskip(NEXT) | instid1(VALU_DEP_1)
	v_fmac_f32_e32 v8, v9, v8
	v_mul_f32_e32 v9, v10, v8
	s_delay_alu instid0(VALU_DEP_1) | instskip(NEXT) | instid1(VALU_DEP_1)
	v_fma_f32 v11, v5, v9, v10
	v_fmac_f32_e32 v9, v11, v8
	s_delay_alu instid0(VALU_DEP_1) | instskip(NEXT) | instid1(VALU_DEP_1)
	v_fmac_f32_e32 v10, v5, v9
	v_div_fmas_f32 v10, v10, v8, v9
	v_pk_fma_f32 v[8:9], v[0:1], v[4:5], v[0:1] op_sel:[0,0,1] op_sel_hi:[1,0,0] neg_lo:[0,0,1] neg_hi:[0,0,1]
	v_pk_fma_f32 v[4:5], v[0:1], v[4:5], v[0:1] op_sel:[0,0,1] op_sel_hi:[1,0,0]
	s_delay_alu instid0(VALU_DEP_3) | instskip(NEXT) | instid1(VALU_DEP_3)
	v_div_fixup_f32 v8, v10, v7, 1.0
	v_mov_b32_e32 v5, v9
	s_delay_alu instid0(VALU_DEP_1)
	v_pk_mul_f32 v[4:5], v[4:5], v[8:9] op_sel_hi:[1,0]
.LBB162_150:                            ;   in Loop: Header=BB162_146 Depth=2
	s_and_not1_b32 vcc_lo, exec_lo, s18
	s_cbranch_vccnz .LBB162_145
; %bb.151:                              ;   in Loop: Header=BB162_146 Depth=2
	v_div_scale_f32 v4, null, v2, v2, v3
	v_div_scale_f32 v8, vcc_lo, v3, v2, v3
	s_delay_alu instid0(VALU_DEP_2)
	v_rcp_f32_e32 v5, v4
	v_nop
	v_xor_b32_e32 v4, 0x80000000, v4
	s_delay_alu instid0(TRANS32_DEP_1) | instid1(VALU_DEP_1)
	v_fma_f32 v7, v4, v5, 1.0
	s_delay_alu instid0(VALU_DEP_1) | instskip(NEXT) | instid1(VALU_DEP_1)
	v_fmac_f32_e32 v5, v7, v5
	v_mul_f32_e32 v7, v8, v5
	s_delay_alu instid0(VALU_DEP_1) | instskip(NEXT) | instid1(VALU_DEP_1)
	v_fma_f32 v9, v4, v7, v8
	v_fmac_f32_e32 v7, v9, v5
	s_delay_alu instid0(VALU_DEP_1) | instskip(NEXT) | instid1(VALU_DEP_1)
	v_fmac_f32_e32 v8, v4, v7
	v_div_fmas_f32 v4, v8, v5, v7
	s_delay_alu instid0(VALU_DEP_1) | instskip(NEXT) | instid1(VALU_DEP_1)
	v_div_fixup_f32 v4, v4, v2, v3
	v_fmac_f32_e32 v2, v3, v4
	s_delay_alu instid0(VALU_DEP_1) | instskip(SKIP_1) | instid1(VALU_DEP_2)
	v_div_scale_f32 v3, null, v2, v2, 1.0
	v_div_scale_f32 v8, vcc_lo, 1.0, v2, 1.0
	v_rcp_f32_e32 v5, v3
	v_nop
	v_xor_b32_e32 v3, 0x80000000, v3
	s_delay_alu instid0(TRANS32_DEP_1) | instid1(VALU_DEP_1)
	v_fma_f32 v7, v3, v5, 1.0
	s_delay_alu instid0(VALU_DEP_1) | instskip(NEXT) | instid1(VALU_DEP_1)
	v_fmac_f32_e32 v5, v7, v5
	v_mul_f32_e32 v7, v8, v5
	s_delay_alu instid0(VALU_DEP_1) | instskip(NEXT) | instid1(VALU_DEP_1)
	v_fma_f32 v9, v3, v7, v8
	v_fmac_f32_e32 v7, v9, v5
	s_delay_alu instid0(VALU_DEP_1) | instskip(NEXT) | instid1(VALU_DEP_1)
	v_fmac_f32_e32 v8, v3, v7
	v_div_fmas_f32 v3, v8, v5, v7
	v_pk_fma_f32 v[8:9], v[0:1], v[4:5], v[0:1] op_sel:[1,0,0] op_sel_hi:[0,0,1] neg_lo:[1,0,0] neg_hi:[1,0,0]
	v_pk_fma_f32 v[0:1], v[0:1], v[4:5], v[0:1] op_sel:[1,0,0] op_sel_hi:[0,0,1]
	s_delay_alu instid0(VALU_DEP_3) | instskip(NEXT) | instid1(VALU_DEP_3)
	v_div_fixup_f32 v2, v3, v2, 1.0
	v_mov_b32_e32 v1, v9
	s_delay_alu instid0(VALU_DEP_1)
	v_pk_mul_f32 v[4:5], v[0:1], v[2:3] op_sel_hi:[1,0]
	s_branch .LBB162_145
.LBB162_152:                            ;   in Loop: Header=BB162_3 Depth=1
	s_and_saveexec_b32 s3, s43
	s_cbranch_execz .LBB162_2
; %bb.153:                              ;   in Loop: Header=BB162_3 Depth=1
	v_add_nc_u64_e32 v[0:1], s[28:29], v[16:17]
	v_mov_b32_e32 v2, v26
	s_mov_b32 s18, s16
.LBB162_154:                            ;   Parent Loop BB162_3 Depth=1
                                        ; =>  This Inner Loop Header: Depth=2
	ds_load_b64 v[4:5], v2
	v_add_nc_u32_e32 v2, 0xc0, v2
	s_add_co_i32 s18, s18, -1
	s_delay_alu instid0(SALU_CYCLE_1)
	s_cmp_lg_u32 s18, 0
	s_wait_dscnt 0x0
	global_store_b64 v[0:1], v[4:5], off
	s_wait_xcnt 0x0
	v_add_nc_u64_e32 v[0:1], s[10:11], v[0:1]
	s_cbranch_scc1 .LBB162_154
	s_branch .LBB162_2
.LBB162_155:
	s_endpgm
	.section	.rodata,"a",@progbits
	.p2align	6, 0x0
	.amdhsa_kernel _ZL31rocblas_trsm_small_right_deviceI19rocblas_complex_numIfES1_PKS1_PS1_Li24EEv13rocblas_fill_18rocblas_operation_17rocblas_diagonal_iiT0_T1_lilT2_lili
		.amdhsa_group_segment_fixed_size 9216
		.amdhsa_private_segment_fixed_size 0
		.amdhsa_kernarg_size 360
		.amdhsa_user_sgpr_count 2
		.amdhsa_user_sgpr_dispatch_ptr 0
		.amdhsa_user_sgpr_queue_ptr 0
		.amdhsa_user_sgpr_kernarg_segment_ptr 1
		.amdhsa_user_sgpr_dispatch_id 0
		.amdhsa_user_sgpr_kernarg_preload_length 0
		.amdhsa_user_sgpr_kernarg_preload_offset 0
		.amdhsa_user_sgpr_private_segment_size 0
		.amdhsa_wavefront_size32 1
		.amdhsa_uses_dynamic_stack 0
		.amdhsa_enable_private_segment 0
		.amdhsa_system_sgpr_workgroup_id_x 1
		.amdhsa_system_sgpr_workgroup_id_y 0
		.amdhsa_system_sgpr_workgroup_id_z 1
		.amdhsa_system_sgpr_workgroup_info 0
		.amdhsa_system_vgpr_workitem_id 0
		.amdhsa_next_free_vgpr 97
		.amdhsa_next_free_sgpr 53
		.amdhsa_named_barrier_count 0
		.amdhsa_reserve_vcc 1
		.amdhsa_float_round_mode_32 0
		.amdhsa_float_round_mode_16_64 0
		.amdhsa_float_denorm_mode_32 3
		.amdhsa_float_denorm_mode_16_64 3
		.amdhsa_fp16_overflow 0
		.amdhsa_memory_ordered 1
		.amdhsa_forward_progress 1
		.amdhsa_inst_pref_size 126
		.amdhsa_round_robin_scheduling 0
		.amdhsa_exception_fp_ieee_invalid_op 0
		.amdhsa_exception_fp_denorm_src 0
		.amdhsa_exception_fp_ieee_div_zero 0
		.amdhsa_exception_fp_ieee_overflow 0
		.amdhsa_exception_fp_ieee_underflow 0
		.amdhsa_exception_fp_ieee_inexact 0
		.amdhsa_exception_int_div_zero 0
	.end_amdhsa_kernel
	.section	.text._ZL31rocblas_trsm_small_right_deviceI19rocblas_complex_numIfES1_PKS1_PS1_Li24EEv13rocblas_fill_18rocblas_operation_17rocblas_diagonal_iiT0_T1_lilT2_lili,"axG",@progbits,_ZL31rocblas_trsm_small_right_deviceI19rocblas_complex_numIfES1_PKS1_PS1_Li24EEv13rocblas_fill_18rocblas_operation_17rocblas_diagonal_iiT0_T1_lilT2_lili,comdat
.Lfunc_end162:
	.size	_ZL31rocblas_trsm_small_right_deviceI19rocblas_complex_numIfES1_PKS1_PS1_Li24EEv13rocblas_fill_18rocblas_operation_17rocblas_diagonal_iiT0_T1_lilT2_lili, .Lfunc_end162-_ZL31rocblas_trsm_small_right_deviceI19rocblas_complex_numIfES1_PKS1_PS1_Li24EEv13rocblas_fill_18rocblas_operation_17rocblas_diagonal_iiT0_T1_lilT2_lili
                                        ; -- End function
	.set _ZL31rocblas_trsm_small_right_deviceI19rocblas_complex_numIfES1_PKS1_PS1_Li24EEv13rocblas_fill_18rocblas_operation_17rocblas_diagonal_iiT0_T1_lilT2_lili.num_vgpr, 46
	.set _ZL31rocblas_trsm_small_right_deviceI19rocblas_complex_numIfES1_PKS1_PS1_Li24EEv13rocblas_fill_18rocblas_operation_17rocblas_diagonal_iiT0_T1_lilT2_lili.num_agpr, 0
	.set _ZL31rocblas_trsm_small_right_deviceI19rocblas_complex_numIfES1_PKS1_PS1_Li24EEv13rocblas_fill_18rocblas_operation_17rocblas_diagonal_iiT0_T1_lilT2_lili.numbered_sgpr, 53
	.set _ZL31rocblas_trsm_small_right_deviceI19rocblas_complex_numIfES1_PKS1_PS1_Li24EEv13rocblas_fill_18rocblas_operation_17rocblas_diagonal_iiT0_T1_lilT2_lili.num_named_barrier, 0
	.set _ZL31rocblas_trsm_small_right_deviceI19rocblas_complex_numIfES1_PKS1_PS1_Li24EEv13rocblas_fill_18rocblas_operation_17rocblas_diagonal_iiT0_T1_lilT2_lili.private_seg_size, 0
	.set _ZL31rocblas_trsm_small_right_deviceI19rocblas_complex_numIfES1_PKS1_PS1_Li24EEv13rocblas_fill_18rocblas_operation_17rocblas_diagonal_iiT0_T1_lilT2_lili.uses_vcc, 1
	.set _ZL31rocblas_trsm_small_right_deviceI19rocblas_complex_numIfES1_PKS1_PS1_Li24EEv13rocblas_fill_18rocblas_operation_17rocblas_diagonal_iiT0_T1_lilT2_lili.uses_flat_scratch, 0
	.set _ZL31rocblas_trsm_small_right_deviceI19rocblas_complex_numIfES1_PKS1_PS1_Li24EEv13rocblas_fill_18rocblas_operation_17rocblas_diagonal_iiT0_T1_lilT2_lili.has_dyn_sized_stack, 0
	.set _ZL31rocblas_trsm_small_right_deviceI19rocblas_complex_numIfES1_PKS1_PS1_Li24EEv13rocblas_fill_18rocblas_operation_17rocblas_diagonal_iiT0_T1_lilT2_lili.has_recursion, 0
	.set _ZL31rocblas_trsm_small_right_deviceI19rocblas_complex_numIfES1_PKS1_PS1_Li24EEv13rocblas_fill_18rocblas_operation_17rocblas_diagonal_iiT0_T1_lilT2_lili.has_indirect_call, 0
	.section	.AMDGPU.csdata,"",@progbits
; Kernel info:
; codeLenInByte = 16096
; TotalNumSgprs: 55
; NumVgprs: 46
; ScratchSize: 0
; MemoryBound: 0
; FloatMode: 240
; IeeeMode: 1
; LDSByteSize: 9216 bytes/workgroup (compile time only)
; SGPRBlocks: 0
; VGPRBlocks: 6
; NumSGPRsForWavesPerEU: 55
; NumVGPRsForWavesPerEU: 97
; NamedBarCnt: 0
; Occupancy: 9
; WaveLimiterHint : 0
; COMPUTE_PGM_RSRC2:SCRATCH_EN: 0
; COMPUTE_PGM_RSRC2:USER_SGPR: 2
; COMPUTE_PGM_RSRC2:TRAP_HANDLER: 0
; COMPUTE_PGM_RSRC2:TGID_X_EN: 1
; COMPUTE_PGM_RSRC2:TGID_Y_EN: 0
; COMPUTE_PGM_RSRC2:TGID_Z_EN: 1
; COMPUTE_PGM_RSRC2:TIDIG_COMP_CNT: 0
	.section	.text._ZL38rocblas_trsm_small_left_device_sharedBILi28ELi28ELb0E19rocblas_complex_numIfES1_PKS1_PS1_Ev13rocblas_fill_18rocblas_operation_17rocblas_diagonal_iiT3_T4_lilT5_lili,"axG",@progbits,_ZL38rocblas_trsm_small_left_device_sharedBILi28ELi28ELb0E19rocblas_complex_numIfES1_PKS1_PS1_Ev13rocblas_fill_18rocblas_operation_17rocblas_diagonal_iiT3_T4_lilT5_lili,comdat
	.globl	_ZL38rocblas_trsm_small_left_device_sharedBILi28ELi28ELb0E19rocblas_complex_numIfES1_PKS1_PS1_Ev13rocblas_fill_18rocblas_operation_17rocblas_diagonal_iiT3_T4_lilT5_lili ; -- Begin function _ZL38rocblas_trsm_small_left_device_sharedBILi28ELi28ELb0E19rocblas_complex_numIfES1_PKS1_PS1_Ev13rocblas_fill_18rocblas_operation_17rocblas_diagonal_iiT3_T4_lilT5_lili
	.p2align	8
	.type	_ZL38rocblas_trsm_small_left_device_sharedBILi28ELi28ELb0E19rocblas_complex_numIfES1_PKS1_PS1_Ev13rocblas_fill_18rocblas_operation_17rocblas_diagonal_iiT3_T4_lilT5_lili,@function
_ZL38rocblas_trsm_small_left_device_sharedBILi28ELi28ELb0E19rocblas_complex_numIfES1_PKS1_PS1_Ev13rocblas_fill_18rocblas_operation_17rocblas_diagonal_iiT3_T4_lilT5_lili: ; @_ZL38rocblas_trsm_small_left_device_sharedBILi28ELi28ELb0E19rocblas_complex_numIfES1_PKS1_PS1_Ev13rocblas_fill_18rocblas_operation_17rocblas_diagonal_iiT3_T4_lilT5_lili
; %bb.0:
	s_load_b32 s30, s[0:1], 0x60
	s_bfe_u32 s2, ttmp6, 0x40014
	s_lshr_b32 s4, ttmp7, 16
	s_add_co_i32 s2, s2, 1
	s_bfe_u32 s5, ttmp6, 0x40008
	s_mul_i32 s2, s4, s2
	s_getreg_b32 s3, hwreg(HW_REG_IB_STS2, 6, 4)
	s_add_co_i32 s5, s5, s2
	s_cmp_eq_u32 s3, 0
	s_mov_b32 s19, 0
	s_cselect_b32 s2, s4, s5
	s_wait_kmcnt 0x0
	s_cmp_ge_u32 s2, s30
	s_cbranch_scc1 .LBB163_86
; %bb.1:
	s_clause 0x7
	s_load_b32 s24, s[0:1], 0x30
	s_load_b96 s[16:18], s[0:1], 0x48
	s_load_b128 s[4:7], s[0:1], 0x4
	s_load_b32 s26, s[0:1], 0x68
	s_load_b128 s[12:15], s[0:1], 0x20
	s_load_b128 s[8:11], s[0:1], 0x38
	s_load_b64 s[20:21], s[0:1], 0x58
	s_load_b64 s[22:23], s[0:1], 0x14
	v_dual_mov_b32 v1, 0 :: v_dual_lshlrev_b32 v2, 3, v0
	v_mul_u32_u24_e32 v6, 0xe0, v0
	v_mov_b64_e32 v[4:5], 0xbf80000000000000
	v_mov_b64_e32 v[12:13], 0x3f800000
	s_delay_alu instid0(VALU_DEP_4) | instskip(NEXT) | instid1(VALU_DEP_4)
	v_dual_mov_b32 v3, v1 :: v_dual_add_nc_u32 v22, 0x1880, v2
	v_add_nc_u32_e32 v23, v2, v6
	s_wait_kmcnt 0x0
	s_ashr_i32 s25, s24, 31
	s_ashr_i32 s27, s18, 31
	s_cmp_lg_u32 s4, 0x71
	s_cselect_b32 s1, -1, 0
	s_bfe_u32 s0, ttmp6, 0x4000c
	s_lshl_b64 s[28:29], s[16:17], 3
	s_add_co_i32 s0, s0, 1
	s_min_i32 s31, s6, 28
	s_and_b32 s16, ttmp6, 15
	s_mul_i32 s0, ttmp9, s0
	s_add_co_i32 s26, s26, -1
	s_add_co_i32 s33, s31, -1
	s_add_co_i32 s16, s16, s0
	s_cmp_eq_u32 s3, 0
	s_add_nc_u64 s[10:11], s[10:11], s[28:29]
	s_cselect_b32 s0, ttmp9, s16
	s_mul_i32 s41, s31, 0xe0
	s_mul_i32 s3, s0, 0xffffffe4
	;; [unrolled: 1-line block ×3, first 2 shown]
	s_add_co_i32 s3, s7, s3
	s_cmp_ge_u32 s0, s26
	s_mov_b32 s26, s18
	s_cselect_b32 s0, s3, 28
	s_ashr_i32 s35, s34, 31
	v_mul_u64_e32 v[8:9], s[26:27], v[0:1]
	v_lshl_add_u64 v[10:11], s[34:35], 3, v[2:3]
	s_mul_u64 s[28:29], s[26:27], s[34:35]
	v_cmp_gt_i32_e32 vcc_lo, s0, v0
	s_lshl_b64 s[28:29], s[28:29], 3
	s_cmp_lg_u32 s5, 0x84
	v_mad_nc_u64_u32 v[6:7], v10, s18, s[10:11]
	s_cselect_b32 s34, -1, 0
	s_cmp_gt_i32 s6, 0
	s_mov_b32 s16, s22
	s_cselect_b32 s0, -1, 0
	s_cmp_lg_u32 s4, 0x6f
	s_mov_b32 s17, s22
	s_cselect_b32 s35, -1, 0
	s_and_b32 s36, vcc_lo, s0
	s_cmp_gt_i32 s6, 1
	v_cmp_gt_i32_e64 s0, s31, v0
	v_mad_u32 v1, v11, s18, v7
	s_cselect_b32 s37, -1, 0
	s_and_b32 s38, s31, 30
	s_mov_b32 s4, s23
	s_cmp_lg_u32 s31, s38
	s_mov_b32 s5, s23
	s_cselect_b32 s39, -1, 0
	s_lshl_b64 s[14:15], s[14:15], 3
	s_mov_b32 s6, s23
	s_add_nc_u64 s[12:13], s[12:13], s[14:15]
	s_mov_b32 s7, s22
	v_mad_u32 v7, v10, s27, v1
	v_add_nc_u64_e32 v[10:11], s[12:13], v[2:3]
	s_add_nc_u64 s[10:11], s[10:11], s[28:29]
	s_lshl_b64 s[8:9], s[8:9], 3
	s_lshl_b64 s[12:13], s[24:25], 3
	;; [unrolled: 1-line block ×3, first 2 shown]
	s_or_b32 s40, 0, 8
	s_addk_co_i32 s41, 0xff20
	v_add_nc_u64_e32 v[0:1], 4, v[10:11]
	s_get_pc_i64 s[24:25]
	s_add_nc_u64 s[24:25], s[24:25], __const._ZL38rocblas_trsm_small_left_device_sharedBILi28ELi28ELb0E19rocblas_complex_numIfES1_PKS1_PS1_Ev13rocblas_fill_18rocblas_operation_17rocblas_diagonal_iiT3_T4_lilT5_lili.step_sizes@rel64+4
	v_add_nc_u64_e32 v[10:11], 4, v[6:7]
	s_branch .LBB163_3
.LBB163_2:                              ;   in Loop: Header=BB163_3 Depth=1
	s_or_b32 exec_lo, exec_lo, s3
	s_add_co_i32 s2, s2, 0x10000
	s_delay_alu instid0(SALU_CYCLE_1)
	s_cmp_lt_u32 s2, s30
	s_cbranch_scc0 .LBB163_86
.LBB163_3:                              ; =>This Loop Header: Depth=1
                                        ;     Child Loop BB163_6 Depth 2
                                        ;     Child Loop BB163_21 Depth 2
	;; [unrolled: 1-line block ×4, first 2 shown]
                                        ;       Child Loop BB163_32 Depth 3
                                        ;         Child Loop BB163_33 Depth 4
                                        ;         Child Loop BB163_37 Depth 4
                                        ;           Child Loop BB163_39 Depth 5
                                        ;           Child Loop BB163_45 Depth 5
                                        ;         Child Loop BB163_48 Depth 4
                                        ;           Child Loop BB163_50 Depth 5
                                        ;     Child Loop BB163_58 Depth 2
                                        ;       Child Loop BB163_61 Depth 3
                                        ;         Child Loop BB163_62 Depth 4
                                        ;         Child Loop BB163_66 Depth 4
                                        ;           Child Loop BB163_68 Depth 5
                                        ;           Child Loop BB163_74 Depth 5
                                        ;         Child Loop BB163_77 Depth 4
                                        ;           Child Loop BB163_79 Depth 5
                                        ;     Child Loop BB163_85 Depth 2
	s_mov_b32 s3, s19
	s_and_saveexec_b32 s18, s0
	s_cbranch_execz .LBB163_18
; %bb.4:                                ;   in Loop: Header=BB163_3 Depth=1
	v_mad_nc_u64_u32 v[14:15], s8, s2, v[0:1]
	v_mov_b32_e32 v3, v2
	s_mov_b32 s26, s31
	s_delay_alu instid0(VALU_DEP_2)
	v_mad_u32 v15, s9, s2, v15
	s_branch .LBB163_6
.LBB163_5:                              ;   in Loop: Header=BB163_6 Depth=2
	global_load_b32 v16, v[14:15], off offset:-4
	s_wait_xcnt 0x0
	v_add_nc_u64_e32 v[14:15], s[12:13], v[14:15]
	s_add_co_i32 s26, s26, -1
	s_delay_alu instid0(SALU_CYCLE_1)
	s_cmp_eq_u32 s26, 0
	s_wait_loadcnt 0x0
	ds_store_b64 v3, v[16:17]
	v_add_nc_u32_e32 v3, 0xe0, v3
	s_cbranch_scc1 .LBB163_10
.LBB163_6:                              ;   Parent Loop BB163_3 Depth=1
                                        ; =>  This Inner Loop Header: Depth=2
	s_and_b32 vcc_lo, exec_lo, s1
	s_mov_b32 s27, -1
                                        ; implicit-def: $vgpr17
	s_cbranch_vccz .LBB163_8
; %bb.7:                                ;   in Loop: Header=BB163_6 Depth=2
	global_load_b32 v17, v[14:15], off
	s_mov_b32 s27, 0
.LBB163_8:                              ;   in Loop: Header=BB163_6 Depth=2
	s_delay_alu instid0(SALU_CYCLE_1)
	s_and_not1_b32 vcc_lo, exec_lo, s27
	s_cbranch_vccnz .LBB163_5
; %bb.9:                                ;   in Loop: Header=BB163_6 Depth=2
	global_load_b32 v16, v[14:15], off
	s_wait_loadcnt 0x0
	v_xor_b32_e32 v17, 0x80000000, v16
	s_branch .LBB163_5
.LBB163_10:                             ;   in Loop: Header=BB163_3 Depth=1
	s_and_b32 vcc_lo, exec_lo, s34
	s_mov_b32 s26, -1
	s_cbranch_vccz .LBB163_16
; %bb.11:                               ;   in Loop: Header=BB163_3 Depth=1
	ds_load_b64 v[14:15], v23
                                        ; implicit-def: $vgpr16_vgpr17
	s_wait_dscnt 0x0
	v_cmp_ngt_f32_e64 s26, |v14|, |v15|
	s_and_saveexec_b32 s27, s26
	s_delay_alu instid0(SALU_CYCLE_1)
	s_xor_b32 s26, exec_lo, s27
	s_cbranch_execz .LBB163_13
; %bb.12:                               ;   in Loop: Header=BB163_3 Depth=1
	v_div_scale_f32 v3, null, v15, v15, v14
	v_div_scale_f32 v18, vcc_lo, v14, v15, v14
	s_delay_alu instid0(VALU_DEP_2) | instskip(SKIP_1) | instid1(TRANS32_DEP_1)
	v_rcp_f32_e32 v16, v3
	v_nop
	v_fma_f32 v17, -v3, v16, 1.0
	s_delay_alu instid0(VALU_DEP_1) | instskip(NEXT) | instid1(VALU_DEP_1)
	v_fmac_f32_e32 v16, v17, v16
	v_mul_f32_e32 v17, v18, v16
	s_delay_alu instid0(VALU_DEP_1) | instskip(NEXT) | instid1(VALU_DEP_1)
	v_fma_f32 v19, -v3, v17, v18
	v_fmac_f32_e32 v17, v19, v16
	s_delay_alu instid0(VALU_DEP_1) | instskip(NEXT) | instid1(VALU_DEP_1)
	v_fma_f32 v3, -v3, v17, v18
	v_div_fmas_f32 v3, v3, v16, v17
	s_delay_alu instid0(VALU_DEP_1) | instskip(NEXT) | instid1(VALU_DEP_1)
	v_div_fixup_f32 v16, v3, v15, v14
	v_fmac_f32_e32 v15, v14, v16
	s_delay_alu instid0(VALU_DEP_1) | instskip(SKIP_1) | instid1(VALU_DEP_2)
	v_div_scale_f32 v3, null, v15, v15, 1.0
	v_div_scale_f32 v18, vcc_lo, 1.0, v15, 1.0
	v_rcp_f32_e32 v14, v3
	v_nop
	s_delay_alu instid0(TRANS32_DEP_1) | instskip(NEXT) | instid1(VALU_DEP_1)
	v_fma_f32 v17, -v3, v14, 1.0
	v_fmac_f32_e32 v14, v17, v14
	s_delay_alu instid0(VALU_DEP_1) | instskip(NEXT) | instid1(VALU_DEP_1)
	v_mul_f32_e32 v17, v18, v14
	v_fma_f32 v19, -v3, v17, v18
	s_delay_alu instid0(VALU_DEP_1) | instskip(NEXT) | instid1(VALU_DEP_1)
	v_fmac_f32_e32 v17, v19, v14
	v_fma_f32 v3, -v3, v17, v18
	s_delay_alu instid0(VALU_DEP_1) | instskip(SKIP_1) | instid1(VALU_DEP_2)
	v_div_fmas_f32 v3, v3, v14, v17
	v_mul_f32_e32 v17, 0, v16
	v_div_fixup_f32 v14, v3, v15, 1.0
	s_delay_alu instid0(VALU_DEP_2) | instskip(NEXT) | instid1(VALU_DEP_1)
	v_pk_add_f32 v[16:17], v[16:17], v[4:5]
	v_pk_mul_f32 v[16:17], v[16:17], v[14:15] op_sel_hi:[1,0]
                                        ; implicit-def: $vgpr14_vgpr15
.LBB163_13:                             ;   in Loop: Header=BB163_3 Depth=1
	s_and_not1_saveexec_b32 s26, s26
	s_cbranch_execz .LBB163_15
; %bb.14:                               ;   in Loop: Header=BB163_3 Depth=1
	v_div_scale_f32 v3, null, v14, v14, v15
	v_div_scale_f32 v18, vcc_lo, v15, v14, v15
	s_delay_alu instid0(VALU_DEP_2) | instskip(SKIP_1) | instid1(TRANS32_DEP_1)
	v_rcp_f32_e32 v16, v3
	v_nop
	v_fma_f32 v17, -v3, v16, 1.0
	s_delay_alu instid0(VALU_DEP_1) | instskip(NEXT) | instid1(VALU_DEP_1)
	v_fmac_f32_e32 v16, v17, v16
	v_mul_f32_e32 v17, v18, v16
	s_delay_alu instid0(VALU_DEP_1) | instskip(NEXT) | instid1(VALU_DEP_1)
	v_fma_f32 v19, -v3, v17, v18
	v_fmac_f32_e32 v17, v19, v16
	s_delay_alu instid0(VALU_DEP_1) | instskip(NEXT) | instid1(VALU_DEP_1)
	v_fma_f32 v3, -v3, v17, v18
	v_div_fmas_f32 v3, v3, v16, v17
	s_delay_alu instid0(VALU_DEP_1) | instskip(NEXT) | instid1(VALU_DEP_1)
	v_div_fixup_f32 v3, v3, v14, v15
	v_fmac_f32_e32 v14, v15, v3
	s_delay_alu instid0(VALU_DEP_1) | instskip(SKIP_1) | instid1(VALU_DEP_2)
	v_div_scale_f32 v15, null, v14, v14, 1.0
	v_div_scale_f32 v18, vcc_lo, 1.0, v14, 1.0
	v_rcp_f32_e32 v16, v15
	v_nop
	s_delay_alu instid0(TRANS32_DEP_1) | instskip(NEXT) | instid1(VALU_DEP_1)
	v_fma_f32 v17, -v15, v16, 1.0
	v_fmac_f32_e32 v16, v17, v16
	s_delay_alu instid0(VALU_DEP_1) | instskip(NEXT) | instid1(VALU_DEP_1)
	v_mul_f32_e32 v17, v18, v16
	v_fma_f32 v19, -v15, v17, v18
	s_delay_alu instid0(VALU_DEP_1) | instskip(NEXT) | instid1(VALU_DEP_1)
	v_fmac_f32_e32 v17, v19, v16
	v_dual_fma_f32 v15, -v15, v17, v18 :: v_dual_mul_f32 v18, 0, v3
	s_delay_alu instid0(VALU_DEP_1) | instskip(NEXT) | instid1(VALU_DEP_2)
	v_div_fmas_f32 v15, v15, v16, v17
	v_dual_add_f32 v16, 1.0, v18 :: v_dual_sub_f32 v17, 0, v3
	s_delay_alu instid0(VALU_DEP_2) | instskip(NEXT) | instid1(VALU_DEP_1)
	v_div_fixup_f32 v14, v15, v14, 1.0
	v_pk_mul_f32 v[16:17], v[16:17], v[14:15] op_sel_hi:[1,0]
.LBB163_15:                             ;   in Loop: Header=BB163_3 Depth=1
	s_or_b32 exec_lo, exec_lo, s26
	s_mov_b32 s26, 0
	ds_store_b64 v23, v[16:17]
.LBB163_16:                             ;   in Loop: Header=BB163_3 Depth=1
	s_and_b32 vcc_lo, exec_lo, s26
	s_cbranch_vccz .LBB163_18
; %bb.17:                               ;   in Loop: Header=BB163_3 Depth=1
	ds_store_b64 v23, v[12:13]
.LBB163_18:                             ;   in Loop: Header=BB163_3 Depth=1
	s_or_b32 exec_lo, exec_lo, s18
	s_mul_u64 s[26:27], s[14:15], s[2:3]
	s_and_saveexec_b32 s42, s36
	s_cbranch_execz .LBB163_26
; %bb.19:                               ;   in Loop: Header=BB163_3 Depth=1
	s_and_not1_b32 vcc_lo, exec_lo, s37
	s_cbranch_vccnz .LBB163_23
; %bb.20:                               ;   in Loop: Header=BB163_3 Depth=1
	s_mul_u64 s[28:29], s[20:21], s[2:3]
	s_mov_b32 s18, 0
	s_lshl_b64 s[28:29], s[28:29], 3
	s_mov_b32 s3, s38
	s_add_nc_u64 s[28:29], s[10:11], s[28:29]
	s_delay_alu instid0(SALU_CYCLE_1)
	v_lshl_add_u64 v[14:15], v[8:9], 3, s[28:29]
	s_mov_b32 s28, 1
.LBB163_21:                             ;   Parent Loop BB163_3 Depth=1
                                        ; =>  This Inner Loop Header: Depth=2
	s_mov_b32 s29, s19
	s_delay_alu instid0(VALU_DEP_1)
	v_lshl_add_u64 v[16:17], s[18:19], 3, v[14:15]
	v_lshl_add_u64 v[18:19], s[28:29], 3, v[14:15]
	v_mad_u32 v3, 0xe0, s18, v22
	v_mad_u32 v28, 0xe0, s28, v22
	s_add_co_i32 s3, s3, -2
	s_clause 0x1
	global_load_b64 v[20:21], v[16:17], off
	global_load_b64 v[24:25], v[18:19], off
	s_wait_xcnt 0x1
	v_mov_b64_e32 v[16:17], s[4:5]
	s_wait_xcnt 0x0
	v_mov_b64_e32 v[18:19], s[16:17]
	s_add_co_i32 s18, s18, 2
	s_add_co_i32 s28, s28, 2
	s_mov_b32 s29, s38
	s_mov_b32 s43, s39
	s_cmp_lg_u32 s3, 0
	s_wait_loadcnt 0x0
	v_dual_mov_b32 v26, v20 :: v_dual_mov_b32 v27, v24
	v_mov_b32_e32 v24, v21
	s_delay_alu instid0(VALU_DEP_1) | instskip(SKIP_1) | instid1(VALU_DEP_2)
	v_pk_mul_f32 v[20:21], v[16:17], v[24:25]
	v_pk_mul_f32 v[24:25], v[18:19], v[24:25]
	v_pk_fma_f32 v[18:19], v[18:19], v[26:27], v[20:21] neg_lo:[0,0,1] neg_hi:[0,0,1]
	s_delay_alu instid0(VALU_DEP_2)
	v_pk_fma_f32 v[16:17], v[16:17], v[26:27], v[24:25]
	ds_store_b32 v3, v18
	ds_store_b32 v28, v19
	ds_store_b32 v3, v16 offset:4
	ds_store_b32 v28, v17 offset:4
	s_cbranch_scc1 .LBB163_21
; %bb.22:                               ;   in Loop: Header=BB163_3 Depth=1
	s_and_b32 vcc_lo, exec_lo, s43
	s_cbranch_vccnz .LBB163_24
	s_branch .LBB163_26
.LBB163_23:                             ;   in Loop: Header=BB163_3 Depth=1
	s_mov_b32 s29, 0
	s_cbranch_execz .LBB163_26
.LBB163_24:                             ;   in Loop: Header=BB163_3 Depth=1
	s_lshl_b32 s18, s29, 3
	v_mad_u32 v3, 0xe0, s29, v22
	s_add_nc_u64 s[44:45], s[26:27], s[18:19]
	s_sub_co_i32 s3, s31, s29
	v_add_nc_u64_e32 v[14:15], s[44:45], v[10:11]
.LBB163_25:                             ;   Parent Loop BB163_3 Depth=1
                                        ; =>  This Inner Loop Header: Depth=2
	global_load_b64 v[16:17], v[14:15], off offset:-4
	v_mov_b64_e32 v[18:19], s[6:7]
	v_mov_b64_e32 v[20:21], s[22:23]
	s_wait_xcnt 0x0
	v_add_nc_u64_e32 v[14:15], 8, v[14:15]
	s_add_co_i32 s3, s3, -1
	s_delay_alu instid0(SALU_CYCLE_1) | instskip(SKIP_2) | instid1(VALU_DEP_1)
	s_cmp_lg_u32 s3, 0
	s_wait_loadcnt 0x0
	v_pk_mul_f32 v[18:19], v[18:19], v[16:17] op_sel:[0,1]
	v_pk_fma_f32 v[24:25], v[20:21], v[16:17], v[18:19] op_sel_hi:[1,0,1]
	v_pk_fma_f32 v[16:17], v[20:21], v[16:17], v[18:19] neg_lo:[0,0,1] neg_hi:[0,0,1]
	s_delay_alu instid0(VALU_DEP_2)
	v_mov_b32_e32 v17, v25
	ds_store_b64 v3, v[16:17]
	v_add_nc_u32_e32 v3, 0xe0, v3
	s_cbranch_scc1 .LBB163_25
.LBB163_26:                             ;   in Loop: Header=BB163_3 Depth=1
	s_or_b32 exec_lo, exec_lo, s42
	s_delay_alu instid0(SALU_CYCLE_1)
	s_and_not1_b32 vcc_lo, exec_lo, s35
	s_mov_b32 s3, -1
	s_wait_dscnt 0x0
	; wave barrier
	s_cbranch_vccnz .LBB163_55
; %bb.27:                               ;   in Loop: Header=BB163_3 Depth=1
	s_mov_b32 s18, 0
	s_mov_b32 s3, 0
	s_branch .LBB163_29
.LBB163_28:                             ;   in Loop: Header=BB163_29 Depth=2
	s_cmp_lt_i32 s3, s31
	s_cselect_b32 s28, -1, 0
	s_add_co_i32 s29, s18, 1
	s_cmp_lt_u32 s18, 2
	s_wait_xcnt 0x0
	s_cselect_b32 s18, -1, 0
	s_delay_alu instid0(SALU_CYCLE_1) | instskip(NEXT) | instid1(SALU_CYCLE_1)
	s_and_b32 s18, s28, s18
	s_and_b32 vcc_lo, exec_lo, s18
	s_mov_b32 s18, s29
	s_cbranch_vccz .LBB163_54
.LBB163_29:                             ;   Parent Loop BB163_3 Depth=1
                                        ; =>  This Loop Header: Depth=2
                                        ;       Child Loop BB163_32 Depth 3
                                        ;         Child Loop BB163_33 Depth 4
                                        ;         Child Loop BB163_37 Depth 4
                                        ;           Child Loop BB163_39 Depth 5
                                        ;           Child Loop BB163_45 Depth 5
                                        ;         Child Loop BB163_48 Depth 4
                                        ;           Child Loop BB163_50 Depth 5
	s_load_b32 s28, s[24:25], s18 offset:0x0 scale_offset
	s_wait_kmcnt 0x0
	s_add_co_i32 s29, s28, -1
	s_delay_alu instid0(SALU_CYCLE_1) | instskip(NEXT) | instid1(SALU_CYCLE_1)
	s_add_co_i32 s42, s29, s3
	s_cmp_ge_i32 s42, s31
	s_cbranch_scc1 .LBB163_28
; %bb.30:                               ;   in Loop: Header=BB163_29 Depth=2
	v_mad_u32 v3, 0xe0, s3, v22
	s_max_i32 s42, s28, 1
	s_cmp_lg_u32 s18, 2
	s_mul_i32 s46, s28, 0xe0
	s_cselect_b32 s43, -1, 0
	s_and_b32 s44, s42, 0x7ffffffe
	s_mul_i32 s47, s3, 0xe8
	s_cmp_lg_u32 s42, s44
	s_mul_i32 s48, s28, 0xe8
	s_cselect_b32 s45, -1, 0
	s_branch .LBB163_32
.LBB163_31:                             ;   in Loop: Header=BB163_32 Depth=3
	s_add_co_i32 s3, s3, s28
	v_add_nc_u32_e32 v3, s46, v3
	s_add_co_i32 s49, s29, s3
	s_add_co_i32 s47, s47, s48
	s_cmp_ge_i32 s49, s31
	s_cbranch_scc1 .LBB163_28
.LBB163_32:                             ;   Parent Loop BB163_3 Depth=1
                                        ;     Parent Loop BB163_29 Depth=2
                                        ; =>    This Loop Header: Depth=3
                                        ;         Child Loop BB163_33 Depth 4
                                        ;         Child Loop BB163_37 Depth 4
                                        ;           Child Loop BB163_39 Depth 5
                                        ;           Child Loop BB163_45 Depth 5
                                        ;         Child Loop BB163_48 Depth 4
                                        ;           Child Loop BB163_50 Depth 5
	s_wait_xcnt 0x0
	v_mov_b32_e32 v14, v3
	s_mov_b32 s49, 0
	s_mov_b32 s50, s42
.LBB163_33:                             ;   Parent Loop BB163_3 Depth=1
                                        ;     Parent Loop BB163_29 Depth=2
                                        ;       Parent Loop BB163_32 Depth=3
                                        ; =>      This Inner Loop Header: Depth=4
	ds_load_b64 v[16:17], v14
	v_add_nc_u32_e32 v14, 0xe0, v14
	s_add_co_i32 s50, s50, -1
	s_wait_dscnt 0x0
	scratch_store_b64 off, v[16:17], s49
	s_wait_xcnt 0x0
	s_add_co_i32 s49, s49, 8
	s_cmp_eq_u32 s50, 0
	s_cbranch_scc0 .LBB163_33
; %bb.34:                               ;   in Loop: Header=BB163_32 Depth=3
	s_cmp_lt_i32 s3, 1
	s_cbranch_scc1 .LBB163_46
; %bb.35:                               ;   in Loop: Header=BB163_32 Depth=3
	s_mov_b32 s49, s3
	s_mov_b32 s50, 0
	;; [unrolled: 1-line block ×3, first 2 shown]
	s_branch .LBB163_37
.LBB163_36:                             ;   in Loop: Header=BB163_37 Depth=4
	s_add_co_i32 s51, s51, 1
	s_add_co_i32 s50, s50, 8
	s_cmp_eq_u32 s51, s3
	s_cbranch_scc1 .LBB163_46
.LBB163_37:                             ;   Parent Loop BB163_3 Depth=1
                                        ;     Parent Loop BB163_29 Depth=2
                                        ;       Parent Loop BB163_32 Depth=3
                                        ; =>      This Loop Header: Depth=4
                                        ;           Child Loop BB163_39 Depth 5
                                        ;           Child Loop BB163_45 Depth 5
	v_mad_u32 v14, 0xe0, s51, v22
	s_and_b32 vcc_lo, exec_lo, s43
	ds_load_b64 v[14:15], v14
	s_cbranch_vccz .LBB163_41
; %bb.38:                               ;   in Loop: Header=BB163_37 Depth=4
	s_wait_dscnt 0x0
	v_dual_mov_b32 v18, v14 :: v_dual_mov_b32 v19, v14
	v_dual_mov_b32 v16, v15 :: v_dual_mov_b32 v20, v15
	v_mov_b32_e32 v21, v15
	s_lshl_b32 s52, s51, 3
	s_mov_b32 s53, 1
	s_mov_b32 s54, 0
	;; [unrolled: 1-line block ×4, first 2 shown]
.LBB163_39:                             ;   Parent Loop BB163_3 Depth=1
                                        ;     Parent Loop BB163_29 Depth=2
                                        ;       Parent Loop BB163_32 Depth=3
                                        ;         Parent Loop BB163_37 Depth=4
                                        ; =>        This Inner Loop Header: Depth=5
	scratch_load_b128 v[24:27], off, s56 offset:-8
	s_add_co_i32 s57, s53, s49
	s_add_co_i32 s58, s54, s3
	s_mulk_i32 s57, 0xe0
	s_mulk_i32 s58, 0xe0
	s_add_co_i32 s57, s52, s57
	s_add_co_i32 s58, s52, s58
	s_delay_alu instid0(SALU_CYCLE_1)
	v_dual_mov_b32 v17, s57 :: v_dual_mov_b32 v30, s58
	s_add_co_i32 s55, s55, -2
	s_add_co_i32 s54, s54, 2
	ds_load_b64 v[28:29], v17
	ds_load_b64 v[30:31], v30
	s_add_co_i32 s53, s53, 2
	s_wait_dscnt 0x0
	v_dual_mov_b32 v33, v28 :: v_dual_mov_b32 v28, v31
	v_mov_b32_e32 v32, v30
	s_delay_alu instid0(VALU_DEP_2) | instskip(SKIP_1) | instid1(VALU_DEP_2)
	v_pk_mul_f32 v[30:31], v[28:29], v[20:21]
	v_pk_mul_f32 v[28:29], v[28:29], v[18:19]
	v_pk_fma_f32 v[30:31], v[32:33], v[18:19], v[30:31] neg_lo:[0,0,1] neg_hi:[0,0,1]
	s_delay_alu instid0(VALU_DEP_2) | instskip(SKIP_3) | instid1(VALU_DEP_2)
	v_pk_fma_f32 v[28:29], v[32:33], v[20:21], v[28:29]
	s_wait_loadcnt 0x0
	v_dual_mov_b32 v32, v24 :: v_dual_mov_b32 v33, v26
	v_mov_b32_e32 v26, v25
	v_pk_add_f32 v[30:31], v[32:33], v[30:31] neg_lo:[0,1] neg_hi:[0,1]
	s_delay_alu instid0(VALU_DEP_2) | instskip(NEXT) | instid1(VALU_DEP_1)
	v_pk_add_f32 v[26:27], v[26:27], v[28:29] neg_lo:[0,1] neg_hi:[0,1]
	v_dual_mov_b32 v24, v30 :: v_dual_mov_b32 v25, v26
	s_delay_alu instid0(VALU_DEP_3)
	v_mov_b32_e32 v26, v31
	scratch_store_b128 off, v[24:27], s56 offset:-8
	s_wait_xcnt 0x0
	s_add_co_i32 s56, s56, 16
	s_cmp_lg_u32 s55, 0
	s_cbranch_scc1 .LBB163_39
; %bb.40:                               ;   in Loop: Header=BB163_37 Depth=4
	s_mov_b32 s52, s45
	s_mov_b32 s53, s44
	s_branch .LBB163_43
.LBB163_41:                             ;   in Loop: Header=BB163_37 Depth=4
	s_wait_dscnt 0x0
	v_mov_b32_e32 v16, v15
	s_mov_b32 s52, 0
	s_mov_b32 s53, s44
	s_cbranch_execz .LBB163_43
; %bb.42:                               ;   in Loop: Header=BB163_37 Depth=4
	s_mov_b32 s52, -1
	s_mov_b32 s53, 0
.LBB163_43:                             ;   in Loop: Header=BB163_37 Depth=4
	s_and_not1_b32 vcc_lo, exec_lo, s52
	s_cbranch_vccnz .LBB163_36
; %bb.44:                               ;   in Loop: Header=BB163_37 Depth=4
	s_add_co_i32 s54, s3, s53
	v_dual_mov_b32 v17, v15 :: v_dual_mov_b32 v15, v14
	s_mulk_i32 s54, 0xe0
	s_lshl_b32 s55, s53, 3
	s_sub_co_i32 s52, s42, s53
	s_add_co_i32 s53, s50, s54
	s_mov_b32 s54, s55
.LBB163_45:                             ;   Parent Loop BB163_3 Depth=1
                                        ;     Parent Loop BB163_29 Depth=2
                                        ;       Parent Loop BB163_32 Depth=3
                                        ;         Parent Loop BB163_37 Depth=4
                                        ; =>        This Inner Loop Header: Depth=5
	scratch_load_b64 v[18:19], off, s54
	v_mov_b32_e32 v20, s53
	s_add_co_i32 s52, s52, -1
	s_addk_co_i32 s53, 0xe0
	ds_load_b64 v[20:21], v20
	s_wait_dscnt 0x0
	v_pk_mul_f32 v[24:25], v[20:21], v[16:17] op_sel:[1,0] op_sel_hi:[0,1]
	s_delay_alu instid0(VALU_DEP_1) | instskip(SKIP_1) | instid1(VALU_DEP_2)
	v_pk_fma_f32 v[26:27], v[20:21], v[14:15], v[24:25]
	v_pk_fma_f32 v[20:21], v[20:21], v[14:15], v[24:25] neg_lo:[0,0,1] neg_hi:[0,0,1]
	v_mov_b32_e32 v21, v27
	s_wait_loadcnt 0x0
	s_delay_alu instid0(VALU_DEP_1)
	v_pk_add_f32 v[18:19], v[18:19], v[20:21] neg_lo:[0,1] neg_hi:[0,1]
	scratch_store_b64 off, v[18:19], s54
	s_wait_xcnt 0x0
	s_add_co_i32 s54, s54, 8
	s_cmp_eq_u32 s52, 0
	s_cbranch_scc0 .LBB163_45
	s_branch .LBB163_36
.LBB163_46:                             ;   in Loop: Header=BB163_32 Depth=3
	s_mul_i32 s49, s3, 0xe0
	s_mov_b32 s50, 0
	s_mov_b32 s51, s47
	s_branch .LBB163_48
.LBB163_47:                             ;   in Loop: Header=BB163_48 Depth=4
	s_wait_xcnt 0x0
	s_mulk_i32 s53, 0xe8
	s_addk_co_i32 s51, 0xe0
	v_mov_b32_e32 v15, s53
	s_lshl_b32 s53, s50, 3
	s_add_co_i32 s50, s50, 1
	s_delay_alu instid0(SALU_CYCLE_1) | instskip(SKIP_3) | instid1(VALU_DEP_1)
	s_cmp_eq_u32 s50, s42
	ds_load_b64 v[18:19], v15
	s_wait_dscnt 0x0
	v_pk_mul_f32 v[16:17], v[18:19], v[16:17] op_sel:[1,0] op_sel_hi:[0,0]
	v_pk_fma_f32 v[20:21], v[18:19], v[14:15], v[16:17] op_sel_hi:[1,0,1]
	v_add_nc_u32_e32 v20, s52, v22
	v_pk_fma_f32 v[14:15], v[18:19], v[14:15], v[16:17] neg_lo:[0,0,1] neg_hi:[0,0,1]
	s_delay_alu instid0(VALU_DEP_3)
	v_mov_b32_e32 v15, v21
	scratch_store_b64 off, v[14:15], s53
	ds_store_b64 v20, v[14:15]
	s_cbranch_scc1 .LBB163_31
.LBB163_48:                             ;   Parent Loop BB163_3 Depth=1
                                        ;     Parent Loop BB163_29 Depth=2
                                        ;       Parent Loop BB163_32 Depth=3
                                        ; =>      This Loop Header: Depth=4
                                        ;           Child Loop BB163_50 Depth 5
	s_cmp_lg_u32 s50, 0
	s_cbranch_scc0 .LBB163_52
; %bb.49:                               ;   in Loop: Header=BB163_48 Depth=4
	s_lshl_b32 s52, s50, 3
	s_wait_xcnt 0x0
	s_mov_b32 s53, 0
	scratch_load_b64 v[14:15], off, s52
	s_mov_b32 s54, s51
	s_mov_b32 s55, s50
.LBB163_50:                             ;   Parent Loop BB163_3 Depth=1
                                        ;     Parent Loop BB163_29 Depth=2
                                        ;       Parent Loop BB163_32 Depth=3
                                        ;         Parent Loop BB163_48 Depth=4
                                        ; =>        This Inner Loop Header: Depth=5
	scratch_load_b64 v[16:17], off, s53
	v_mov_b32_e32 v18, s54
	s_add_co_i32 s55, s55, -1
	s_wait_xcnt 0x0
	s_add_co_i32 s53, s53, 8
	s_add_co_i32 s54, s54, 8
	s_cmp_eq_u32 s55, 0
	ds_load_b64 v[18:19], v18
	s_wait_loadcnt_dscnt 0x0
	v_pk_mul_f32 v[20:21], v[18:19], v[16:17] op_sel:[1,1] op_sel_hi:[0,1]
	s_delay_alu instid0(VALU_DEP_1) | instskip(SKIP_1) | instid1(VALU_DEP_2)
	v_pk_fma_f32 v[24:25], v[18:19], v[16:17], v[20:21] op_sel_hi:[1,0,1]
	v_pk_fma_f32 v[16:17], v[18:19], v[16:17], v[20:21] neg_lo:[0,0,1] neg_hi:[0,0,1]
	v_mov_b32_e32 v17, v25
	s_delay_alu instid0(VALU_DEP_1)
	v_pk_add_f32 v[14:15], v[14:15], v[16:17] neg_lo:[0,1] neg_hi:[0,1]
	scratch_store_b64 off, v[14:15], s52
	s_cbranch_scc0 .LBB163_50
; %bb.51:                               ;   in Loop: Header=BB163_48 Depth=4
	v_mov_b32_e32 v16, v15
	s_add_co_i32 s53, s50, s3
	s_wait_xcnt 0x0
	s_mul_i32 s52, s53, 0xe0
	s_branch .LBB163_47
.LBB163_52:                             ;   in Loop: Header=BB163_48 Depth=4
                                        ; implicit-def: $vgpr14
                                        ; implicit-def: $vgpr16
                                        ; implicit-def: $sgpr53
                                        ; implicit-def: $sgpr52
	s_cbranch_execz .LBB163_47
; %bb.53:                               ;   in Loop: Header=BB163_48 Depth=4
	scratch_load_b64 v[14:15], off, off
	s_mov_b32 s52, s49
	s_mov_b32 s53, s3
	s_wait_loadcnt 0x0
	v_mov_b32_e32 v16, v15
	s_branch .LBB163_47
.LBB163_54:                             ;   in Loop: Header=BB163_3 Depth=1
	s_mov_b32 s3, 0
.LBB163_55:                             ;   in Loop: Header=BB163_3 Depth=1
	s_delay_alu instid0(SALU_CYCLE_1)
	s_and_b32 vcc_lo, exec_lo, s3
	s_cbranch_vccz .LBB163_83
; %bb.56:                               ;   in Loop: Header=BB163_3 Depth=1
	s_mov_b32 s18, 0
	s_mov_b32 s3, s33
	s_branch .LBB163_58
.LBB163_57:                             ;   in Loop: Header=BB163_58 Depth=2
	s_cmp_gt_i32 s3, -1
	s_cselect_b32 s28, -1, 0
	s_add_co_i32 s29, s18, 1
	s_cmp_lt_u32 s18, 2
	s_cselect_b32 s18, -1, 0
	s_delay_alu instid0(SALU_CYCLE_1) | instskip(NEXT) | instid1(SALU_CYCLE_1)
	s_and_b32 s18, s28, s18
	s_and_not1_b32 vcc_lo, exec_lo, s18
	s_mov_b32 s18, s29
	s_cbranch_vccnz .LBB163_83
.LBB163_58:                             ;   Parent Loop BB163_3 Depth=1
                                        ; =>  This Loop Header: Depth=2
                                        ;       Child Loop BB163_61 Depth 3
                                        ;         Child Loop BB163_62 Depth 4
                                        ;         Child Loop BB163_66 Depth 4
                                        ;           Child Loop BB163_68 Depth 5
                                        ;           Child Loop BB163_74 Depth 5
                                        ;         Child Loop BB163_77 Depth 4
                                        ;           Child Loop BB163_79 Depth 5
	s_load_b32 s28, s[24:25], s18 offset:0x0 scale_offset
	s_wait_kmcnt 0x0
	s_add_co_i32 s29, s28, -1
	s_delay_alu instid0(SALU_CYCLE_1)
	s_cmp_lt_i32 s3, s29
	s_cbranch_scc1 .LBB163_57
; %bb.59:                               ;   in Loop: Header=BB163_58 Depth=2
	s_max_i32 s42, s28, 1
	v_mad_u32 v3, 0xe0, s3, v22
	s_cmp_lg_u32 s18, 2
	s_mul_i32 s45, s28, 0xffffff20
	s_cselect_b32 s43, -1, 0
	s_and_b32 s44, s42, 0x7ffffffe
	s_mul_i32 s49, s3, 0xe8
	s_cmp_lg_u32 s42, s44
	s_mul_i32 s50, s28, 0xffffff18
	s_cselect_b32 s46, -1, 0
	s_lshl_b32 s47, s3, 3
	s_lshl_b32 s48, s28, 3
	s_add_co_i32 s47, s41, s47
	s_sub_co_i32 s48, 0, s48
	s_branch .LBB163_61
.LBB163_60:                             ;   in Loop: Header=BB163_61 Depth=3
	v_add_nc_u32_e32 v3, s45, v3
	s_sub_co_i32 s3, s3, s28
	s_add_co_i32 s47, s47, s48
	s_add_co_i32 s49, s49, s50
	s_cmp_lt_i32 s3, s29
	s_cbranch_scc1 .LBB163_57
.LBB163_61:                             ;   Parent Loop BB163_3 Depth=1
                                        ;     Parent Loop BB163_58 Depth=2
                                        ; =>    This Loop Header: Depth=3
                                        ;         Child Loop BB163_62 Depth 4
                                        ;         Child Loop BB163_66 Depth 4
                                        ;           Child Loop BB163_68 Depth 5
                                        ;           Child Loop BB163_74 Depth 5
                                        ;         Child Loop BB163_77 Depth 4
                                        ;           Child Loop BB163_79 Depth 5
	s_wait_xcnt 0x0
	v_mov_b32_e32 v14, v3
	s_mov_b32 s51, 0
	s_mov_b32 s52, s42
.LBB163_62:                             ;   Parent Loop BB163_3 Depth=1
                                        ;     Parent Loop BB163_58 Depth=2
                                        ;       Parent Loop BB163_61 Depth=3
                                        ; =>      This Inner Loop Header: Depth=4
	ds_load_b64 v[16:17], v14
	v_add_nc_u32_e32 v14, 0xffffff20, v14
	s_add_co_i32 s52, s52, -1
	s_wait_dscnt 0x0
	scratch_store_b64 off, v[16:17], s51
	s_wait_xcnt 0x0
	s_add_co_i32 s51, s51, 8
	s_cmp_eq_u32 s52, 0
	s_cbranch_scc0 .LBB163_62
; %bb.63:                               ;   in Loop: Header=BB163_61 Depth=3
	s_cmp_le_i32 s33, s3
	s_cbranch_scc1 .LBB163_75
; %bb.64:                               ;   in Loop: Header=BB163_61 Depth=3
	s_mov_b32 s51, s3
	s_mov_b32 s52, s47
	;; [unrolled: 1-line block ×3, first 2 shown]
	s_branch .LBB163_66
.LBB163_65:                             ;   in Loop: Header=BB163_66 Depth=4
	s_add_co_i32 s53, s53, -1
	s_addk_co_i32 s52, 0xff20
	s_cmp_le_i32 s53, s3
	s_cbranch_scc1 .LBB163_75
.LBB163_66:                             ;   Parent Loop BB163_3 Depth=1
                                        ;     Parent Loop BB163_58 Depth=2
                                        ;       Parent Loop BB163_61 Depth=3
                                        ; =>      This Loop Header: Depth=4
                                        ;           Child Loop BB163_68 Depth 5
                                        ;           Child Loop BB163_74 Depth 5
	s_mul_i32 s54, s53, 28
	s_and_b32 vcc_lo, exec_lo, s43
	v_lshl_add_u32 v14, s54, 3, v22
	ds_load_b64 v[14:15], v14
	s_cbranch_vccz .LBB163_70
; %bb.67:                               ;   in Loop: Header=BB163_66 Depth=4
	s_wait_dscnt 0x0
	v_dual_mov_b32 v18, v14 :: v_dual_mov_b32 v19, v14
	v_dual_mov_b32 v16, v15 :: v_dual_mov_b32 v20, v15
	v_mov_b32_e32 v21, v15
	s_lshl_b32 s54, s54, 3
	s_mov_b32 s55, 1
	s_mov_b32 s56, 0
	;; [unrolled: 1-line block ×4, first 2 shown]
.LBB163_68:                             ;   Parent Loop BB163_3 Depth=1
                                        ;     Parent Loop BB163_58 Depth=2
                                        ;       Parent Loop BB163_61 Depth=3
                                        ;         Parent Loop BB163_66 Depth=4
                                        ; =>        This Inner Loop Header: Depth=5
	scratch_load_b128 v[24:27], off, s58 offset:-8
	s_sub_co_i32 s59, s51, s55
	s_sub_co_i32 s60, s3, s56
	s_lshl_b32 s59, s59, 3
	s_lshl_b32 s60, s60, 3
	s_add_co_i32 s59, s54, s59
	s_add_co_i32 s60, s54, s60
	s_delay_alu instid0(SALU_CYCLE_1)
	v_dual_mov_b32 v17, s59 :: v_dual_mov_b32 v30, s60
	s_add_co_i32 s57, s57, -2
	s_add_co_i32 s56, s56, 2
	ds_load_b64 v[28:29], v17
	ds_load_b64 v[30:31], v30
	s_add_co_i32 s55, s55, 2
	s_wait_dscnt 0x0
	v_dual_mov_b32 v33, v28 :: v_dual_mov_b32 v28, v31
	v_mov_b32_e32 v32, v30
	s_delay_alu instid0(VALU_DEP_2) | instskip(SKIP_1) | instid1(VALU_DEP_2)
	v_pk_mul_f32 v[30:31], v[28:29], v[20:21]
	v_pk_mul_f32 v[28:29], v[28:29], v[18:19]
	v_pk_fma_f32 v[30:31], v[32:33], v[18:19], v[30:31] neg_lo:[0,0,1] neg_hi:[0,0,1]
	s_delay_alu instid0(VALU_DEP_2) | instskip(SKIP_3) | instid1(VALU_DEP_2)
	v_pk_fma_f32 v[28:29], v[32:33], v[20:21], v[28:29]
	s_wait_loadcnt 0x0
	v_dual_mov_b32 v32, v24 :: v_dual_mov_b32 v33, v26
	v_mov_b32_e32 v26, v25
	v_pk_add_f32 v[30:31], v[32:33], v[30:31] neg_lo:[0,1] neg_hi:[0,1]
	s_delay_alu instid0(VALU_DEP_2) | instskip(NEXT) | instid1(VALU_DEP_1)
	v_pk_add_f32 v[26:27], v[26:27], v[28:29] neg_lo:[0,1] neg_hi:[0,1]
	v_dual_mov_b32 v24, v30 :: v_dual_mov_b32 v25, v26
	s_delay_alu instid0(VALU_DEP_3)
	v_mov_b32_e32 v26, v31
	scratch_store_b128 off, v[24:27], s58 offset:-8
	s_wait_xcnt 0x0
	s_add_co_i32 s58, s58, 16
	s_cmp_lg_u32 s57, 0
	s_cbranch_scc1 .LBB163_68
; %bb.69:                               ;   in Loop: Header=BB163_66 Depth=4
	s_mov_b32 s54, s46
	s_mov_b32 s55, s44
	s_branch .LBB163_72
.LBB163_70:                             ;   in Loop: Header=BB163_66 Depth=4
	s_wait_dscnt 0x0
	v_mov_b32_e32 v16, v15
	s_mov_b32 s54, 0
	s_mov_b32 s55, s44
	s_cbranch_execz .LBB163_72
; %bb.71:                               ;   in Loop: Header=BB163_66 Depth=4
	s_mov_b32 s54, -1
	s_mov_b32 s55, 0
.LBB163_72:                             ;   in Loop: Header=BB163_66 Depth=4
	s_and_not1_b32 vcc_lo, exec_lo, s54
	s_cbranch_vccnz .LBB163_65
; %bb.73:                               ;   in Loop: Header=BB163_66 Depth=4
	v_dual_mov_b32 v17, v15 :: v_dual_mov_b32 v15, v14
	s_lshl_b32 s56, s55, 3
	s_sub_co_i32 s54, s42, s55
	s_sub_co_i32 s55, s52, s56
.LBB163_74:                             ;   Parent Loop BB163_3 Depth=1
                                        ;     Parent Loop BB163_58 Depth=2
                                        ;       Parent Loop BB163_61 Depth=3
                                        ;         Parent Loop BB163_66 Depth=4
                                        ; =>        This Inner Loop Header: Depth=5
	scratch_load_b64 v[18:19], off, s56
	v_mov_b32_e32 v20, s55
	s_add_co_i32 s54, s54, -1
	s_add_co_i32 s55, s55, -8
	ds_load_b64 v[20:21], v20
	s_wait_dscnt 0x0
	v_pk_mul_f32 v[24:25], v[20:21], v[16:17] op_sel:[1,0] op_sel_hi:[0,1]
	s_delay_alu instid0(VALU_DEP_1) | instskip(SKIP_1) | instid1(VALU_DEP_2)
	v_pk_fma_f32 v[26:27], v[20:21], v[14:15], v[24:25]
	v_pk_fma_f32 v[20:21], v[20:21], v[14:15], v[24:25] neg_lo:[0,0,1] neg_hi:[0,0,1]
	v_mov_b32_e32 v21, v27
	s_wait_loadcnt 0x0
	s_delay_alu instid0(VALU_DEP_1)
	v_pk_add_f32 v[18:19], v[18:19], v[20:21] neg_lo:[0,1] neg_hi:[0,1]
	scratch_store_b64 off, v[18:19], s56
	s_wait_xcnt 0x0
	s_add_co_i32 s56, s56, 8
	s_cmp_eq_u32 s54, 0
	s_cbranch_scc0 .LBB163_74
	s_branch .LBB163_65
.LBB163_75:                             ;   in Loop: Header=BB163_61 Depth=3
	s_mov_b32 s51, 0
	s_mov_b32 s52, s49
	s_branch .LBB163_77
.LBB163_76:                             ;   in Loop: Header=BB163_77 Depth=4
	s_mul_i32 s54, s53, 0xe8
	v_mad_u32 v24, 0xe0, s53, v22
	s_wait_xcnt 0x0
	v_mov_b32_e32 v15, s54
	s_lshl_b32 s53, s51, 3
	s_add_co_i32 s51, s51, 1
	s_add_co_i32 s52, s52, -8
	s_cmp_eq_u32 s51, s42
	ds_load_b64 v[18:19], v15
	s_wait_dscnt 0x0
	v_pk_mul_f32 v[16:17], v[18:19], v[16:17] op_sel:[1,0] op_sel_hi:[0,0]
	s_delay_alu instid0(VALU_DEP_1) | instskip(SKIP_1) | instid1(VALU_DEP_2)
	v_pk_fma_f32 v[20:21], v[18:19], v[14:15], v[16:17] op_sel_hi:[1,0,1]
	v_pk_fma_f32 v[14:15], v[18:19], v[14:15], v[16:17] neg_lo:[0,0,1] neg_hi:[0,0,1]
	v_mov_b32_e32 v15, v21
	scratch_store_b64 off, v[14:15], s53
	ds_store_b64 v24, v[14:15]
	s_cbranch_scc1 .LBB163_60
.LBB163_77:                             ;   Parent Loop BB163_3 Depth=1
                                        ;     Parent Loop BB163_58 Depth=2
                                        ;       Parent Loop BB163_61 Depth=3
                                        ; =>      This Loop Header: Depth=4
                                        ;           Child Loop BB163_79 Depth 5
	s_cmp_lg_u32 s51, 0
	s_cbranch_scc0 .LBB163_81
; %bb.78:                               ;   in Loop: Header=BB163_77 Depth=4
	s_wait_xcnt 0x0
	s_lshl_b32 s53, s51, 3
	s_mov_b32 s54, 0
	scratch_load_b64 v[14:15], off, s53
	s_mov_b32 s55, s52
	s_mov_b32 s56, s51
.LBB163_79:                             ;   Parent Loop BB163_3 Depth=1
                                        ;     Parent Loop BB163_58 Depth=2
                                        ;       Parent Loop BB163_61 Depth=3
                                        ;         Parent Loop BB163_77 Depth=4
                                        ; =>        This Inner Loop Header: Depth=5
	scratch_load_b64 v[16:17], off, s54
	v_mov_b32_e32 v18, s55
	s_add_co_i32 s56, s56, -1
	s_addk_co_i32 s55, 0xff20
	s_wait_xcnt 0x0
	s_add_co_i32 s54, s54, 8
	s_cmp_eq_u32 s56, 0
	ds_load_b64 v[18:19], v18
	s_wait_loadcnt_dscnt 0x0
	v_pk_mul_f32 v[20:21], v[18:19], v[16:17] op_sel:[1,1] op_sel_hi:[0,1]
	s_delay_alu instid0(VALU_DEP_1) | instskip(SKIP_1) | instid1(VALU_DEP_2)
	v_pk_fma_f32 v[24:25], v[18:19], v[16:17], v[20:21] op_sel_hi:[1,0,1]
	v_pk_fma_f32 v[16:17], v[18:19], v[16:17], v[20:21] neg_lo:[0,0,1] neg_hi:[0,0,1]
	v_mov_b32_e32 v17, v25
	s_delay_alu instid0(VALU_DEP_1)
	v_pk_add_f32 v[14:15], v[14:15], v[16:17] neg_lo:[0,1] neg_hi:[0,1]
	scratch_store_b64 off, v[14:15], s53
	s_cbranch_scc0 .LBB163_79
; %bb.80:                               ;   in Loop: Header=BB163_77 Depth=4
	v_mov_b32_e32 v16, v15
	s_wait_xcnt 0x0
	s_sub_co_i32 s53, s3, s51
	s_branch .LBB163_76
.LBB163_81:                             ;   in Loop: Header=BB163_77 Depth=4
                                        ; implicit-def: $vgpr14
                                        ; implicit-def: $vgpr16
                                        ; implicit-def: $sgpr53
	s_cbranch_execz .LBB163_76
; %bb.82:                               ;   in Loop: Header=BB163_77 Depth=4
	scratch_load_b64 v[14:15], off, off
	s_mov_b32 s53, s3
	s_wait_loadcnt 0x0
	v_mov_b32_e32 v16, v15
	s_branch .LBB163_76
.LBB163_83:                             ;   in Loop: Header=BB163_3 Depth=1
	; wave barrier
	s_wait_storecnt_dscnt 0x0
	s_wait_xcnt 0x0
	s_and_saveexec_b32 s3, s36
	s_cbranch_execz .LBB163_2
; %bb.84:                               ;   in Loop: Header=BB163_3 Depth=1
	v_add_nc_u64_e32 v[14:15], s[26:27], v[6:7]
	v_mov_b32_e32 v3, v22
	s_mov_b32 s18, s31
.LBB163_85:                             ;   Parent Loop BB163_3 Depth=1
                                        ; =>  This Inner Loop Header: Depth=2
	ds_load_b64 v[16:17], v3
	v_add_nc_u32_e32 v3, 0xe0, v3
	s_add_co_i32 s18, s18, -1
	s_delay_alu instid0(SALU_CYCLE_1)
	s_cmp_lg_u32 s18, 0
	s_wait_dscnt 0x0
	global_store_b64 v[14:15], v[16:17], off
	s_wait_xcnt 0x0
	v_add_nc_u64_e32 v[14:15], 8, v[14:15]
	s_cbranch_scc1 .LBB163_85
	s_branch .LBB163_2
.LBB163_86:
	s_endpgm
	.section	.rodata,"a",@progbits
	.p2align	6, 0x0
	.amdhsa_kernel _ZL38rocblas_trsm_small_left_device_sharedBILi28ELi28ELb0E19rocblas_complex_numIfES1_PKS1_PS1_Ev13rocblas_fill_18rocblas_operation_17rocblas_diagonal_iiT3_T4_lilT5_lili
		.amdhsa_group_segment_fixed_size 12544
		.amdhsa_private_segment_fixed_size 240
		.amdhsa_kernarg_size 360
		.amdhsa_user_sgpr_count 2
		.amdhsa_user_sgpr_dispatch_ptr 0
		.amdhsa_user_sgpr_queue_ptr 0
		.amdhsa_user_sgpr_kernarg_segment_ptr 1
		.amdhsa_user_sgpr_dispatch_id 0
		.amdhsa_user_sgpr_kernarg_preload_length 0
		.amdhsa_user_sgpr_kernarg_preload_offset 0
		.amdhsa_user_sgpr_private_segment_size 0
		.amdhsa_wavefront_size32 1
		.amdhsa_uses_dynamic_stack 0
		.amdhsa_enable_private_segment 1
		.amdhsa_system_sgpr_workgroup_id_x 1
		.amdhsa_system_sgpr_workgroup_id_y 0
		.amdhsa_system_sgpr_workgroup_id_z 1
		.amdhsa_system_sgpr_workgroup_info 0
		.amdhsa_system_vgpr_workitem_id 0
		.amdhsa_next_free_vgpr 129
		.amdhsa_next_free_sgpr 61
		.amdhsa_named_barrier_count 0
		.amdhsa_reserve_vcc 1
		.amdhsa_float_round_mode_32 0
		.amdhsa_float_round_mode_16_64 0
		.amdhsa_float_denorm_mode_32 3
		.amdhsa_float_denorm_mode_16_64 3
		.amdhsa_fp16_overflow 0
		.amdhsa_memory_ordered 1
		.amdhsa_forward_progress 1
		.amdhsa_inst_pref_size 32
		.amdhsa_round_robin_scheduling 0
		.amdhsa_exception_fp_ieee_invalid_op 0
		.amdhsa_exception_fp_denorm_src 0
		.amdhsa_exception_fp_ieee_div_zero 0
		.amdhsa_exception_fp_ieee_overflow 0
		.amdhsa_exception_fp_ieee_underflow 0
		.amdhsa_exception_fp_ieee_inexact 0
		.amdhsa_exception_int_div_zero 0
	.end_amdhsa_kernel
	.section	.text._ZL38rocblas_trsm_small_left_device_sharedBILi28ELi28ELb0E19rocblas_complex_numIfES1_PKS1_PS1_Ev13rocblas_fill_18rocblas_operation_17rocblas_diagonal_iiT3_T4_lilT5_lili,"axG",@progbits,_ZL38rocblas_trsm_small_left_device_sharedBILi28ELi28ELb0E19rocblas_complex_numIfES1_PKS1_PS1_Ev13rocblas_fill_18rocblas_operation_17rocblas_diagonal_iiT3_T4_lilT5_lili,comdat
.Lfunc_end163:
	.size	_ZL38rocblas_trsm_small_left_device_sharedBILi28ELi28ELb0E19rocblas_complex_numIfES1_PKS1_PS1_Ev13rocblas_fill_18rocblas_operation_17rocblas_diagonal_iiT3_T4_lilT5_lili, .Lfunc_end163-_ZL38rocblas_trsm_small_left_device_sharedBILi28ELi28ELb0E19rocblas_complex_numIfES1_PKS1_PS1_Ev13rocblas_fill_18rocblas_operation_17rocblas_diagonal_iiT3_T4_lilT5_lili
                                        ; -- End function
	.set _ZL38rocblas_trsm_small_left_device_sharedBILi28ELi28ELb0E19rocblas_complex_numIfES1_PKS1_PS1_Ev13rocblas_fill_18rocblas_operation_17rocblas_diagonal_iiT3_T4_lilT5_lili.num_vgpr, 34
	.set _ZL38rocblas_trsm_small_left_device_sharedBILi28ELi28ELb0E19rocblas_complex_numIfES1_PKS1_PS1_Ev13rocblas_fill_18rocblas_operation_17rocblas_diagonal_iiT3_T4_lilT5_lili.num_agpr, 0
	.set _ZL38rocblas_trsm_small_left_device_sharedBILi28ELi28ELb0E19rocblas_complex_numIfES1_PKS1_PS1_Ev13rocblas_fill_18rocblas_operation_17rocblas_diagonal_iiT3_T4_lilT5_lili.numbered_sgpr, 61
	.set _ZL38rocblas_trsm_small_left_device_sharedBILi28ELi28ELb0E19rocblas_complex_numIfES1_PKS1_PS1_Ev13rocblas_fill_18rocblas_operation_17rocblas_diagonal_iiT3_T4_lilT5_lili.num_named_barrier, 0
	.set _ZL38rocblas_trsm_small_left_device_sharedBILi28ELi28ELb0E19rocblas_complex_numIfES1_PKS1_PS1_Ev13rocblas_fill_18rocblas_operation_17rocblas_diagonal_iiT3_T4_lilT5_lili.private_seg_size, 240
	.set _ZL38rocblas_trsm_small_left_device_sharedBILi28ELi28ELb0E19rocblas_complex_numIfES1_PKS1_PS1_Ev13rocblas_fill_18rocblas_operation_17rocblas_diagonal_iiT3_T4_lilT5_lili.uses_vcc, 1
	.set _ZL38rocblas_trsm_small_left_device_sharedBILi28ELi28ELb0E19rocblas_complex_numIfES1_PKS1_PS1_Ev13rocblas_fill_18rocblas_operation_17rocblas_diagonal_iiT3_T4_lilT5_lili.uses_flat_scratch, 0
	.set _ZL38rocblas_trsm_small_left_device_sharedBILi28ELi28ELb0E19rocblas_complex_numIfES1_PKS1_PS1_Ev13rocblas_fill_18rocblas_operation_17rocblas_diagonal_iiT3_T4_lilT5_lili.has_dyn_sized_stack, 0
	.set _ZL38rocblas_trsm_small_left_device_sharedBILi28ELi28ELb0E19rocblas_complex_numIfES1_PKS1_PS1_Ev13rocblas_fill_18rocblas_operation_17rocblas_diagonal_iiT3_T4_lilT5_lili.has_recursion, 0
	.set _ZL38rocblas_trsm_small_left_device_sharedBILi28ELi28ELb0E19rocblas_complex_numIfES1_PKS1_PS1_Ev13rocblas_fill_18rocblas_operation_17rocblas_diagonal_iiT3_T4_lilT5_lili.has_indirect_call, 0
	.section	.AMDGPU.csdata,"",@progbits
; Kernel info:
; codeLenInByte = 3972
; TotalNumSgprs: 63
; NumVgprs: 34
; ScratchSize: 240
; MemoryBound: 0
; FloatMode: 240
; IeeeMode: 1
; LDSByteSize: 12544 bytes/workgroup (compile time only)
; SGPRBlocks: 0
; VGPRBlocks: 8
; NumSGPRsForWavesPerEU: 63
; NumVGPRsForWavesPerEU: 129
; NamedBarCnt: 0
; Occupancy: 7
; WaveLimiterHint : 0
; COMPUTE_PGM_RSRC2:SCRATCH_EN: 1
; COMPUTE_PGM_RSRC2:USER_SGPR: 2
; COMPUTE_PGM_RSRC2:TRAP_HANDLER: 0
; COMPUTE_PGM_RSRC2:TGID_X_EN: 1
; COMPUTE_PGM_RSRC2:TGID_Y_EN: 0
; COMPUTE_PGM_RSRC2:TGID_Z_EN: 1
; COMPUTE_PGM_RSRC2:TIDIG_COMP_CNT: 0
	.section	.text._ZL30rocblas_trsm_small_left_deviceILi28ELi28ELb0E19rocblas_complex_numIfES1_PKS1_PS1_Ev13rocblas_fill_18rocblas_operation_17rocblas_diagonal_iiT3_T4_lilT5_lili,"axG",@progbits,_ZL30rocblas_trsm_small_left_deviceILi28ELi28ELb0E19rocblas_complex_numIfES1_PKS1_PS1_Ev13rocblas_fill_18rocblas_operation_17rocblas_diagonal_iiT3_T4_lilT5_lili,comdat
	.globl	_ZL30rocblas_trsm_small_left_deviceILi28ELi28ELb0E19rocblas_complex_numIfES1_PKS1_PS1_Ev13rocblas_fill_18rocblas_operation_17rocblas_diagonal_iiT3_T4_lilT5_lili ; -- Begin function _ZL30rocblas_trsm_small_left_deviceILi28ELi28ELb0E19rocblas_complex_numIfES1_PKS1_PS1_Ev13rocblas_fill_18rocblas_operation_17rocblas_diagonal_iiT3_T4_lilT5_lili
	.p2align	8
	.type	_ZL30rocblas_trsm_small_left_deviceILi28ELi28ELb0E19rocblas_complex_numIfES1_PKS1_PS1_Ev13rocblas_fill_18rocblas_operation_17rocblas_diagonal_iiT3_T4_lilT5_lili,@function
_ZL30rocblas_trsm_small_left_deviceILi28ELi28ELb0E19rocblas_complex_numIfES1_PKS1_PS1_Ev13rocblas_fill_18rocblas_operation_17rocblas_diagonal_iiT3_T4_lilT5_lili: ; @_ZL30rocblas_trsm_small_left_deviceILi28ELi28ELb0E19rocblas_complex_numIfES1_PKS1_PS1_Ev13rocblas_fill_18rocblas_operation_17rocblas_diagonal_iiT3_T4_lilT5_lili
; %bb.0:
	s_load_b32 s33, s[0:1], 0x60
	s_bfe_u32 s2, ttmp6, 0x40014
	s_lshr_b32 s4, ttmp7, 16
	s_add_co_i32 s2, s2, 1
	s_bfe_u32 s5, ttmp6, 0x40008
	s_mul_i32 s2, s4, s2
	s_getreg_b32 s3, hwreg(HW_REG_IB_STS2, 6, 4)
	s_add_co_i32 s5, s5, s2
	s_cmp_eq_u32 s3, 0
	s_mov_b32 s17, 0
	s_cselect_b32 s2, s4, s5
	s_wait_kmcnt 0x0
	s_cmp_ge_u32 s2, s33
	s_cbranch_scc1 .LBB164_88
; %bb.1:
	s_clause 0x4
	s_load_b32 s26, s[0:1], 0x30
	s_load_b96 s[8:10], s[0:1], 0x48
	s_load_b128 s[4:7], s[0:1], 0x4
	s_load_b32 s12, s[0:1], 0x68
	s_load_b64 s[18:19], s[0:1], 0x14
	v_mul_u32_u24_e32 v12, 0xe0, v0
	v_mov_b64_e32 v[4:5], 0xbf80000000000000
	v_mov_b64_e32 v[10:11], 0x3f800000
	s_mov_b32 s41, 0
                                        ; implicit-def: $sgpr42
                                        ; implicit-def: $sgpr43
	s_wait_kmcnt 0x0
	s_ashr_i32 s27, s26, 31
	s_ashr_i32 s11, s10, 31
	s_cmp_lg_u32 s4, 0x71
	s_cselect_b32 s34, -1, 0
	s_min_i32 s35, s6, 28
	s_bfe_u32 s6, ttmp6, 0x4000c
	s_lshl_b64 s[28:29], s[8:9], 3
	s_add_co_i32 s6, s6, 1
	s_and_b32 s8, ttmp6, 15
	s_mul_i32 s6, ttmp9, s6
	s_add_co_i32 s16, s12, -1
	s_add_co_i32 s36, s35, -1
	s_add_co_i32 s8, s8, s6
	s_cmp_eq_u32 s3, 0
	s_mul_i32 s40, s35, 0xe0
	s_cselect_b32 s3, ttmp9, s8
	s_mov_b32 s22, s18
	v_mad_u32 v2, s3, 28, v0
	s_mov_b32 s23, s18
	s_mov_b32 s6, s19
	;; [unrolled: 1-line block ×4, first 2 shown]
	s_delay_alu instid0(VALU_DEP_1) | instskip(NEXT) | instid1(VALU_DEP_1)
	v_ashrrev_i32_e32 v3, 31, v2
	v_mul_u64_e32 v[6:7], s[10:11], v[2:3]
	s_clause 0x2
	s_load_b128 s[12:15], s[0:1], 0x20
	s_load_b128 s[8:11], s[0:1], 0x38
	s_load_b64 s[20:21], s[0:1], 0x58
	s_wait_xcnt 0x0
	s_mul_i32 s0, s3, 0xffffffe4
	v_lshlrev_b32_e32 v2, 3, v0
	s_add_co_i32 s0, s7, s0
	s_cmp_ge_u32 s3, s16
	v_mov_b32_e32 v3, 0
	s_cselect_b32 s3, s0, 28
	s_cmp_lg_u32 s5, 0x84
	s_mov_b32 s7, s19
	s_cselect_b32 s37, -1, 0
	s_cmp_lg_u32 s4, 0x6f
	s_cselect_b32 s38, -1, 0
	s_or_b32 s39, 0, 8
	s_addk_co_i32 s40, 0xff20
	s_wait_kmcnt 0x0
	s_lshl_b64 s[0:1], s[14:15], 3
	s_add_nc_u64 s[4:5], s[10:11], s[28:29]
	s_add_nc_u64 s[10:11], s[12:13], s[0:1]
	v_cmp_gt_i32_e64 s0, s35, v0
	v_add_nc_u64_e32 v[8:9], s[10:11], v[2:3]
	v_cmp_gt_i32_e64 s1, s3, v0
	v_add_nc_u32_e32 v3, v2, v12
	s_lshl_b64 s[12:13], s[20:21], 3
	s_get_pc_i64 s[10:11]
	s_add_nc_u64 s[10:11], s[10:11], __const._ZL30rocblas_trsm_small_left_deviceILi28ELi28ELb0E19rocblas_complex_numIfES1_PKS1_PS1_Ev13rocblas_fill_18rocblas_operation_17rocblas_diagonal_iiT3_T4_lilT5_lili.step_sizes@rel64+4
	v_lshl_add_u64 v[0:1], v[6:7], 3, s[4:5]
	v_add_nc_u64_e32 v[6:7], 4, v[8:9]
	s_lshl_b64 s[4:5], s[8:9], 3
	s_lshl_b64 s[8:9], s[26:27], 3
	s_delay_alu instid0(VALU_DEP_2)
	v_add_nc_u64_e32 v[8:9], 4, v[0:1]
	s_branch .LBB164_4
.LBB164_2:                              ;   in Loop: Header=BB164_4 Depth=1
	s_add_co_i32 s2, s2, 0x10000
	s_delay_alu instid0(SALU_CYCLE_1)
	s_cmp_ge_u32 s2, s33
	s_cselect_b32 s3, -1, 0
	s_and_not1_b32 s43, s43, exec_lo
	s_or_not1_b32 s14, s3, exec_lo
.LBB164_3:                              ;   in Loop: Header=BB164_4 Depth=1
	s_wait_xcnt 0x0
	s_or_b32 exec_lo, exec_lo, s44
	s_delay_alu instid0(SALU_CYCLE_1) | instskip(NEXT) | instid1(SALU_CYCLE_1)
	s_and_b32 s3, exec_lo, s14
	s_or_b32 s41, s3, s41
	s_and_not1_b32 s3, s42, exec_lo
	s_and_b32 s14, s43, exec_lo
	s_delay_alu instid0(SALU_CYCLE_1)
	s_or_b32 s42, s3, s14
	s_and_not1_b32 exec_lo, exec_lo, s41
	s_cbranch_execz .LBB164_87
.LBB164_4:                              ; =>This Loop Header: Depth=1
                                        ;     Child Loop BB164_7 Depth 2
                                        ;     Child Loop BB164_23 Depth 2
                                        ;       Child Loop BB164_26 Depth 3
                                        ;         Child Loop BB164_28 Depth 4
                                        ;         Child Loop BB164_32 Depth 4
	;; [unrolled: 1-line block ×3, first 2 shown]
                                        ;           Child Loop BB164_38 Depth 5
                                        ;           Child Loop BB164_44 Depth 5
                                        ;         Child Loop BB164_47 Depth 4
                                        ;           Child Loop BB164_49 Depth 5
                                        ;     Child Loop BB164_57 Depth 2
                                        ;       Child Loop BB164_60 Depth 3
                                        ;         Child Loop BB164_62 Depth 4
                                        ;         Child Loop BB164_66 Depth 4
	;; [unrolled: 1-line block ×3, first 2 shown]
                                        ;           Child Loop BB164_72 Depth 5
                                        ;           Child Loop BB164_78 Depth 5
                                        ;         Child Loop BB164_81 Depth 4
                                        ;           Child Loop BB164_83 Depth 5
	s_mov_b32 s3, s17
	s_and_saveexec_b32 s14, s0
	s_cbranch_execz .LBB164_19
; %bb.5:                                ;   in Loop: Header=BB164_4 Depth=1
	v_mad_nc_u64_u32 v[12:13], s4, s2, v[6:7]
	v_mov_b32_e32 v16, v2
	s_mov_b32 s15, s35
	s_delay_alu instid0(VALU_DEP_2)
	v_mad_u32 v13, s5, s2, v13
	s_branch .LBB164_7
.LBB164_6:                              ;   in Loop: Header=BB164_7 Depth=2
	global_load_b32 v14, v[12:13], off offset:-4
	s_wait_xcnt 0x0
	v_add_nc_u64_e32 v[12:13], s[8:9], v[12:13]
	s_add_co_i32 s15, s15, -1
	s_delay_alu instid0(SALU_CYCLE_1)
	s_cmp_eq_u32 s15, 0
	s_wait_loadcnt 0x0
	ds_store_b64 v16, v[14:15]
	v_add_nc_u32_e32 v16, 0xe0, v16
	s_cbranch_scc1 .LBB164_11
.LBB164_7:                              ;   Parent Loop BB164_4 Depth=1
                                        ; =>  This Inner Loop Header: Depth=2
	s_and_b32 vcc_lo, exec_lo, s34
	s_mov_b32 s16, -1
                                        ; implicit-def: $vgpr15
	s_cbranch_vccz .LBB164_9
; %bb.8:                                ;   in Loop: Header=BB164_7 Depth=2
	global_load_b32 v15, v[12:13], off
	s_mov_b32 s16, 0
.LBB164_9:                              ;   in Loop: Header=BB164_7 Depth=2
	s_delay_alu instid0(SALU_CYCLE_1)
	s_and_not1_b32 vcc_lo, exec_lo, s16
	s_cbranch_vccnz .LBB164_6
; %bb.10:                               ;   in Loop: Header=BB164_7 Depth=2
	global_load_b32 v14, v[12:13], off
	s_wait_loadcnt 0x0
	v_xor_b32_e32 v15, 0x80000000, v14
	s_branch .LBB164_6
.LBB164_11:                             ;   in Loop: Header=BB164_4 Depth=1
	s_and_b32 vcc_lo, exec_lo, s37
	s_mov_b32 s15, -1
	s_cbranch_vccz .LBB164_17
; %bb.12:                               ;   in Loop: Header=BB164_4 Depth=1
	ds_load_b64 v[12:13], v3
                                        ; implicit-def: $vgpr14_vgpr15
	s_wait_dscnt 0x0
	v_cmp_ngt_f32_e64 s15, |v12|, |v13|
	s_and_saveexec_b32 s16, s15
	s_delay_alu instid0(SALU_CYCLE_1)
	s_xor_b32 s15, exec_lo, s16
	s_cbranch_execz .LBB164_14
; %bb.13:                               ;   in Loop: Header=BB164_4 Depth=1
	v_div_scale_f32 v14, null, v13, v13, v12
	v_div_scale_f32 v17, vcc_lo, v12, v13, v12
	s_delay_alu instid0(VALU_DEP_2) | instskip(SKIP_1) | instid1(TRANS32_DEP_1)
	v_rcp_f32_e32 v15, v14
	v_nop
	v_fma_f32 v16, -v14, v15, 1.0
	s_delay_alu instid0(VALU_DEP_1) | instskip(NEXT) | instid1(VALU_DEP_1)
	v_fmac_f32_e32 v15, v16, v15
	v_mul_f32_e32 v16, v17, v15
	s_delay_alu instid0(VALU_DEP_1) | instskip(NEXT) | instid1(VALU_DEP_1)
	v_fma_f32 v18, -v14, v16, v17
	v_fmac_f32_e32 v16, v18, v15
	s_delay_alu instid0(VALU_DEP_1) | instskip(NEXT) | instid1(VALU_DEP_1)
	v_fma_f32 v14, -v14, v16, v17
	v_div_fmas_f32 v14, v14, v15, v16
	s_delay_alu instid0(VALU_DEP_1) | instskip(NEXT) | instid1(VALU_DEP_1)
	v_div_fixup_f32 v14, v14, v13, v12
	v_fmac_f32_e32 v13, v12, v14
	s_delay_alu instid0(VALU_DEP_1) | instskip(SKIP_1) | instid1(VALU_DEP_2)
	v_div_scale_f32 v12, null, v13, v13, 1.0
	v_div_scale_f32 v17, vcc_lo, 1.0, v13, 1.0
	v_rcp_f32_e32 v15, v12
	v_nop
	s_delay_alu instid0(TRANS32_DEP_1) | instskip(NEXT) | instid1(VALU_DEP_1)
	v_fma_f32 v16, -v12, v15, 1.0
	v_fmac_f32_e32 v15, v16, v15
	s_delay_alu instid0(VALU_DEP_1) | instskip(NEXT) | instid1(VALU_DEP_1)
	v_mul_f32_e32 v16, v17, v15
	v_fma_f32 v18, -v12, v16, v17
	s_delay_alu instid0(VALU_DEP_1) | instskip(NEXT) | instid1(VALU_DEP_1)
	v_fmac_f32_e32 v16, v18, v15
	v_fma_f32 v12, -v12, v16, v17
	s_delay_alu instid0(VALU_DEP_1) | instskip(SKIP_1) | instid1(VALU_DEP_2)
	v_div_fmas_f32 v12, v12, v15, v16
	v_mul_f32_e32 v15, 0, v14
	v_div_fixup_f32 v12, v12, v13, 1.0
	s_delay_alu instid0(VALU_DEP_2) | instskip(NEXT) | instid1(VALU_DEP_1)
	v_pk_add_f32 v[14:15], v[14:15], v[4:5]
	v_pk_mul_f32 v[14:15], v[14:15], v[12:13] op_sel_hi:[1,0]
                                        ; implicit-def: $vgpr12_vgpr13
.LBB164_14:                             ;   in Loop: Header=BB164_4 Depth=1
	s_and_not1_saveexec_b32 s15, s15
	s_cbranch_execz .LBB164_16
; %bb.15:                               ;   in Loop: Header=BB164_4 Depth=1
	v_div_scale_f32 v14, null, v12, v12, v13
	v_div_scale_f32 v17, vcc_lo, v13, v12, v13
	s_delay_alu instid0(VALU_DEP_2) | instskip(SKIP_1) | instid1(TRANS32_DEP_1)
	v_rcp_f32_e32 v15, v14
	v_nop
	v_fma_f32 v16, -v14, v15, 1.0
	s_delay_alu instid0(VALU_DEP_1) | instskip(NEXT) | instid1(VALU_DEP_1)
	v_fmac_f32_e32 v15, v16, v15
	v_mul_f32_e32 v16, v17, v15
	s_delay_alu instid0(VALU_DEP_1) | instskip(NEXT) | instid1(VALU_DEP_1)
	v_fma_f32 v18, -v14, v16, v17
	v_fmac_f32_e32 v16, v18, v15
	s_delay_alu instid0(VALU_DEP_1) | instskip(NEXT) | instid1(VALU_DEP_1)
	v_fma_f32 v14, -v14, v16, v17
	v_div_fmas_f32 v14, v14, v15, v16
	s_delay_alu instid0(VALU_DEP_1) | instskip(NEXT) | instid1(VALU_DEP_1)
	v_div_fixup_f32 v15, v14, v12, v13
	v_fmac_f32_e32 v12, v13, v15
	s_delay_alu instid0(VALU_DEP_1) | instskip(SKIP_1) | instid1(VALU_DEP_2)
	v_div_scale_f32 v13, null, v12, v12, 1.0
	v_div_scale_f32 v17, vcc_lo, 1.0, v12, 1.0
	v_rcp_f32_e32 v14, v13
	v_nop
	s_delay_alu instid0(TRANS32_DEP_1) | instskip(NEXT) | instid1(VALU_DEP_1)
	v_fma_f32 v16, -v13, v14, 1.0
	v_fmac_f32_e32 v14, v16, v14
	s_delay_alu instid0(VALU_DEP_1) | instskip(NEXT) | instid1(VALU_DEP_1)
	v_mul_f32_e32 v16, v17, v14
	v_fma_f32 v18, -v13, v16, v17
	s_delay_alu instid0(VALU_DEP_1) | instskip(NEXT) | instid1(VALU_DEP_1)
	v_fmac_f32_e32 v16, v18, v14
	v_dual_fma_f32 v13, -v13, v16, v17 :: v_dual_mul_f32 v17, 0, v15
	v_sub_f32_e32 v15, 0, v15
	s_delay_alu instid0(VALU_DEP_2) | instskip(NEXT) | instid1(VALU_DEP_3)
	v_div_fmas_f32 v13, v13, v14, v16
	v_add_f32_e32 v14, 1.0, v17
	s_delay_alu instid0(VALU_DEP_2) | instskip(NEXT) | instid1(VALU_DEP_1)
	v_div_fixup_f32 v12, v13, v12, 1.0
	v_pk_mul_f32 v[14:15], v[14:15], v[12:13] op_sel_hi:[1,0]
.LBB164_16:                             ;   in Loop: Header=BB164_4 Depth=1
	s_or_b32 exec_lo, exec_lo, s15
	s_mov_b32 s15, 0
	ds_store_b64 v3, v[14:15]
.LBB164_17:                             ;   in Loop: Header=BB164_4 Depth=1
	s_and_b32 vcc_lo, exec_lo, s15
	s_cbranch_vccz .LBB164_19
; %bb.18:                               ;   in Loop: Header=BB164_4 Depth=1
	ds_store_b64 v3, v[10:11]
.LBB164_19:                             ;   in Loop: Header=BB164_4 Depth=1
	s_or_b32 exec_lo, exec_lo, s14
	s_mov_b32 s14, -1
	s_or_b32 s43, s43, exec_lo
	s_wait_dscnt 0x0
	; wave barrier
	s_and_saveexec_b32 s44, s1
	s_cbranch_execz .LBB164_3
; %bb.20:                               ;   in Loop: Header=BB164_4 Depth=1
	s_mul_u64 s[14:15], s[20:21], s[2:3]
	s_and_not1_b32 vcc_lo, exec_lo, s38
	v_lshl_add_u64 v[12:13], s[14:15], 3, v[0:1]
	s_mul_u64 s[14:15], s[12:13], s[2:3]
	s_mov_b32 s3, -1
	s_cbranch_vccnz .LBB164_54
; %bb.21:                               ;   in Loop: Header=BB164_4 Depth=1
	v_add_nc_u64_e32 v[14:15], s[14:15], v[8:9]
	s_mov_b32 s3, 0
	s_mov_b32 s26, 0
	s_branch .LBB164_23
.LBB164_22:                             ;   in Loop: Header=BB164_23 Depth=2
	s_cmp_lt_i32 s26, s35
	s_cselect_b32 s16, -1, 0
	s_add_co_i32 s27, s3, 1
	s_cmp_lt_u32 s3, 2
	s_wait_xcnt 0x0
	s_cselect_b32 s3, -1, 0
	s_delay_alu instid0(SALU_CYCLE_1) | instskip(NEXT) | instid1(SALU_CYCLE_1)
	s_and_b32 s3, s16, s3
	s_and_b32 vcc_lo, exec_lo, s3
	s_mov_b32 s3, s27
	s_cbranch_vccz .LBB164_53
.LBB164_23:                             ;   Parent Loop BB164_4 Depth=1
                                        ; =>  This Loop Header: Depth=2
                                        ;       Child Loop BB164_26 Depth 3
                                        ;         Child Loop BB164_28 Depth 4
                                        ;         Child Loop BB164_32 Depth 4
	;; [unrolled: 1-line block ×3, first 2 shown]
                                        ;           Child Loop BB164_38 Depth 5
                                        ;           Child Loop BB164_44 Depth 5
                                        ;         Child Loop BB164_47 Depth 4
                                        ;           Child Loop BB164_49 Depth 5
	s_load_b32 s28, s[10:11], s3 offset:0x0 scale_offset
	s_wait_kmcnt 0x0
	s_add_co_i32 s45, s28, -1
	s_delay_alu instid0(SALU_CYCLE_1) | instskip(NEXT) | instid1(SALU_CYCLE_1)
	s_add_co_i32 s16, s45, s26
	s_cmp_ge_i32 s16, s35
	s_cbranch_scc1 .LBB164_22
; %bb.24:                               ;   in Loop: Header=BB164_23 Depth=2
	s_max_i32 s46, s28, 1
	s_cmp_lg_u32 s3, 2
	s_mul_i32 s50, s26, 0xe8
	s_cselect_b32 s47, -1, 0
	s_and_b32 s48, s46, 0x7ffffffe
	s_mul_i32 s51, s28, 0xe8
	s_cmp_lg_u32 s46, s48
	s_cselect_b32 s49, -1, 0
	s_ashr_i32 s27, s26, 31
	s_ashr_i32 s29, s28, 31
	s_branch .LBB164_26
.LBB164_25:                             ;   in Loop: Header=BB164_26 Depth=3
	s_add_nc_u64 s[26:27], s[26:27], s[28:29]
	s_add_co_i32 s50, s50, s51
	s_add_co_i32 s16, s45, s26
	s_delay_alu instid0(SALU_CYCLE_1)
	s_cmp_ge_i32 s16, s35
	s_cbranch_scc1 .LBB164_22
.LBB164_26:                             ;   Parent Loop BB164_4 Depth=1
                                        ;     Parent Loop BB164_23 Depth=2
                                        ; =>    This Loop Header: Depth=3
                                        ;         Child Loop BB164_28 Depth 4
                                        ;         Child Loop BB164_32 Depth 4
	;; [unrolled: 1-line block ×3, first 2 shown]
                                        ;           Child Loop BB164_38 Depth 5
                                        ;           Child Loop BB164_44 Depth 5
                                        ;         Child Loop BB164_47 Depth 4
                                        ;           Child Loop BB164_49 Depth 5
	s_and_not1_b32 vcc_lo, exec_lo, s47
	s_cbranch_vccnz .LBB164_30
; %bb.27:                               ;   in Loop: Header=BB164_26 Depth=3
	s_mov_b32 s30, s26
	s_mov_b32 s31, s26
	;; [unrolled: 1-line block ×3, first 2 shown]
	s_wait_xcnt 0x0
	s_mov_b32 s53, 0
	s_mov_b32 s54, s48
	s_mov_b32 s55, s39
.LBB164_28:                             ;   Parent Loop BB164_4 Depth=1
                                        ;     Parent Loop BB164_23 Depth=2
                                        ;       Parent Loop BB164_26 Depth=3
                                        ; =>      This Inner Loop Header: Depth=4
	s_add_co_i32 s56, s52, s31
	s_add_co_i32 s58, s53, s30
	s_ashr_i32 s57, s56, 31
	s_ashr_i32 s59, s58, 31
	v_lshl_add_u64 v[16:17], s[56:57], 3, v[12:13]
	v_lshl_add_u64 v[18:19], s[58:59], 3, v[12:13]
	v_mov_b64_e32 v[20:21], s[6:7]
	v_mov_b64_e32 v[22:23], s[22:23]
	s_add_co_i32 s54, s54, -2
	s_clause 0x1
	global_load_b64 v[16:17], v[16:17], off
	global_load_b64 v[18:19], v[18:19], off
	s_add_co_i32 s53, s53, 2
	s_add_co_i32 s52, s52, 2
	s_mov_b32 s16, s48
	s_mov_b32 s56, s49
	s_wait_loadcnt 0x0
	s_wait_xcnt 0x1
	v_dual_mov_b32 v25, v16 :: v_dual_mov_b32 v16, v19
	v_mov_b32_e32 v24, v18
	s_wait_xcnt 0x0
	s_delay_alu instid0(VALU_DEP_2) | instskip(SKIP_1) | instid1(VALU_DEP_2)
	v_pk_mul_f32 v[18:19], v[16:17], v[20:21]
	v_pk_mul_f32 v[16:17], v[16:17], v[22:23]
	v_pk_fma_f32 v[22:23], v[24:25], v[22:23], v[18:19] neg_lo:[0,0,1] neg_hi:[0,0,1]
	s_delay_alu instid0(VALU_DEP_2) | instskip(NEXT) | instid1(VALU_DEP_1)
	v_pk_fma_f32 v[18:19], v[24:25], v[20:21], v[16:17]
	v_dual_mov_b32 v16, v22 :: v_dual_mov_b32 v17, v18
	s_delay_alu instid0(VALU_DEP_3)
	v_mov_b32_e32 v18, v23
	scratch_store_b128 off, v[16:19], s55 offset:-8
	s_wait_xcnt 0x0
	s_add_co_i32 s55, s55, 16
	s_cmp_lg_u32 s54, 0
	s_cbranch_scc1 .LBB164_28
; %bb.29:                               ;   in Loop: Header=BB164_26 Depth=3
	s_and_b32 vcc_lo, exec_lo, s56
	s_cbranch_vccnz .LBB164_31
	s_branch .LBB164_33
.LBB164_30:                             ;   in Loop: Header=BB164_26 Depth=3
	s_mov_b32 s16, 0
	s_cbranch_execz .LBB164_33
.LBB164_31:                             ;   in Loop: Header=BB164_26 Depth=3
	s_add_nc_u64 s[30:31], s[26:27], s[16:17]
	s_wait_xcnt 0x0
	v_lshl_add_u64 v[16:17], s[30:31], 3, v[14:15]
	s_lshl_b32 s30, s16, 3
	s_sub_co_i32 s16, s46, s16
.LBB164_32:                             ;   Parent Loop BB164_4 Depth=1
                                        ;     Parent Loop BB164_23 Depth=2
                                        ;       Parent Loop BB164_26 Depth=3
                                        ; =>      This Inner Loop Header: Depth=4
	global_load_b64 v[18:19], v[16:17], off offset:-4
	v_mov_b64_e32 v[20:21], s[24:25]
	v_mov_b64_e32 v[22:23], s[18:19]
	s_wait_xcnt 0x0
	v_add_nc_u64_e32 v[16:17], 8, v[16:17]
	s_add_co_i32 s16, s16, -1
	s_wait_loadcnt 0x0
	s_delay_alu instid0(VALU_DEP_3) | instskip(NEXT) | instid1(VALU_DEP_1)
	v_pk_mul_f32 v[20:21], v[18:19], v[20:21] op_sel:[1,0]
	v_pk_fma_f32 v[24:25], v[18:19], v[22:23], v[20:21] op_sel_hi:[0,1,1]
	v_pk_fma_f32 v[18:19], v[18:19], v[22:23], v[20:21] neg_lo:[0,0,1] neg_hi:[0,0,1]
	s_delay_alu instid0(VALU_DEP_2)
	v_mov_b32_e32 v19, v25
	scratch_store_b64 off, v[18:19], s30
	s_wait_xcnt 0x0
	s_add_co_i32 s30, s30, 8
	s_cmp_eq_u32 s16, 0
	s_cbranch_scc0 .LBB164_32
.LBB164_33:                             ;   in Loop: Header=BB164_26 Depth=3
	s_cmp_lt_i32 s26, 1
	s_cbranch_scc1 .LBB164_45
; %bb.34:                               ;   in Loop: Header=BB164_26 Depth=3
	s_mov_b32 s31, 0
	s_mov_b32 s30, s26
	;; [unrolled: 1-line block ×4, first 2 shown]
	s_branch .LBB164_36
.LBB164_35:                             ;   in Loop: Header=BB164_36 Depth=4
	s_add_co_i32 s16, s16, 1
	s_add_co_i32 s31, s31, 8
	s_cmp_eq_u32 s16, s26
	s_cbranch_scc1 .LBB164_45
.LBB164_36:                             ;   Parent Loop BB164_4 Depth=1
                                        ;     Parent Loop BB164_23 Depth=2
                                        ;       Parent Loop BB164_26 Depth=3
                                        ; =>      This Loop Header: Depth=4
                                        ;           Child Loop BB164_38 Depth 5
                                        ;           Child Loop BB164_44 Depth 5
	s_wait_xcnt 0x0
	v_lshl_add_u64 v[16:17], s[16:17], 3, v[12:13]
	s_and_b32 vcc_lo, exec_lo, s47
	global_load_b64 v[16:17], v[16:17], off
	s_cbranch_vccz .LBB164_40
; %bb.37:                               ;   in Loop: Header=BB164_36 Depth=4
	s_wait_loadcnt 0x0
	v_dual_mov_b32 v20, v16 :: v_dual_mov_b32 v21, v16
	v_dual_mov_b32 v18, v17 :: v_dual_mov_b32 v22, v17
	v_mov_b32_e32 v23, v17
	s_lshl_b32 s53, s16, 3
	s_mov_b32 s54, 1
	s_mov_b32 s55, 0
	;; [unrolled: 1-line block ×4, first 2 shown]
.LBB164_38:                             ;   Parent Loop BB164_4 Depth=1
                                        ;     Parent Loop BB164_23 Depth=2
                                        ;       Parent Loop BB164_26 Depth=3
                                        ;         Parent Loop BB164_36 Depth=4
                                        ; =>        This Inner Loop Header: Depth=5
	scratch_load_b128 v[24:27], off, s57 offset:-8
	s_add_co_i32 s58, s54, s52
	s_add_co_i32 s59, s55, s30
	s_mulk_i32 s58, 0xe0
	s_mulk_i32 s59, 0xe0
	s_add_co_i32 s58, s53, s58
	s_add_co_i32 s59, s53, s59
	s_delay_alu instid0(SALU_CYCLE_1)
	v_dual_mov_b32 v19, s58 :: v_dual_mov_b32 v30, s59
	s_add_co_i32 s56, s56, -2
	s_add_co_i32 s55, s55, 2
	ds_load_b64 v[28:29], v19
	ds_load_b64 v[30:31], v30
	s_add_co_i32 s54, s54, 2
	s_wait_dscnt 0x0
	v_dual_mov_b32 v33, v28 :: v_dual_mov_b32 v28, v31
	v_mov_b32_e32 v32, v30
	s_delay_alu instid0(VALU_DEP_2) | instskip(SKIP_1) | instid1(VALU_DEP_2)
	v_pk_mul_f32 v[30:31], v[28:29], v[22:23]
	v_pk_mul_f32 v[28:29], v[28:29], v[20:21]
	v_pk_fma_f32 v[30:31], v[32:33], v[20:21], v[30:31] neg_lo:[0,0,1] neg_hi:[0,0,1]
	s_delay_alu instid0(VALU_DEP_2) | instskip(SKIP_3) | instid1(VALU_DEP_2)
	v_pk_fma_f32 v[28:29], v[32:33], v[22:23], v[28:29]
	s_wait_loadcnt 0x0
	v_dual_mov_b32 v32, v24 :: v_dual_mov_b32 v33, v26
	v_mov_b32_e32 v26, v25
	v_pk_add_f32 v[30:31], v[32:33], v[30:31] neg_lo:[0,1] neg_hi:[0,1]
	s_delay_alu instid0(VALU_DEP_2) | instskip(NEXT) | instid1(VALU_DEP_1)
	v_pk_add_f32 v[26:27], v[26:27], v[28:29] neg_lo:[0,1] neg_hi:[0,1]
	v_dual_mov_b32 v24, v30 :: v_dual_mov_b32 v25, v26
	s_delay_alu instid0(VALU_DEP_3)
	v_mov_b32_e32 v26, v31
	scratch_store_b128 off, v[24:27], s57 offset:-8
	s_wait_xcnt 0x0
	s_add_co_i32 s57, s57, 16
	s_cmp_lg_u32 s56, 0
	s_cbranch_scc1 .LBB164_38
; %bb.39:                               ;   in Loop: Header=BB164_36 Depth=4
	s_mov_b32 s53, s49
	s_mov_b32 s54, s48
	s_branch .LBB164_42
.LBB164_40:                             ;   in Loop: Header=BB164_36 Depth=4
	s_wait_loadcnt 0x0
	v_mov_b32_e32 v18, v17
	s_mov_b32 s53, 0
	s_mov_b32 s54, s48
	s_cbranch_execz .LBB164_42
; %bb.41:                               ;   in Loop: Header=BB164_36 Depth=4
	s_mov_b32 s53, -1
	s_mov_b32 s54, 0
.LBB164_42:                             ;   in Loop: Header=BB164_36 Depth=4
	s_and_not1_b32 vcc_lo, exec_lo, s53
	s_cbranch_vccnz .LBB164_35
; %bb.43:                               ;   in Loop: Header=BB164_36 Depth=4
	s_add_co_i32 s55, s26, s54
	s_wait_xcnt 0x0
	v_dual_mov_b32 v19, v17 :: v_dual_mov_b32 v17, v16
	s_mulk_i32 s55, 0xe0
	s_lshl_b32 s56, s54, 3
	s_sub_co_i32 s53, s46, s54
	s_add_co_i32 s54, s31, s55
	s_mov_b32 s55, s56
.LBB164_44:                             ;   Parent Loop BB164_4 Depth=1
                                        ;     Parent Loop BB164_23 Depth=2
                                        ;       Parent Loop BB164_26 Depth=3
                                        ;         Parent Loop BB164_36 Depth=4
                                        ; =>        This Inner Loop Header: Depth=5
	scratch_load_b64 v[20:21], off, s55
	v_mov_b32_e32 v22, s54
	s_add_co_i32 s53, s53, -1
	s_addk_co_i32 s54, 0xe0
	ds_load_b64 v[22:23], v22
	s_wait_dscnt 0x0
	v_pk_mul_f32 v[24:25], v[22:23], v[18:19] op_sel:[1,0] op_sel_hi:[0,1]
	s_delay_alu instid0(VALU_DEP_1) | instskip(SKIP_1) | instid1(VALU_DEP_2)
	v_pk_fma_f32 v[26:27], v[22:23], v[16:17], v[24:25]
	v_pk_fma_f32 v[22:23], v[22:23], v[16:17], v[24:25] neg_lo:[0,0,1] neg_hi:[0,0,1]
	v_mov_b32_e32 v23, v27
	s_wait_loadcnt 0x0
	s_delay_alu instid0(VALU_DEP_1)
	v_pk_add_f32 v[20:21], v[20:21], v[22:23] neg_lo:[0,1] neg_hi:[0,1]
	scratch_store_b64 off, v[20:21], s55
	s_wait_xcnt 0x0
	s_add_co_i32 s55, s55, 8
	s_cmp_eq_u32 s53, 0
	s_cbranch_scc0 .LBB164_44
	s_branch .LBB164_35
.LBB164_45:                             ;   in Loop: Header=BB164_26 Depth=3
	s_mov_b32 s16, 0
	s_mov_b32 s52, s50
	s_branch .LBB164_47
.LBB164_46:                             ;   in Loop: Header=BB164_47 Depth=4
	s_mul_i32 s31, s30, 0xe8
	s_wait_xcnt 0x0
	s_lshl_b32 s53, s16, 3
	s_wait_xcnt 0x0
	v_mov_b32_e32 v17, s31
	s_ashr_i32 s31, s30, 31
	s_add_co_i32 s16, s16, 1
	s_addk_co_i32 s52, 0xe0
	s_cmp_eq_u32 s16, s46
	ds_load_b64 v[20:21], v17
	s_wait_dscnt 0x0
	v_pk_mul_f32 v[18:19], v[20:21], v[18:19] op_sel:[1,0] op_sel_hi:[0,0]
	s_delay_alu instid0(VALU_DEP_1) | instskip(SKIP_2) | instid1(VALU_DEP_3)
	v_pk_fma_f32 v[22:23], v[20:21], v[16:17], v[18:19] op_sel_hi:[1,0,1]
	v_pk_fma_f32 v[16:17], v[20:21], v[16:17], v[18:19] neg_lo:[0,0,1] neg_hi:[0,0,1]
	v_lshl_add_u64 v[18:19], s[30:31], 3, v[12:13]
	v_mov_b32_e32 v17, v23
	scratch_store_b64 off, v[16:17], s53
	global_store_b64 v[18:19], v[16:17], off
	s_cbranch_scc1 .LBB164_25
.LBB164_47:                             ;   Parent Loop BB164_4 Depth=1
                                        ;     Parent Loop BB164_23 Depth=2
                                        ;       Parent Loop BB164_26 Depth=3
                                        ; =>      This Loop Header: Depth=4
                                        ;           Child Loop BB164_49 Depth 5
	s_cmp_lg_u32 s16, 0
	s_cbranch_scc0 .LBB164_51
; %bb.48:                               ;   in Loop: Header=BB164_47 Depth=4
	s_lshl_b32 s30, s16, 3
	s_mov_b32 s31, 0
	scratch_load_b64 v[16:17], off, s30
	s_mov_b32 s53, s52
	s_mov_b32 s54, s16
.LBB164_49:                             ;   Parent Loop BB164_4 Depth=1
                                        ;     Parent Loop BB164_23 Depth=2
                                        ;       Parent Loop BB164_26 Depth=3
                                        ;         Parent Loop BB164_47 Depth=4
                                        ; =>        This Inner Loop Header: Depth=5
	scratch_load_b64 v[18:19], off, s31
	v_mov_b32_e32 v20, s53
	s_add_co_i32 s54, s54, -1
	s_wait_xcnt 0x0
	s_add_co_i32 s31, s31, 8
	s_add_co_i32 s53, s53, 8
	s_cmp_eq_u32 s54, 0
	ds_load_b64 v[20:21], v20
	s_wait_loadcnt_dscnt 0x0
	v_pk_mul_f32 v[22:23], v[20:21], v[18:19] op_sel:[1,1] op_sel_hi:[0,1]
	s_delay_alu instid0(VALU_DEP_1) | instskip(SKIP_1) | instid1(VALU_DEP_2)
	v_pk_fma_f32 v[24:25], v[20:21], v[18:19], v[22:23] op_sel_hi:[1,0,1]
	v_pk_fma_f32 v[18:19], v[20:21], v[18:19], v[22:23] neg_lo:[0,0,1] neg_hi:[0,0,1]
	v_mov_b32_e32 v19, v25
	s_delay_alu instid0(VALU_DEP_1)
	v_pk_add_f32 v[16:17], v[16:17], v[18:19] neg_lo:[0,1] neg_hi:[0,1]
	scratch_store_b64 off, v[16:17], s30
	s_cbranch_scc0 .LBB164_49
; %bb.50:                               ;   in Loop: Header=BB164_47 Depth=4
	v_mov_b32_e32 v18, v17
	s_wait_xcnt 0x0
	s_add_co_i32 s30, s16, s26
	s_branch .LBB164_46
.LBB164_51:                             ;   in Loop: Header=BB164_47 Depth=4
                                        ; implicit-def: $vgpr16
                                        ; implicit-def: $vgpr18
                                        ; implicit-def: $sgpr30
	s_cbranch_execz .LBB164_46
; %bb.52:                               ;   in Loop: Header=BB164_47 Depth=4
	scratch_load_b64 v[16:17], off, off
	s_mov_b32 s30, s26
	s_wait_loadcnt 0x0
	v_mov_b32_e32 v18, v17
	s_branch .LBB164_46
.LBB164_53:                             ;   in Loop: Header=BB164_4 Depth=1
	s_mov_b32 s3, 0
.LBB164_54:                             ;   in Loop: Header=BB164_4 Depth=1
	s_delay_alu instid0(SALU_CYCLE_1)
	s_and_b32 vcc_lo, exec_lo, s3
	s_cbranch_vccz .LBB164_2
; %bb.55:                               ;   in Loop: Header=BB164_4 Depth=1
	v_add_nc_u64_e32 v[14:15], s[14:15], v[8:9]
	s_mov_b32 s3, 0
	s_mov_b32 s14, s36
	s_branch .LBB164_57
.LBB164_56:                             ;   in Loop: Header=BB164_57 Depth=2
	s_cmp_gt_i32 s14, -1
	s_cselect_b32 s15, -1, 0
	s_add_co_i32 s16, s3, 1
	s_cmp_lt_u32 s3, 2
	s_wait_xcnt 0x0
	s_cselect_b32 s3, -1, 0
	s_delay_alu instid0(SALU_CYCLE_1) | instskip(NEXT) | instid1(SALU_CYCLE_1)
	s_and_b32 s3, s15, s3
	s_and_not1_b32 vcc_lo, exec_lo, s3
	s_mov_b32 s3, s16
	s_cbranch_vccnz .LBB164_2
.LBB164_57:                             ;   Parent Loop BB164_4 Depth=1
                                        ; =>  This Loop Header: Depth=2
                                        ;       Child Loop BB164_60 Depth 3
                                        ;         Child Loop BB164_62 Depth 4
                                        ;         Child Loop BB164_66 Depth 4
	;; [unrolled: 1-line block ×3, first 2 shown]
                                        ;           Child Loop BB164_72 Depth 5
                                        ;           Child Loop BB164_78 Depth 5
                                        ;         Child Loop BB164_81 Depth 4
                                        ;           Child Loop BB164_83 Depth 5
	s_load_b32 s30, s[10:11], s3 offset:0x0 scale_offset
	s_wait_kmcnt 0x0
	s_add_co_i32 s31, s30, -1
	s_delay_alu instid0(SALU_CYCLE_1)
	s_cmp_lt_i32 s14, s31
	s_cbranch_scc1 .LBB164_56
; %bb.58:                               ;   in Loop: Header=BB164_57 Depth=2
	s_max_i32 s45, s30, 1
	s_cmp_lg_u32 s3, 2
	s_mul_i32 s51, s14, 0xe8
	s_cselect_b32 s46, -1, 0
	s_and_b32 s47, s45, 0x7ffffffe
	s_mul_i32 s52, s30, 0xffffff18
	s_cmp_lg_u32 s45, s47
	s_cselect_b32 s48, -1, 0
	s_lshl_b32 s15, s14, 3
	s_lshl_b32 s16, s30, 3
	s_add_co_i32 s49, s40, s15
	s_sub_co_i32 s50, 0, s16
	s_branch .LBB164_60
.LBB164_59:                             ;   in Loop: Header=BB164_60 Depth=3
	s_sub_co_i32 s14, s14, s30
	s_add_co_i32 s49, s49, s50
	s_add_co_i32 s51, s51, s52
	s_cmp_lt_i32 s14, s31
	s_cbranch_scc1 .LBB164_56
.LBB164_60:                             ;   Parent Loop BB164_4 Depth=1
                                        ;     Parent Loop BB164_57 Depth=2
                                        ; =>    This Loop Header: Depth=3
                                        ;         Child Loop BB164_62 Depth 4
                                        ;         Child Loop BB164_66 Depth 4
	;; [unrolled: 1-line block ×3, first 2 shown]
                                        ;           Child Loop BB164_72 Depth 5
                                        ;           Child Loop BB164_78 Depth 5
                                        ;         Child Loop BB164_81 Depth 4
                                        ;           Child Loop BB164_83 Depth 5
	s_and_not1_b32 vcc_lo, exec_lo, s46
	s_cbranch_vccnz .LBB164_64
; %bb.61:                               ;   in Loop: Header=BB164_60 Depth=3
	s_mov_b32 s15, s14
	s_mov_b32 s26, 1
	;; [unrolled: 1-line block ×3, first 2 shown]
	s_wait_xcnt 0x0
	s_mov_b32 s28, s47
	s_mov_b32 s29, s39
.LBB164_62:                             ;   Parent Loop BB164_4 Depth=1
                                        ;     Parent Loop BB164_57 Depth=2
                                        ;       Parent Loop BB164_60 Depth=3
                                        ; =>      This Inner Loop Header: Depth=4
	s_sub_co_i32 s54, s15, s26
	s_sub_co_i32 s56, s14, s27
	s_ashr_i32 s55, s54, 31
	s_ashr_i32 s57, s56, 31
	v_lshl_add_u64 v[16:17], s[54:55], 3, v[12:13]
	v_lshl_add_u64 v[18:19], s[56:57], 3, v[12:13]
	s_add_co_i32 s28, s28, -2
	s_add_co_i32 s27, s27, 2
	s_add_co_i32 s26, s26, 2
	s_clause 0x1
	global_load_b64 v[20:21], v[16:17], off
	global_load_b64 v[22:23], v[18:19], off
	s_wait_xcnt 0x1
	v_mov_b64_e32 v[16:17], s[6:7]
	s_wait_xcnt 0x0
	v_mov_b64_e32 v[18:19], s[22:23]
	s_mov_b32 s16, s47
	s_mov_b32 s53, s48
	s_wait_loadcnt 0x0
	v_dual_mov_b32 v25, v20 :: v_dual_mov_b32 v20, v23
	v_mov_b32_e32 v24, v22
	s_delay_alu instid0(VALU_DEP_2) | instskip(SKIP_1) | instid1(VALU_DEP_2)
	v_pk_mul_f32 v[22:23], v[20:21], v[16:17]
	v_pk_mul_f32 v[20:21], v[20:21], v[18:19]
	v_pk_fma_f32 v[22:23], v[24:25], v[18:19], v[22:23] neg_lo:[0,0,1] neg_hi:[0,0,1]
	s_delay_alu instid0(VALU_DEP_2) | instskip(NEXT) | instid1(VALU_DEP_1)
	v_pk_fma_f32 v[18:19], v[24:25], v[16:17], v[20:21]
	v_dual_mov_b32 v16, v22 :: v_dual_mov_b32 v17, v18
	s_delay_alu instid0(VALU_DEP_3)
	v_mov_b32_e32 v18, v23
	scratch_store_b128 off, v[16:19], s29 offset:-8
	s_wait_xcnt 0x0
	s_add_co_i32 s29, s29, 16
	s_cmp_lg_u32 s28, 0
	s_cbranch_scc1 .LBB164_62
; %bb.63:                               ;   in Loop: Header=BB164_60 Depth=3
	s_and_b32 vcc_lo, exec_lo, s53
	s_ashr_i32 s15, s14, 31
	s_cbranch_vccnz .LBB164_65
	s_branch .LBB164_67
.LBB164_64:                             ;   in Loop: Header=BB164_60 Depth=3
	s_mov_b32 s16, 0
	s_ashr_i32 s15, s14, 31
	s_cbranch_execz .LBB164_67
.LBB164_65:                             ;   in Loop: Header=BB164_60 Depth=3
	s_lshl_b64 s[26:27], s[14:15], 3
	s_wait_xcnt 0x0
	s_lshl_b64 s[28:29], s[16:17], 3
	s_delay_alu instid0(SALU_CYCLE_1) | instskip(NEXT) | instid1(SALU_CYCLE_1)
	s_sub_nc_u64 s[26:27], s[26:27], s[28:29]
	v_add_nc_u64_e32 v[16:17], s[26:27], v[14:15]
	s_lshl_b32 s26, s16, 3
	s_sub_co_i32 s16, s45, s16
.LBB164_66:                             ;   Parent Loop BB164_4 Depth=1
                                        ;     Parent Loop BB164_57 Depth=2
                                        ;       Parent Loop BB164_60 Depth=3
                                        ; =>      This Inner Loop Header: Depth=4
	global_load_b64 v[18:19], v[16:17], off offset:-4
	v_mov_b64_e32 v[20:21], s[24:25]
	v_mov_b64_e32 v[22:23], s[18:19]
	s_wait_xcnt 0x0
	v_add_nc_u64_e32 v[16:17], -8, v[16:17]
	s_add_co_i32 s16, s16, -1
	s_wait_loadcnt 0x0
	s_delay_alu instid0(VALU_DEP_3) | instskip(NEXT) | instid1(VALU_DEP_1)
	v_pk_mul_f32 v[20:21], v[18:19], v[20:21] op_sel:[1,0]
	v_pk_fma_f32 v[24:25], v[18:19], v[22:23], v[20:21] op_sel_hi:[0,1,1]
	v_pk_fma_f32 v[18:19], v[18:19], v[22:23], v[20:21] neg_lo:[0,0,1] neg_hi:[0,0,1]
	s_delay_alu instid0(VALU_DEP_2)
	v_mov_b32_e32 v19, v25
	scratch_store_b64 off, v[18:19], s26
	s_wait_xcnt 0x0
	s_add_co_i32 s26, s26, 8
	s_cmp_eq_u32 s16, 0
	s_cbranch_scc0 .LBB164_66
.LBB164_67:                             ;   in Loop: Header=BB164_60 Depth=3
	s_cmp_le_i32 s36, s14
	s_cbranch_scc1 .LBB164_79
; %bb.68:                               ;   in Loop: Header=BB164_60 Depth=3
	s_mov_b32 s16, s14
	s_wait_xcnt 0x0
	s_mov_b32 s28, s14
	s_mov_b32 s29, s49
	;; [unrolled: 1-line block ×3, first 2 shown]
	s_branch .LBB164_70
.LBB164_69:                             ;   in Loop: Header=BB164_70 Depth=4
	s_add_co_i32 s26, s26, -1
	s_addk_co_i32 s29, 0xff20
	s_cmp_le_i32 s26, s14
	s_cbranch_scc1 .LBB164_79
.LBB164_70:                             ;   Parent Loop BB164_4 Depth=1
                                        ;     Parent Loop BB164_57 Depth=2
                                        ;       Parent Loop BB164_60 Depth=3
                                        ; =>      This Loop Header: Depth=4
                                        ;           Child Loop BB164_72 Depth 5
                                        ;           Child Loop BB164_78 Depth 5
	s_ashr_i32 s27, s26, 31
	s_and_b32 vcc_lo, exec_lo, s46
	s_wait_xcnt 0x0
	v_lshl_add_u64 v[16:17], s[26:27], 3, v[12:13]
	global_load_b64 v[16:17], v[16:17], off
	s_cbranch_vccz .LBB164_74
; %bb.71:                               ;   in Loop: Header=BB164_70 Depth=4
	s_wait_loadcnt 0x0
	v_dual_mov_b32 v20, v16 :: v_dual_mov_b32 v21, v16
	v_dual_mov_b32 v18, v17 :: v_dual_mov_b32 v22, v17
	v_mov_b32_e32 v23, v17
	s_mul_i32 s27, s26, 0xe0
	s_mov_b32 s53, 1
	s_mov_b32 s54, 0
	;; [unrolled: 1-line block ×4, first 2 shown]
.LBB164_72:                             ;   Parent Loop BB164_4 Depth=1
                                        ;     Parent Loop BB164_57 Depth=2
                                        ;       Parent Loop BB164_60 Depth=3
                                        ;         Parent Loop BB164_70 Depth=4
                                        ; =>        This Inner Loop Header: Depth=5
	scratch_load_b128 v[24:27], off, s56 offset:-8
	s_sub_co_i32 s57, s28, s53
	s_sub_co_i32 s58, s16, s54
	s_lshl_b32 s57, s57, 3
	s_lshl_b32 s58, s58, 3
	s_add_co_i32 s57, s27, s57
	s_add_co_i32 s58, s27, s58
	s_delay_alu instid0(SALU_CYCLE_1)
	v_dual_mov_b32 v19, s57 :: v_dual_mov_b32 v30, s58
	s_add_co_i32 s55, s55, -2
	s_add_co_i32 s54, s54, 2
	ds_load_b64 v[28:29], v19
	ds_load_b64 v[30:31], v30
	s_add_co_i32 s53, s53, 2
	s_wait_dscnt 0x0
	v_dual_mov_b32 v33, v28 :: v_dual_mov_b32 v28, v31
	v_mov_b32_e32 v32, v30
	s_delay_alu instid0(VALU_DEP_2) | instskip(SKIP_1) | instid1(VALU_DEP_2)
	v_pk_mul_f32 v[30:31], v[28:29], v[22:23]
	v_pk_mul_f32 v[28:29], v[28:29], v[20:21]
	v_pk_fma_f32 v[30:31], v[32:33], v[20:21], v[30:31] neg_lo:[0,0,1] neg_hi:[0,0,1]
	s_delay_alu instid0(VALU_DEP_2) | instskip(SKIP_3) | instid1(VALU_DEP_2)
	v_pk_fma_f32 v[28:29], v[32:33], v[22:23], v[28:29]
	s_wait_loadcnt 0x0
	v_dual_mov_b32 v32, v24 :: v_dual_mov_b32 v33, v26
	v_mov_b32_e32 v26, v25
	v_pk_add_f32 v[30:31], v[32:33], v[30:31] neg_lo:[0,1] neg_hi:[0,1]
	s_delay_alu instid0(VALU_DEP_2) | instskip(NEXT) | instid1(VALU_DEP_1)
	v_pk_add_f32 v[26:27], v[26:27], v[28:29] neg_lo:[0,1] neg_hi:[0,1]
	v_dual_mov_b32 v24, v30 :: v_dual_mov_b32 v25, v26
	s_delay_alu instid0(VALU_DEP_3)
	v_mov_b32_e32 v26, v31
	scratch_store_b128 off, v[24:27], s56 offset:-8
	s_wait_xcnt 0x0
	s_add_co_i32 s56, s56, 16
	s_cmp_lg_u32 s55, 0
	s_cbranch_scc1 .LBB164_72
; %bb.73:                               ;   in Loop: Header=BB164_70 Depth=4
	s_mov_b32 s27, s48
	s_mov_b32 s53, s47
	s_branch .LBB164_76
.LBB164_74:                             ;   in Loop: Header=BB164_70 Depth=4
	s_wait_loadcnt 0x0
	v_mov_b32_e32 v18, v17
	s_mov_b32 s27, 0
	s_mov_b32 s53, s47
	s_cbranch_execz .LBB164_76
; %bb.75:                               ;   in Loop: Header=BB164_70 Depth=4
	s_mov_b32 s27, -1
	s_mov_b32 s53, 0
.LBB164_76:                             ;   in Loop: Header=BB164_70 Depth=4
	s_and_not1_b32 vcc_lo, exec_lo, s27
	s_cbranch_vccnz .LBB164_69
; %bb.77:                               ;   in Loop: Header=BB164_70 Depth=4
	s_wait_xcnt 0x0
	v_dual_mov_b32 v19, v17 :: v_dual_mov_b32 v17, v16
	s_lshl_b32 s54, s53, 3
	s_sub_co_i32 s27, s45, s53
	s_sub_co_i32 s53, s29, s54
.LBB164_78:                             ;   Parent Loop BB164_4 Depth=1
                                        ;     Parent Loop BB164_57 Depth=2
                                        ;       Parent Loop BB164_60 Depth=3
                                        ;         Parent Loop BB164_70 Depth=4
                                        ; =>        This Inner Loop Header: Depth=5
	scratch_load_b64 v[20:21], off, s54
	v_mov_b32_e32 v22, s53
	s_add_co_i32 s27, s27, -1
	s_add_co_i32 s53, s53, -8
	ds_load_b64 v[22:23], v22
	s_wait_dscnt 0x0
	v_pk_mul_f32 v[24:25], v[22:23], v[18:19] op_sel:[1,0] op_sel_hi:[0,1]
	s_delay_alu instid0(VALU_DEP_1) | instskip(SKIP_1) | instid1(VALU_DEP_2)
	v_pk_fma_f32 v[26:27], v[22:23], v[16:17], v[24:25]
	v_pk_fma_f32 v[22:23], v[22:23], v[16:17], v[24:25] neg_lo:[0,0,1] neg_hi:[0,0,1]
	v_mov_b32_e32 v23, v27
	s_wait_loadcnt 0x0
	s_delay_alu instid0(VALU_DEP_1)
	v_pk_add_f32 v[20:21], v[20:21], v[22:23] neg_lo:[0,1] neg_hi:[0,1]
	scratch_store_b64 off, v[20:21], s54
	s_wait_xcnt 0x0
	s_add_co_i32 s54, s54, 8
	s_cmp_eq_u32 s27, 0
	s_cbranch_scc0 .LBB164_78
	s_branch .LBB164_69
.LBB164_79:                             ;   in Loop: Header=BB164_60 Depth=3
	s_mov_b32 s16, 0
	s_mov_b32 s53, s51
	s_branch .LBB164_81
.LBB164_80:                             ;   in Loop: Header=BB164_81 Depth=4
	s_wait_xcnt 0x0
	s_mulk_i32 s28, 0xe8
	v_lshl_add_u64 v[24:25], s[26:27], 3, v[12:13]
	s_wait_xcnt 0x0
	v_mov_b32_e32 v17, s28
	s_lshl_b32 s28, s16, 3
	s_add_co_i32 s16, s16, 1
	s_add_co_i32 s53, s53, -8
	s_cmp_eq_u32 s16, s45
	ds_load_b64 v[20:21], v17
	s_wait_dscnt 0x0
	v_pk_mul_f32 v[18:19], v[20:21], v[18:19] op_sel:[1,0] op_sel_hi:[0,0]
	s_delay_alu instid0(VALU_DEP_1) | instskip(SKIP_1) | instid1(VALU_DEP_2)
	v_pk_fma_f32 v[22:23], v[20:21], v[16:17], v[18:19] op_sel_hi:[1,0,1]
	v_pk_fma_f32 v[16:17], v[20:21], v[16:17], v[18:19] neg_lo:[0,0,1] neg_hi:[0,0,1]
	v_mov_b32_e32 v17, v23
	scratch_store_b64 off, v[16:17], s28
	global_store_b64 v[24:25], v[16:17], off
	s_cbranch_scc1 .LBB164_59
.LBB164_81:                             ;   Parent Loop BB164_4 Depth=1
                                        ;     Parent Loop BB164_57 Depth=2
                                        ;       Parent Loop BB164_60 Depth=3
                                        ; =>      This Loop Header: Depth=4
                                        ;           Child Loop BB164_83 Depth 5
	s_cmp_lg_u32 s16, 0
	s_cbranch_scc0 .LBB164_85
; %bb.82:                               ;   in Loop: Header=BB164_81 Depth=4
	s_lshl_b32 s26, s16, 3
	s_mov_b32 s27, 0
	scratch_load_b64 v[16:17], off, s26
	s_mov_b32 s28, s53
	s_mov_b32 s29, s16
.LBB164_83:                             ;   Parent Loop BB164_4 Depth=1
                                        ;     Parent Loop BB164_57 Depth=2
                                        ;       Parent Loop BB164_60 Depth=3
                                        ;         Parent Loop BB164_81 Depth=4
                                        ; =>        This Inner Loop Header: Depth=5
	scratch_load_b64 v[18:19], off, s27
	v_mov_b32_e32 v20, s28
	s_add_co_i32 s29, s29, -1
	s_addk_co_i32 s28, 0xff20
	s_wait_xcnt 0x0
	s_add_co_i32 s27, s27, 8
	s_cmp_eq_u32 s29, 0
	ds_load_b64 v[20:21], v20
	s_wait_loadcnt_dscnt 0x0
	v_pk_mul_f32 v[22:23], v[20:21], v[18:19] op_sel:[1,1] op_sel_hi:[0,1]
	s_delay_alu instid0(VALU_DEP_1) | instskip(SKIP_1) | instid1(VALU_DEP_2)
	v_pk_fma_f32 v[24:25], v[20:21], v[18:19], v[22:23] op_sel_hi:[1,0,1]
	v_pk_fma_f32 v[18:19], v[20:21], v[18:19], v[22:23] neg_lo:[0,0,1] neg_hi:[0,0,1]
	v_mov_b32_e32 v19, v25
	s_delay_alu instid0(VALU_DEP_1)
	v_pk_add_f32 v[16:17], v[16:17], v[18:19] neg_lo:[0,1] neg_hi:[0,1]
	scratch_store_b64 off, v[16:17], s26
	s_cbranch_scc0 .LBB164_83
; %bb.84:                               ;   in Loop: Header=BB164_81 Depth=4
	s_sub_co_i32 s28, s14, s16
	v_mov_b32_e32 v18, v17
	s_ashr_i32 s29, s28, 31
	s_wait_xcnt 0x0
	s_mov_b64 s[26:27], s[28:29]
	s_branch .LBB164_80
.LBB164_85:                             ;   in Loop: Header=BB164_81 Depth=4
                                        ; implicit-def: $vgpr16
                                        ; implicit-def: $vgpr18
                                        ; implicit-def: $sgpr28
                                        ; implicit-def: $sgpr26_sgpr27
	s_cbranch_execz .LBB164_80
; %bb.86:                               ;   in Loop: Header=BB164_81 Depth=4
	scratch_load_b64 v[16:17], off, off
	s_mov_b64 s[26:27], s[14:15]
	s_mov_b32 s28, s14
	s_wait_loadcnt 0x0
	v_mov_b32_e32 v18, v17
	s_branch .LBB164_80
.LBB164_87:
	s_or_b32 exec_lo, exec_lo, s41
	s_and_saveexec_b32 s0, s42
	s_delay_alu instid0(SALU_CYCLE_1)
	s_xor_b32 s0, exec_lo, s0
.LBB164_88:
	s_endpgm
	.section	.rodata,"a",@progbits
	.p2align	6, 0x0
	.amdhsa_kernel _ZL30rocblas_trsm_small_left_deviceILi28ELi28ELb0E19rocblas_complex_numIfES1_PKS1_PS1_Ev13rocblas_fill_18rocblas_operation_17rocblas_diagonal_iiT3_T4_lilT5_lili
		.amdhsa_group_segment_fixed_size 6272
		.amdhsa_private_segment_fixed_size 240
		.amdhsa_kernarg_size 360
		.amdhsa_user_sgpr_count 2
		.amdhsa_user_sgpr_dispatch_ptr 0
		.amdhsa_user_sgpr_queue_ptr 0
		.amdhsa_user_sgpr_kernarg_segment_ptr 1
		.amdhsa_user_sgpr_dispatch_id 0
		.amdhsa_user_sgpr_kernarg_preload_length 0
		.amdhsa_user_sgpr_kernarg_preload_offset 0
		.amdhsa_user_sgpr_private_segment_size 0
		.amdhsa_wavefront_size32 1
		.amdhsa_uses_dynamic_stack 0
		.amdhsa_enable_private_segment 1
		.amdhsa_system_sgpr_workgroup_id_x 1
		.amdhsa_system_sgpr_workgroup_id_y 0
		.amdhsa_system_sgpr_workgroup_id_z 1
		.amdhsa_system_sgpr_workgroup_info 0
		.amdhsa_system_vgpr_workitem_id 0
		.amdhsa_next_free_vgpr 34
		.amdhsa_next_free_sgpr 60
		.amdhsa_named_barrier_count 0
		.amdhsa_reserve_vcc 1
		.amdhsa_float_round_mode_32 0
		.amdhsa_float_round_mode_16_64 0
		.amdhsa_float_denorm_mode_32 3
		.amdhsa_float_denorm_mode_16_64 3
		.amdhsa_fp16_overflow 0
		.amdhsa_memory_ordered 1
		.amdhsa_forward_progress 1
		.amdhsa_inst_pref_size 33
		.amdhsa_round_robin_scheduling 0
		.amdhsa_exception_fp_ieee_invalid_op 0
		.amdhsa_exception_fp_denorm_src 0
		.amdhsa_exception_fp_ieee_div_zero 0
		.amdhsa_exception_fp_ieee_overflow 0
		.amdhsa_exception_fp_ieee_underflow 0
		.amdhsa_exception_fp_ieee_inexact 0
		.amdhsa_exception_int_div_zero 0
	.end_amdhsa_kernel
	.section	.text._ZL30rocblas_trsm_small_left_deviceILi28ELi28ELb0E19rocblas_complex_numIfES1_PKS1_PS1_Ev13rocblas_fill_18rocblas_operation_17rocblas_diagonal_iiT3_T4_lilT5_lili,"axG",@progbits,_ZL30rocblas_trsm_small_left_deviceILi28ELi28ELb0E19rocblas_complex_numIfES1_PKS1_PS1_Ev13rocblas_fill_18rocblas_operation_17rocblas_diagonal_iiT3_T4_lilT5_lili,comdat
.Lfunc_end164:
	.size	_ZL30rocblas_trsm_small_left_deviceILi28ELi28ELb0E19rocblas_complex_numIfES1_PKS1_PS1_Ev13rocblas_fill_18rocblas_operation_17rocblas_diagonal_iiT3_T4_lilT5_lili, .Lfunc_end164-_ZL30rocblas_trsm_small_left_deviceILi28ELi28ELb0E19rocblas_complex_numIfES1_PKS1_PS1_Ev13rocblas_fill_18rocblas_operation_17rocblas_diagonal_iiT3_T4_lilT5_lili
                                        ; -- End function
	.set _ZL30rocblas_trsm_small_left_deviceILi28ELi28ELb0E19rocblas_complex_numIfES1_PKS1_PS1_Ev13rocblas_fill_18rocblas_operation_17rocblas_diagonal_iiT3_T4_lilT5_lili.num_vgpr, 34
	.set _ZL30rocblas_trsm_small_left_deviceILi28ELi28ELb0E19rocblas_complex_numIfES1_PKS1_PS1_Ev13rocblas_fill_18rocblas_operation_17rocblas_diagonal_iiT3_T4_lilT5_lili.num_agpr, 0
	.set _ZL30rocblas_trsm_small_left_deviceILi28ELi28ELb0E19rocblas_complex_numIfES1_PKS1_PS1_Ev13rocblas_fill_18rocblas_operation_17rocblas_diagonal_iiT3_T4_lilT5_lili.numbered_sgpr, 60
	.set _ZL30rocblas_trsm_small_left_deviceILi28ELi28ELb0E19rocblas_complex_numIfES1_PKS1_PS1_Ev13rocblas_fill_18rocblas_operation_17rocblas_diagonal_iiT3_T4_lilT5_lili.num_named_barrier, 0
	.set _ZL30rocblas_trsm_small_left_deviceILi28ELi28ELb0E19rocblas_complex_numIfES1_PKS1_PS1_Ev13rocblas_fill_18rocblas_operation_17rocblas_diagonal_iiT3_T4_lilT5_lili.private_seg_size, 240
	.set _ZL30rocblas_trsm_small_left_deviceILi28ELi28ELb0E19rocblas_complex_numIfES1_PKS1_PS1_Ev13rocblas_fill_18rocblas_operation_17rocblas_diagonal_iiT3_T4_lilT5_lili.uses_vcc, 1
	.set _ZL30rocblas_trsm_small_left_deviceILi28ELi28ELb0E19rocblas_complex_numIfES1_PKS1_PS1_Ev13rocblas_fill_18rocblas_operation_17rocblas_diagonal_iiT3_T4_lilT5_lili.uses_flat_scratch, 0
	.set _ZL30rocblas_trsm_small_left_deviceILi28ELi28ELb0E19rocblas_complex_numIfES1_PKS1_PS1_Ev13rocblas_fill_18rocblas_operation_17rocblas_diagonal_iiT3_T4_lilT5_lili.has_dyn_sized_stack, 0
	.set _ZL30rocblas_trsm_small_left_deviceILi28ELi28ELb0E19rocblas_complex_numIfES1_PKS1_PS1_Ev13rocblas_fill_18rocblas_operation_17rocblas_diagonal_iiT3_T4_lilT5_lili.has_recursion, 0
	.set _ZL30rocblas_trsm_small_left_deviceILi28ELi28ELb0E19rocblas_complex_numIfES1_PKS1_PS1_Ev13rocblas_fill_18rocblas_operation_17rocblas_diagonal_iiT3_T4_lilT5_lili.has_indirect_call, 0
	.section	.AMDGPU.csdata,"",@progbits
; Kernel info:
; codeLenInByte = 4148
; TotalNumSgprs: 62
; NumVgprs: 34
; ScratchSize: 240
; MemoryBound: 0
; FloatMode: 240
; IeeeMode: 1
; LDSByteSize: 6272 bytes/workgroup (compile time only)
; SGPRBlocks: 0
; VGPRBlocks: 2
; NumSGPRsForWavesPerEU: 62
; NumVGPRsForWavesPerEU: 34
; NamedBarCnt: 0
; Occupancy: 13
; WaveLimiterHint : 1
; COMPUTE_PGM_RSRC2:SCRATCH_EN: 1
; COMPUTE_PGM_RSRC2:USER_SGPR: 2
; COMPUTE_PGM_RSRC2:TRAP_HANDLER: 0
; COMPUTE_PGM_RSRC2:TGID_X_EN: 1
; COMPUTE_PGM_RSRC2:TGID_Y_EN: 0
; COMPUTE_PGM_RSRC2:TGID_Z_EN: 1
; COMPUTE_PGM_RSRC2:TIDIG_COMP_CNT: 0
	.section	.text._ZL38rocblas_trsm_small_left_device_sharedBILi28ELi28ELb1E19rocblas_complex_numIfES1_PKS1_PS1_Ev13rocblas_fill_18rocblas_operation_17rocblas_diagonal_iiT3_T4_lilT5_lili,"axG",@progbits,_ZL38rocblas_trsm_small_left_device_sharedBILi28ELi28ELb1E19rocblas_complex_numIfES1_PKS1_PS1_Ev13rocblas_fill_18rocblas_operation_17rocblas_diagonal_iiT3_T4_lilT5_lili,comdat
	.globl	_ZL38rocblas_trsm_small_left_device_sharedBILi28ELi28ELb1E19rocblas_complex_numIfES1_PKS1_PS1_Ev13rocblas_fill_18rocblas_operation_17rocblas_diagonal_iiT3_T4_lilT5_lili ; -- Begin function _ZL38rocblas_trsm_small_left_device_sharedBILi28ELi28ELb1E19rocblas_complex_numIfES1_PKS1_PS1_Ev13rocblas_fill_18rocblas_operation_17rocblas_diagonal_iiT3_T4_lilT5_lili
	.p2align	8
	.type	_ZL38rocblas_trsm_small_left_device_sharedBILi28ELi28ELb1E19rocblas_complex_numIfES1_PKS1_PS1_Ev13rocblas_fill_18rocblas_operation_17rocblas_diagonal_iiT3_T4_lilT5_lili,@function
_ZL38rocblas_trsm_small_left_device_sharedBILi28ELi28ELb1E19rocblas_complex_numIfES1_PKS1_PS1_Ev13rocblas_fill_18rocblas_operation_17rocblas_diagonal_iiT3_T4_lilT5_lili: ; @_ZL38rocblas_trsm_small_left_device_sharedBILi28ELi28ELb1E19rocblas_complex_numIfES1_PKS1_PS1_Ev13rocblas_fill_18rocblas_operation_17rocblas_diagonal_iiT3_T4_lilT5_lili
; %bb.0:
	s_load_b32 s30, s[0:1], 0x60
	s_bfe_u32 s2, ttmp6, 0x40014
	s_lshr_b32 s4, ttmp7, 16
	s_add_co_i32 s2, s2, 1
	s_bfe_u32 s5, ttmp6, 0x40008
	s_mul_i32 s2, s4, s2
	s_getreg_b32 s3, hwreg(HW_REG_IB_STS2, 6, 4)
	s_add_co_i32 s5, s5, s2
	s_cmp_eq_u32 s3, 0
	s_mov_b32 s19, 0
	s_cselect_b32 s2, s4, s5
	s_wait_kmcnt 0x0
	s_cmp_ge_u32 s2, s30
	s_cbranch_scc1 .LBB165_86
; %bb.1:
	s_clause 0x7
	s_load_b32 s24, s[0:1], 0x30
	s_load_b96 s[16:18], s[0:1], 0x48
	s_load_b128 s[4:7], s[0:1], 0x4
	s_load_b32 s26, s[0:1], 0x68
	s_load_b128 s[12:15], s[0:1], 0x20
	s_load_b128 s[8:11], s[0:1], 0x38
	s_load_b64 s[20:21], s[0:1], 0x58
	s_load_b64 s[22:23], s[0:1], 0x14
	v_dual_mov_b32 v1, 0 :: v_dual_lshlrev_b32 v2, 3, v0
	v_mul_u32_u24_e32 v6, 0xe0, v0
	v_mov_b64_e32 v[4:5], 0xbf80000000000000
	v_mov_b64_e32 v[12:13], 0x3f800000
	s_delay_alu instid0(VALU_DEP_4) | instskip(NEXT) | instid1(VALU_DEP_4)
	v_dual_mov_b32 v3, v1 :: v_dual_add_nc_u32 v22, 0x1880, v2
	v_add_nc_u32_e32 v23, v2, v6
	s_wait_kmcnt 0x0
	s_ashr_i32 s25, s24, 31
	s_ashr_i32 s27, s18, 31
	s_cmp_lg_u32 s4, 0x71
	s_cselect_b32 s1, -1, 0
	s_bfe_u32 s0, ttmp6, 0x4000c
	s_lshl_b64 s[28:29], s[16:17], 3
	s_add_co_i32 s0, s0, 1
	s_min_i32 s31, s6, 28
	s_and_b32 s16, ttmp6, 15
	s_mul_i32 s0, ttmp9, s0
	s_add_co_i32 s26, s26, -1
	s_add_co_i32 s33, s31, -1
	s_add_co_i32 s16, s16, s0
	s_cmp_eq_u32 s3, 0
	s_add_nc_u64 s[10:11], s[10:11], s[28:29]
	s_cselect_b32 s0, ttmp9, s16
	s_mov_b32 s16, s22
	s_mul_i32 s3, s0, 0xffffffe4
	s_mul_i32 s34, s0, 28
	s_add_co_i32 s3, s7, s3
	s_cmp_ge_u32 s0, s26
	s_mov_b32 s26, s18
	s_cselect_b32 s0, s3, 28
	s_ashr_i32 s35, s34, 31
	v_mul_u64_e32 v[8:9], s[26:27], v[0:1]
	v_lshl_add_u64 v[10:11], s[34:35], 3, v[2:3]
	s_mul_u64 s[28:29], s[26:27], s[34:35]
	v_cmp_gt_i32_e32 vcc_lo, s0, v0
	s_lshl_b64 s[28:29], s[28:29], 3
	s_cmp_lg_u32 s5, 0x84
	v_mad_nc_u64_u32 v[6:7], v10, s18, s[10:11]
	s_cselect_b32 s34, -1, 0
	s_cmp_gt_i32 s6, 0
	s_mov_b32 s17, s22
	s_cselect_b32 s0, -1, 0
	s_cmp_lg_u32 s4, 0x6f
	s_mov_b32 s4, s23
	s_cselect_b32 s35, -1, 0
	s_and_b32 s36, vcc_lo, s0
	s_cmp_gt_i32 s6, 1
	v_cmp_gt_i32_e64 s0, s31, v0
	v_mad_u32 v1, v11, s18, v7
	s_cselect_b32 s37, -1, 0
	s_and_b32 s38, s31, 30
	s_mov_b32 s5, s23
	s_cmp_lg_u32 s31, s38
	s_mov_b32 s6, s23
	s_cselect_b32 s39, -1, 0
	s_lshl_b64 s[14:15], s[14:15], 3
	s_lshl_b32 s41, s31, 3
	s_add_nc_u64 s[12:13], s[12:13], s[14:15]
	s_mov_b32 s7, s22
	v_mad_u32 v7, v10, s27, v1
	v_add_nc_u64_e32 v[10:11], s[12:13], v[2:3]
	s_add_nc_u64 s[10:11], s[10:11], s[28:29]
	s_lshl_b64 s[8:9], s[8:9], 3
	s_lshl_b64 s[12:13], s[24:25], 3
	;; [unrolled: 1-line block ×3, first 2 shown]
	s_or_b32 s40, 0, 8
	s_add_co_i32 s41, s41, -8
	v_add_nc_u64_e32 v[0:1], 4, v[10:11]
	s_get_pc_i64 s[24:25]
	s_add_nc_u64 s[24:25], s[24:25], __const._ZL38rocblas_trsm_small_left_device_sharedBILi28ELi28ELb1E19rocblas_complex_numIfES1_PKS1_PS1_Ev13rocblas_fill_18rocblas_operation_17rocblas_diagonal_iiT3_T4_lilT5_lili.step_sizes@rel64+4
	v_add_nc_u64_e32 v[10:11], 4, v[6:7]
	s_branch .LBB165_3
.LBB165_2:                              ;   in Loop: Header=BB165_3 Depth=1
	s_or_b32 exec_lo, exec_lo, s3
	s_add_co_i32 s2, s2, 0x10000
	s_delay_alu instid0(SALU_CYCLE_1)
	s_cmp_lt_u32 s2, s30
	s_cbranch_scc0 .LBB165_86
.LBB165_3:                              ; =>This Loop Header: Depth=1
                                        ;     Child Loop BB165_6 Depth 2
                                        ;     Child Loop BB165_21 Depth 2
                                        ;     Child Loop BB165_25 Depth 2
                                        ;     Child Loop BB165_29 Depth 2
                                        ;       Child Loop BB165_32 Depth 3
                                        ;         Child Loop BB165_33 Depth 4
                                        ;         Child Loop BB165_37 Depth 4
                                        ;           Child Loop BB165_39 Depth 5
                                        ;           Child Loop BB165_45 Depth 5
                                        ;         Child Loop BB165_48 Depth 4
                                        ;           Child Loop BB165_50 Depth 5
                                        ;     Child Loop BB165_58 Depth 2
                                        ;       Child Loop BB165_61 Depth 3
                                        ;         Child Loop BB165_62 Depth 4
                                        ;         Child Loop BB165_66 Depth 4
                                        ;           Child Loop BB165_68 Depth 5
                                        ;           Child Loop BB165_74 Depth 5
                                        ;         Child Loop BB165_77 Depth 4
                                        ;           Child Loop BB165_79 Depth 5
                                        ;     Child Loop BB165_85 Depth 2
	s_mov_b32 s3, s19
	s_and_saveexec_b32 s18, s0
	s_cbranch_execz .LBB165_18
; %bb.4:                                ;   in Loop: Header=BB165_3 Depth=1
	v_mad_nc_u64_u32 v[14:15], s8, s2, v[0:1]
	v_mov_b32_e32 v3, v2
	s_mov_b32 s26, s31
	s_delay_alu instid0(VALU_DEP_2)
	v_mad_u32 v15, s9, s2, v15
	s_branch .LBB165_6
.LBB165_5:                              ;   in Loop: Header=BB165_6 Depth=2
	global_load_b32 v16, v[14:15], off offset:-4
	s_wait_xcnt 0x0
	v_add_nc_u64_e32 v[14:15], s[12:13], v[14:15]
	s_add_co_i32 s26, s26, -1
	s_delay_alu instid0(SALU_CYCLE_1)
	s_cmp_eq_u32 s26, 0
	s_wait_loadcnt 0x0
	ds_store_b64 v3, v[16:17]
	v_add_nc_u32_e32 v3, 0xe0, v3
	s_cbranch_scc1 .LBB165_10
.LBB165_6:                              ;   Parent Loop BB165_3 Depth=1
                                        ; =>  This Inner Loop Header: Depth=2
	s_and_b32 vcc_lo, exec_lo, s1
	s_mov_b32 s27, -1
                                        ; implicit-def: $vgpr17
	s_cbranch_vccz .LBB165_8
; %bb.7:                                ;   in Loop: Header=BB165_6 Depth=2
	global_load_b32 v17, v[14:15], off
	s_mov_b32 s27, 0
.LBB165_8:                              ;   in Loop: Header=BB165_6 Depth=2
	s_delay_alu instid0(SALU_CYCLE_1)
	s_and_not1_b32 vcc_lo, exec_lo, s27
	s_cbranch_vccnz .LBB165_5
; %bb.9:                                ;   in Loop: Header=BB165_6 Depth=2
	global_load_b32 v16, v[14:15], off
	s_wait_loadcnt 0x0
	v_xor_b32_e32 v17, 0x80000000, v16
	s_branch .LBB165_5
.LBB165_10:                             ;   in Loop: Header=BB165_3 Depth=1
	s_and_b32 vcc_lo, exec_lo, s34
	s_mov_b32 s26, -1
	s_cbranch_vccz .LBB165_16
; %bb.11:                               ;   in Loop: Header=BB165_3 Depth=1
	ds_load_b64 v[14:15], v23
                                        ; implicit-def: $vgpr16_vgpr17
	s_wait_dscnt 0x0
	v_cmp_ngt_f32_e64 s26, |v14|, |v15|
	s_and_saveexec_b32 s27, s26
	s_delay_alu instid0(SALU_CYCLE_1)
	s_xor_b32 s26, exec_lo, s27
	s_cbranch_execz .LBB165_13
; %bb.12:                               ;   in Loop: Header=BB165_3 Depth=1
	v_div_scale_f32 v3, null, v15, v15, v14
	v_div_scale_f32 v18, vcc_lo, v14, v15, v14
	s_delay_alu instid0(VALU_DEP_2) | instskip(SKIP_1) | instid1(TRANS32_DEP_1)
	v_rcp_f32_e32 v16, v3
	v_nop
	v_fma_f32 v17, -v3, v16, 1.0
	s_delay_alu instid0(VALU_DEP_1) | instskip(NEXT) | instid1(VALU_DEP_1)
	v_fmac_f32_e32 v16, v17, v16
	v_mul_f32_e32 v17, v18, v16
	s_delay_alu instid0(VALU_DEP_1) | instskip(NEXT) | instid1(VALU_DEP_1)
	v_fma_f32 v19, -v3, v17, v18
	v_fmac_f32_e32 v17, v19, v16
	s_delay_alu instid0(VALU_DEP_1) | instskip(NEXT) | instid1(VALU_DEP_1)
	v_fma_f32 v3, -v3, v17, v18
	v_div_fmas_f32 v3, v3, v16, v17
	s_delay_alu instid0(VALU_DEP_1) | instskip(NEXT) | instid1(VALU_DEP_1)
	v_div_fixup_f32 v16, v3, v15, v14
	v_fmac_f32_e32 v15, v14, v16
	s_delay_alu instid0(VALU_DEP_1) | instskip(SKIP_1) | instid1(VALU_DEP_2)
	v_div_scale_f32 v3, null, v15, v15, 1.0
	v_div_scale_f32 v18, vcc_lo, 1.0, v15, 1.0
	v_rcp_f32_e32 v14, v3
	v_nop
	s_delay_alu instid0(TRANS32_DEP_1) | instskip(NEXT) | instid1(VALU_DEP_1)
	v_fma_f32 v17, -v3, v14, 1.0
	v_fmac_f32_e32 v14, v17, v14
	s_delay_alu instid0(VALU_DEP_1) | instskip(NEXT) | instid1(VALU_DEP_1)
	v_mul_f32_e32 v17, v18, v14
	v_fma_f32 v19, -v3, v17, v18
	s_delay_alu instid0(VALU_DEP_1) | instskip(NEXT) | instid1(VALU_DEP_1)
	v_fmac_f32_e32 v17, v19, v14
	v_fma_f32 v3, -v3, v17, v18
	s_delay_alu instid0(VALU_DEP_1) | instskip(SKIP_1) | instid1(VALU_DEP_2)
	v_div_fmas_f32 v3, v3, v14, v17
	v_mul_f32_e32 v17, 0, v16
	v_div_fixup_f32 v14, v3, v15, 1.0
	s_delay_alu instid0(VALU_DEP_2) | instskip(NEXT) | instid1(VALU_DEP_1)
	v_pk_add_f32 v[16:17], v[16:17], v[4:5]
	v_pk_mul_f32 v[16:17], v[16:17], v[14:15] op_sel_hi:[1,0]
                                        ; implicit-def: $vgpr14_vgpr15
.LBB165_13:                             ;   in Loop: Header=BB165_3 Depth=1
	s_and_not1_saveexec_b32 s26, s26
	s_cbranch_execz .LBB165_15
; %bb.14:                               ;   in Loop: Header=BB165_3 Depth=1
	v_div_scale_f32 v3, null, v14, v14, v15
	v_div_scale_f32 v18, vcc_lo, v15, v14, v15
	s_delay_alu instid0(VALU_DEP_2) | instskip(SKIP_1) | instid1(TRANS32_DEP_1)
	v_rcp_f32_e32 v16, v3
	v_nop
	v_fma_f32 v17, -v3, v16, 1.0
	s_delay_alu instid0(VALU_DEP_1) | instskip(NEXT) | instid1(VALU_DEP_1)
	v_fmac_f32_e32 v16, v17, v16
	v_mul_f32_e32 v17, v18, v16
	s_delay_alu instid0(VALU_DEP_1) | instskip(NEXT) | instid1(VALU_DEP_1)
	v_fma_f32 v19, -v3, v17, v18
	v_fmac_f32_e32 v17, v19, v16
	s_delay_alu instid0(VALU_DEP_1) | instskip(NEXT) | instid1(VALU_DEP_1)
	v_fma_f32 v3, -v3, v17, v18
	v_div_fmas_f32 v3, v3, v16, v17
	s_delay_alu instid0(VALU_DEP_1) | instskip(NEXT) | instid1(VALU_DEP_1)
	v_div_fixup_f32 v3, v3, v14, v15
	v_fmac_f32_e32 v14, v15, v3
	s_delay_alu instid0(VALU_DEP_1) | instskip(SKIP_1) | instid1(VALU_DEP_2)
	v_div_scale_f32 v15, null, v14, v14, 1.0
	v_div_scale_f32 v18, vcc_lo, 1.0, v14, 1.0
	v_rcp_f32_e32 v16, v15
	v_nop
	s_delay_alu instid0(TRANS32_DEP_1) | instskip(NEXT) | instid1(VALU_DEP_1)
	v_fma_f32 v17, -v15, v16, 1.0
	v_fmac_f32_e32 v16, v17, v16
	s_delay_alu instid0(VALU_DEP_1) | instskip(NEXT) | instid1(VALU_DEP_1)
	v_mul_f32_e32 v17, v18, v16
	v_fma_f32 v19, -v15, v17, v18
	s_delay_alu instid0(VALU_DEP_1) | instskip(NEXT) | instid1(VALU_DEP_1)
	v_fmac_f32_e32 v17, v19, v16
	v_dual_fma_f32 v15, -v15, v17, v18 :: v_dual_mul_f32 v18, 0, v3
	s_delay_alu instid0(VALU_DEP_1) | instskip(NEXT) | instid1(VALU_DEP_2)
	v_div_fmas_f32 v15, v15, v16, v17
	v_dual_add_f32 v16, 1.0, v18 :: v_dual_sub_f32 v17, 0, v3
	s_delay_alu instid0(VALU_DEP_2) | instskip(NEXT) | instid1(VALU_DEP_1)
	v_div_fixup_f32 v14, v15, v14, 1.0
	v_pk_mul_f32 v[16:17], v[16:17], v[14:15] op_sel_hi:[1,0]
.LBB165_15:                             ;   in Loop: Header=BB165_3 Depth=1
	s_or_b32 exec_lo, exec_lo, s26
	s_mov_b32 s26, 0
	ds_store_b64 v23, v[16:17]
.LBB165_16:                             ;   in Loop: Header=BB165_3 Depth=1
	s_and_b32 vcc_lo, exec_lo, s26
	s_cbranch_vccz .LBB165_18
; %bb.17:                               ;   in Loop: Header=BB165_3 Depth=1
	ds_store_b64 v23, v[12:13]
.LBB165_18:                             ;   in Loop: Header=BB165_3 Depth=1
	s_or_b32 exec_lo, exec_lo, s18
	s_mul_u64 s[26:27], s[14:15], s[2:3]
	s_and_saveexec_b32 s42, s36
	s_cbranch_execz .LBB165_26
; %bb.19:                               ;   in Loop: Header=BB165_3 Depth=1
	s_and_not1_b32 vcc_lo, exec_lo, s37
	s_cbranch_vccnz .LBB165_23
; %bb.20:                               ;   in Loop: Header=BB165_3 Depth=1
	s_mul_u64 s[28:29], s[20:21], s[2:3]
	s_mov_b32 s18, 0
	s_lshl_b64 s[28:29], s[28:29], 3
	s_mov_b32 s3, s38
	s_add_nc_u64 s[28:29], s[10:11], s[28:29]
	s_delay_alu instid0(SALU_CYCLE_1)
	v_lshl_add_u64 v[14:15], v[8:9], 3, s[28:29]
	s_mov_b32 s28, 1
.LBB165_21:                             ;   Parent Loop BB165_3 Depth=1
                                        ; =>  This Inner Loop Header: Depth=2
	s_mov_b32 s29, s19
	s_delay_alu instid0(VALU_DEP_1)
	v_lshl_add_u64 v[16:17], s[18:19], 3, v[14:15]
	v_lshl_add_u64 v[18:19], s[28:29], 3, v[14:15]
	v_mad_u32 v3, 0xe0, s18, v22
	v_mad_u32 v28, 0xe0, s28, v22
	s_add_co_i32 s3, s3, -2
	s_clause 0x1
	global_load_b64 v[20:21], v[16:17], off
	global_load_b64 v[24:25], v[18:19], off
	s_wait_xcnt 0x1
	v_mov_b64_e32 v[16:17], s[4:5]
	s_wait_xcnt 0x0
	v_mov_b64_e32 v[18:19], s[16:17]
	s_add_co_i32 s18, s18, 2
	s_add_co_i32 s28, s28, 2
	s_mov_b32 s29, s38
	s_mov_b32 s43, s39
	s_cmp_lg_u32 s3, 0
	s_wait_loadcnt 0x0
	v_dual_mov_b32 v26, v20 :: v_dual_mov_b32 v27, v24
	v_mov_b32_e32 v24, v21
	s_delay_alu instid0(VALU_DEP_1) | instskip(SKIP_1) | instid1(VALU_DEP_2)
	v_pk_mul_f32 v[20:21], v[16:17], v[24:25]
	v_pk_mul_f32 v[24:25], v[18:19], v[24:25]
	v_pk_fma_f32 v[18:19], v[18:19], v[26:27], v[20:21] neg_lo:[0,0,1] neg_hi:[0,0,1]
	s_delay_alu instid0(VALU_DEP_2)
	v_pk_fma_f32 v[16:17], v[16:17], v[26:27], v[24:25]
	ds_store_b32 v3, v18
	ds_store_b32 v28, v19
	ds_store_b32 v3, v16 offset:4
	ds_store_b32 v28, v17 offset:4
	s_cbranch_scc1 .LBB165_21
; %bb.22:                               ;   in Loop: Header=BB165_3 Depth=1
	s_and_b32 vcc_lo, exec_lo, s43
	s_cbranch_vccnz .LBB165_24
	s_branch .LBB165_26
.LBB165_23:                             ;   in Loop: Header=BB165_3 Depth=1
	s_mov_b32 s29, 0
	s_cbranch_execz .LBB165_26
.LBB165_24:                             ;   in Loop: Header=BB165_3 Depth=1
	s_lshl_b32 s18, s29, 3
	v_mad_u32 v3, 0xe0, s29, v22
	s_add_nc_u64 s[44:45], s[26:27], s[18:19]
	s_sub_co_i32 s3, s31, s29
	v_add_nc_u64_e32 v[14:15], s[44:45], v[10:11]
.LBB165_25:                             ;   Parent Loop BB165_3 Depth=1
                                        ; =>  This Inner Loop Header: Depth=2
	global_load_b64 v[16:17], v[14:15], off offset:-4
	v_mov_b64_e32 v[18:19], s[6:7]
	v_mov_b64_e32 v[20:21], s[22:23]
	s_wait_xcnt 0x0
	v_add_nc_u64_e32 v[14:15], 8, v[14:15]
	s_add_co_i32 s3, s3, -1
	s_delay_alu instid0(SALU_CYCLE_1) | instskip(SKIP_2) | instid1(VALU_DEP_1)
	s_cmp_lg_u32 s3, 0
	s_wait_loadcnt 0x0
	v_pk_mul_f32 v[18:19], v[18:19], v[16:17] op_sel:[0,1]
	v_pk_fma_f32 v[24:25], v[20:21], v[16:17], v[18:19] op_sel_hi:[1,0,1]
	v_pk_fma_f32 v[16:17], v[20:21], v[16:17], v[18:19] neg_lo:[0,0,1] neg_hi:[0,0,1]
	s_delay_alu instid0(VALU_DEP_2)
	v_mov_b32_e32 v17, v25
	ds_store_b64 v3, v[16:17]
	v_add_nc_u32_e32 v3, 0xe0, v3
	s_cbranch_scc1 .LBB165_25
.LBB165_26:                             ;   in Loop: Header=BB165_3 Depth=1
	s_or_b32 exec_lo, exec_lo, s42
	s_delay_alu instid0(SALU_CYCLE_1)
	s_and_not1_b32 vcc_lo, exec_lo, s35
	s_mov_b32 s3, -1
	s_wait_dscnt 0x0
	; wave barrier
	s_cbranch_vccnz .LBB165_55
; %bb.27:                               ;   in Loop: Header=BB165_3 Depth=1
	s_mov_b32 s18, 0
	s_mov_b32 s3, s33
	s_branch .LBB165_29
.LBB165_28:                             ;   in Loop: Header=BB165_29 Depth=2
	s_cmp_gt_i32 s3, -1
	s_cselect_b32 s28, -1, 0
	s_add_co_i32 s29, s18, 1
	s_cmp_lt_u32 s18, 2
	s_wait_xcnt 0x0
	s_cselect_b32 s18, -1, 0
	s_delay_alu instid0(SALU_CYCLE_1) | instskip(NEXT) | instid1(SALU_CYCLE_1)
	s_and_b32 s18, s28, s18
	s_and_b32 vcc_lo, exec_lo, s18
	s_mov_b32 s18, s29
	s_cbranch_vccz .LBB165_54
.LBB165_29:                             ;   Parent Loop BB165_3 Depth=1
                                        ; =>  This Loop Header: Depth=2
                                        ;       Child Loop BB165_32 Depth 3
                                        ;         Child Loop BB165_33 Depth 4
                                        ;         Child Loop BB165_37 Depth 4
                                        ;           Child Loop BB165_39 Depth 5
                                        ;           Child Loop BB165_45 Depth 5
                                        ;         Child Loop BB165_48 Depth 4
                                        ;           Child Loop BB165_50 Depth 5
	s_load_b32 s28, s[24:25], s18 offset:0x0 scale_offset
	s_wait_kmcnt 0x0
	s_add_co_i32 s29, s28, -1
	s_delay_alu instid0(SALU_CYCLE_1)
	s_cmp_lt_i32 s3, s29
	s_cbranch_scc1 .LBB165_28
; %bb.30:                               ;   in Loop: Header=BB165_29 Depth=2
	s_max_i32 s42, s28, 1
	s_cmp_lg_u32 s18, 2
	s_mul_i32 s47, s3, 0xe0
	s_cselect_b32 s43, -1, 0
	s_and_b32 s44, s42, 0x7ffffffe
	v_add_nc_u32_e32 v3, s47, v22
	s_cmp_lg_u32 s42, s44
	s_mul_i32 s46, s28, 0xffffff20
	s_cselect_b32 s45, -1, 0
	s_add_co_i32 s47, s41, s47
	s_mul_i32 s48, s3, 0xe8
	s_mul_i32 s49, s28, 0xffffff18
	s_branch .LBB165_32
.LBB165_31:                             ;   in Loop: Header=BB165_32 Depth=3
	v_add_nc_u32_e32 v3, s46, v3
	s_sub_co_i32 s3, s3, s28
	s_add_co_i32 s47, s47, s46
	s_add_co_i32 s48, s48, s49
	s_cmp_lt_i32 s3, s29
	s_cbranch_scc1 .LBB165_28
.LBB165_32:                             ;   Parent Loop BB165_3 Depth=1
                                        ;     Parent Loop BB165_29 Depth=2
                                        ; =>    This Loop Header: Depth=3
                                        ;         Child Loop BB165_33 Depth 4
                                        ;         Child Loop BB165_37 Depth 4
                                        ;           Child Loop BB165_39 Depth 5
                                        ;           Child Loop BB165_45 Depth 5
                                        ;         Child Loop BB165_48 Depth 4
                                        ;           Child Loop BB165_50 Depth 5
	s_wait_xcnt 0x0
	v_mov_b32_e32 v14, v3
	s_mov_b32 s50, 0
	s_mov_b32 s51, s42
.LBB165_33:                             ;   Parent Loop BB165_3 Depth=1
                                        ;     Parent Loop BB165_29 Depth=2
                                        ;       Parent Loop BB165_32 Depth=3
                                        ; =>      This Inner Loop Header: Depth=4
	ds_load_b64 v[16:17], v14
	v_add_nc_u32_e32 v14, 0xffffff20, v14
	s_add_co_i32 s51, s51, -1
	s_wait_dscnt 0x0
	scratch_store_b64 off, v[16:17], s50
	s_wait_xcnt 0x0
	s_add_co_i32 s50, s50, 8
	s_cmp_eq_u32 s51, 0
	s_cbranch_scc0 .LBB165_33
; %bb.34:                               ;   in Loop: Header=BB165_32 Depth=3
	s_cmp_le_i32 s33, s3
	s_cbranch_scc1 .LBB165_46
; %bb.35:                               ;   in Loop: Header=BB165_32 Depth=3
	s_mov_b32 s50, s3
	s_mov_b32 s51, s47
	;; [unrolled: 1-line block ×3, first 2 shown]
	s_branch .LBB165_37
.LBB165_36:                             ;   in Loop: Header=BB165_37 Depth=4
	s_add_co_i32 s52, s52, -1
	s_add_co_i32 s51, s51, -8
	s_cmp_le_i32 s52, s3
	s_cbranch_scc1 .LBB165_46
.LBB165_37:                             ;   Parent Loop BB165_3 Depth=1
                                        ;     Parent Loop BB165_29 Depth=2
                                        ;       Parent Loop BB165_32 Depth=3
                                        ; =>      This Loop Header: Depth=4
                                        ;           Child Loop BB165_39 Depth 5
                                        ;           Child Loop BB165_45 Depth 5
	v_mad_u32 v14, 0xe0, s52, v22
	s_and_b32 vcc_lo, exec_lo, s43
	ds_load_b64 v[14:15], v14
	s_cbranch_vccz .LBB165_41
; %bb.38:                               ;   in Loop: Header=BB165_37 Depth=4
	s_wait_dscnt 0x0
	v_dual_mov_b32 v18, v14 :: v_dual_mov_b32 v19, v14
	v_dual_mov_b32 v16, v15 :: v_dual_mov_b32 v20, v15
	v_mov_b32_e32 v21, v15
	s_lshl_b32 s53, s52, 3
	s_mov_b32 s54, 1
	s_mov_b32 s55, 0
	;; [unrolled: 1-line block ×4, first 2 shown]
.LBB165_39:                             ;   Parent Loop BB165_3 Depth=1
                                        ;     Parent Loop BB165_29 Depth=2
                                        ;       Parent Loop BB165_32 Depth=3
                                        ;         Parent Loop BB165_37 Depth=4
                                        ; =>        This Inner Loop Header: Depth=5
	scratch_load_b128 v[24:27], off, s57 offset:-8
	s_sub_co_i32 s58, s50, s54
	s_sub_co_i32 s59, s3, s55
	s_mulk_i32 s58, 0xe0
	s_mulk_i32 s59, 0xe0
	s_add_co_i32 s58, s53, s58
	s_add_co_i32 s59, s53, s59
	s_delay_alu instid0(SALU_CYCLE_1)
	v_dual_mov_b32 v17, s58 :: v_dual_mov_b32 v30, s59
	s_add_co_i32 s56, s56, -2
	s_add_co_i32 s55, s55, 2
	ds_load_b64 v[28:29], v17
	ds_load_b64 v[30:31], v30
	s_add_co_i32 s54, s54, 2
	s_wait_dscnt 0x0
	v_dual_mov_b32 v33, v28 :: v_dual_mov_b32 v28, v31
	v_mov_b32_e32 v32, v30
	s_delay_alu instid0(VALU_DEP_2) | instskip(SKIP_1) | instid1(VALU_DEP_2)
	v_pk_mul_f32 v[30:31], v[28:29], v[20:21]
	v_pk_mul_f32 v[28:29], v[28:29], v[18:19]
	v_pk_fma_f32 v[30:31], v[32:33], v[18:19], v[30:31] neg_lo:[0,0,1] neg_hi:[0,0,1]
	s_delay_alu instid0(VALU_DEP_2) | instskip(SKIP_3) | instid1(VALU_DEP_2)
	v_pk_fma_f32 v[28:29], v[32:33], v[20:21], v[28:29]
	s_wait_loadcnt 0x0
	v_dual_mov_b32 v32, v24 :: v_dual_mov_b32 v33, v26
	v_mov_b32_e32 v26, v25
	v_pk_add_f32 v[30:31], v[32:33], v[30:31] neg_lo:[0,1] neg_hi:[0,1]
	s_delay_alu instid0(VALU_DEP_2) | instskip(NEXT) | instid1(VALU_DEP_1)
	v_pk_add_f32 v[26:27], v[26:27], v[28:29] neg_lo:[0,1] neg_hi:[0,1]
	v_dual_mov_b32 v24, v30 :: v_dual_mov_b32 v25, v26
	s_delay_alu instid0(VALU_DEP_3)
	v_mov_b32_e32 v26, v31
	scratch_store_b128 off, v[24:27], s57 offset:-8
	s_wait_xcnt 0x0
	s_add_co_i32 s57, s57, 16
	s_cmp_lg_u32 s56, 0
	s_cbranch_scc1 .LBB165_39
; %bb.40:                               ;   in Loop: Header=BB165_37 Depth=4
	s_mov_b32 s53, s45
	s_mov_b32 s54, s44
	s_branch .LBB165_43
.LBB165_41:                             ;   in Loop: Header=BB165_37 Depth=4
	s_wait_dscnt 0x0
	v_mov_b32_e32 v16, v15
	s_mov_b32 s53, 0
	s_mov_b32 s54, s44
	s_cbranch_execz .LBB165_43
; %bb.42:                               ;   in Loop: Header=BB165_37 Depth=4
	s_mov_b32 s53, -1
	s_mov_b32 s54, 0
.LBB165_43:                             ;   in Loop: Header=BB165_37 Depth=4
	s_and_not1_b32 vcc_lo, exec_lo, s53
	s_cbranch_vccnz .LBB165_36
; %bb.44:                               ;   in Loop: Header=BB165_37 Depth=4
	v_dual_mov_b32 v17, v15 :: v_dual_mov_b32 v15, v14
	s_mul_i32 s55, s54, 0xffffff20
	s_lshl_b32 s56, s54, 3
	s_sub_co_i32 s53, s42, s54
	s_add_co_i32 s54, s51, s55
	s_mov_b32 s55, s56
.LBB165_45:                             ;   Parent Loop BB165_3 Depth=1
                                        ;     Parent Loop BB165_29 Depth=2
                                        ;       Parent Loop BB165_32 Depth=3
                                        ;         Parent Loop BB165_37 Depth=4
                                        ; =>        This Inner Loop Header: Depth=5
	scratch_load_b64 v[18:19], off, s55
	v_mov_b32_e32 v20, s54
	s_add_co_i32 s53, s53, -1
	s_addk_co_i32 s54, 0xff20
	ds_load_b64 v[20:21], v20
	s_wait_dscnt 0x0
	v_pk_mul_f32 v[24:25], v[20:21], v[16:17] op_sel:[1,0] op_sel_hi:[0,1]
	s_delay_alu instid0(VALU_DEP_1) | instskip(SKIP_1) | instid1(VALU_DEP_2)
	v_pk_fma_f32 v[26:27], v[20:21], v[14:15], v[24:25]
	v_pk_fma_f32 v[20:21], v[20:21], v[14:15], v[24:25] neg_lo:[0,0,1] neg_hi:[0,0,1]
	v_mov_b32_e32 v21, v27
	s_wait_loadcnt 0x0
	s_delay_alu instid0(VALU_DEP_1)
	v_pk_add_f32 v[18:19], v[18:19], v[20:21] neg_lo:[0,1] neg_hi:[0,1]
	scratch_store_b64 off, v[18:19], s55
	s_wait_xcnt 0x0
	s_add_co_i32 s55, s55, 8
	s_cmp_eq_u32 s53, 0
	s_cbranch_scc0 .LBB165_45
	s_branch .LBB165_36
.LBB165_46:                             ;   in Loop: Header=BB165_32 Depth=3
	s_mul_i32 s50, s3, 0xe0
	s_mov_b32 s51, 0
	s_mov_b32 s52, s48
	s_branch .LBB165_48
.LBB165_47:                             ;   in Loop: Header=BB165_48 Depth=4
	s_wait_xcnt 0x0
	s_mulk_i32 s54, 0xe8
	s_addk_co_i32 s52, 0xff20
	v_mov_b32_e32 v15, s54
	s_lshl_b32 s54, s51, 3
	s_add_co_i32 s51, s51, 1
	s_delay_alu instid0(SALU_CYCLE_1) | instskip(SKIP_3) | instid1(VALU_DEP_1)
	s_cmp_eq_u32 s51, s42
	ds_load_b64 v[18:19], v15
	s_wait_dscnt 0x0
	v_pk_mul_f32 v[16:17], v[18:19], v[16:17] op_sel:[1,0] op_sel_hi:[0,0]
	v_pk_fma_f32 v[20:21], v[18:19], v[14:15], v[16:17] op_sel_hi:[1,0,1]
	v_add_nc_u32_e32 v20, s53, v22
	v_pk_fma_f32 v[14:15], v[18:19], v[14:15], v[16:17] neg_lo:[0,0,1] neg_hi:[0,0,1]
	s_delay_alu instid0(VALU_DEP_3)
	v_mov_b32_e32 v15, v21
	scratch_store_b64 off, v[14:15], s54
	ds_store_b64 v20, v[14:15]
	s_cbranch_scc1 .LBB165_31
.LBB165_48:                             ;   Parent Loop BB165_3 Depth=1
                                        ;     Parent Loop BB165_29 Depth=2
                                        ;       Parent Loop BB165_32 Depth=3
                                        ; =>      This Loop Header: Depth=4
                                        ;           Child Loop BB165_50 Depth 5
	s_cmp_lg_u32 s51, 0
	s_cbranch_scc0 .LBB165_52
; %bb.49:                               ;   in Loop: Header=BB165_48 Depth=4
	s_lshl_b32 s53, s51, 3
	s_wait_xcnt 0x0
	s_mov_b32 s54, 0
	scratch_load_b64 v[14:15], off, s53
	s_mov_b32 s55, s52
	s_mov_b32 s56, s51
.LBB165_50:                             ;   Parent Loop BB165_3 Depth=1
                                        ;     Parent Loop BB165_29 Depth=2
                                        ;       Parent Loop BB165_32 Depth=3
                                        ;         Parent Loop BB165_48 Depth=4
                                        ; =>        This Inner Loop Header: Depth=5
	scratch_load_b64 v[16:17], off, s54
	v_mov_b32_e32 v18, s55
	s_add_co_i32 s56, s56, -1
	s_add_co_i32 s55, s55, -8
	s_wait_xcnt 0x0
	s_add_co_i32 s54, s54, 8
	s_cmp_eq_u32 s56, 0
	ds_load_b64 v[18:19], v18
	s_wait_loadcnt_dscnt 0x0
	v_pk_mul_f32 v[20:21], v[18:19], v[16:17] op_sel:[1,1] op_sel_hi:[0,1]
	s_delay_alu instid0(VALU_DEP_1) | instskip(SKIP_1) | instid1(VALU_DEP_2)
	v_pk_fma_f32 v[24:25], v[18:19], v[16:17], v[20:21] op_sel_hi:[1,0,1]
	v_pk_fma_f32 v[16:17], v[18:19], v[16:17], v[20:21] neg_lo:[0,0,1] neg_hi:[0,0,1]
	v_mov_b32_e32 v17, v25
	s_delay_alu instid0(VALU_DEP_1)
	v_pk_add_f32 v[14:15], v[14:15], v[16:17] neg_lo:[0,1] neg_hi:[0,1]
	scratch_store_b64 off, v[14:15], s53
	s_cbranch_scc0 .LBB165_50
; %bb.51:                               ;   in Loop: Header=BB165_48 Depth=4
	v_mov_b32_e32 v16, v15
	s_sub_co_i32 s54, s3, s51
	s_wait_xcnt 0x0
	s_mul_i32 s53, s54, 0xe0
	s_branch .LBB165_47
.LBB165_52:                             ;   in Loop: Header=BB165_48 Depth=4
                                        ; implicit-def: $vgpr14
                                        ; implicit-def: $vgpr16
                                        ; implicit-def: $sgpr54
                                        ; implicit-def: $sgpr53
	s_cbranch_execz .LBB165_47
; %bb.53:                               ;   in Loop: Header=BB165_48 Depth=4
	scratch_load_b64 v[14:15], off, off
	s_mov_b32 s53, s50
	s_mov_b32 s54, s3
	s_wait_loadcnt 0x0
	v_mov_b32_e32 v16, v15
	s_branch .LBB165_47
.LBB165_54:                             ;   in Loop: Header=BB165_3 Depth=1
	s_mov_b32 s3, 0
.LBB165_55:                             ;   in Loop: Header=BB165_3 Depth=1
	s_delay_alu instid0(SALU_CYCLE_1)
	s_and_b32 vcc_lo, exec_lo, s3
	s_cbranch_vccz .LBB165_83
; %bb.56:                               ;   in Loop: Header=BB165_3 Depth=1
	s_mov_b32 s18, 0
	s_mov_b32 s3, 0
	s_branch .LBB165_58
.LBB165_57:                             ;   in Loop: Header=BB165_58 Depth=2
	s_cmp_lt_i32 s3, s31
	s_cselect_b32 s28, -1, 0
	s_add_co_i32 s29, s18, 1
	s_cmp_lt_u32 s18, 2
	s_wait_xcnt 0x0
	s_cselect_b32 s18, -1, 0
	s_delay_alu instid0(SALU_CYCLE_1) | instskip(NEXT) | instid1(SALU_CYCLE_1)
	s_and_b32 s18, s28, s18
	s_and_not1_b32 vcc_lo, exec_lo, s18
	s_mov_b32 s18, s29
	s_cbranch_vccnz .LBB165_83
.LBB165_58:                             ;   Parent Loop BB165_3 Depth=1
                                        ; =>  This Loop Header: Depth=2
                                        ;       Child Loop BB165_61 Depth 3
                                        ;         Child Loop BB165_62 Depth 4
                                        ;         Child Loop BB165_66 Depth 4
                                        ;           Child Loop BB165_68 Depth 5
                                        ;           Child Loop BB165_74 Depth 5
                                        ;         Child Loop BB165_77 Depth 4
                                        ;           Child Loop BB165_79 Depth 5
	s_load_b32 s28, s[24:25], s18 offset:0x0 scale_offset
	s_wait_kmcnt 0x0
	s_add_co_i32 s29, s28, -1
	s_delay_alu instid0(SALU_CYCLE_1) | instskip(NEXT) | instid1(SALU_CYCLE_1)
	s_add_co_i32 s42, s29, s3
	s_cmp_ge_i32 s42, s31
	s_cbranch_scc1 .LBB165_57
; %bb.59:                               ;   in Loop: Header=BB165_58 Depth=2
	v_mad_u32 v3, 0xe0, s3, v22
	s_max_i32 s42, s28, 1
	s_cmp_lg_u32 s18, 2
	s_mul_i32 s45, s28, 0xe0
	s_cselect_b32 s43, -1, 0
	s_and_b32 s44, s42, 0x7ffffffe
	s_mul_i32 s49, s3, 0xe8
	s_cmp_lg_u32 s42, s44
	s_mul_i32 s50, s28, 0xe8
	s_cselect_b32 s46, -1, 0
	s_lshl_b32 s47, s3, 3
	s_lshl_b32 s48, s28, 3
	s_branch .LBB165_61
.LBB165_60:                             ;   in Loop: Header=BB165_61 Depth=3
	s_add_co_i32 s3, s3, s28
	v_add_nc_u32_e32 v3, s45, v3
	s_add_co_i32 s51, s29, s3
	s_add_co_i32 s47, s47, s48
	;; [unrolled: 1-line block ×3, first 2 shown]
	s_cmp_ge_i32 s51, s31
	s_cbranch_scc1 .LBB165_57
.LBB165_61:                             ;   Parent Loop BB165_3 Depth=1
                                        ;     Parent Loop BB165_58 Depth=2
                                        ; =>    This Loop Header: Depth=3
                                        ;         Child Loop BB165_62 Depth 4
                                        ;         Child Loop BB165_66 Depth 4
                                        ;           Child Loop BB165_68 Depth 5
                                        ;           Child Loop BB165_74 Depth 5
                                        ;         Child Loop BB165_77 Depth 4
                                        ;           Child Loop BB165_79 Depth 5
	s_wait_xcnt 0x0
	v_mov_b32_e32 v14, v3
	s_mov_b32 s51, 0
	s_mov_b32 s52, s42
.LBB165_62:                             ;   Parent Loop BB165_3 Depth=1
                                        ;     Parent Loop BB165_58 Depth=2
                                        ;       Parent Loop BB165_61 Depth=3
                                        ; =>      This Inner Loop Header: Depth=4
	ds_load_b64 v[16:17], v14
	v_add_nc_u32_e32 v14, 0xe0, v14
	s_add_co_i32 s52, s52, -1
	s_wait_dscnt 0x0
	scratch_store_b64 off, v[16:17], s51
	s_wait_xcnt 0x0
	s_add_co_i32 s51, s51, 8
	s_cmp_eq_u32 s52, 0
	s_cbranch_scc0 .LBB165_62
; %bb.63:                               ;   in Loop: Header=BB165_61 Depth=3
	s_cmp_lt_i32 s3, 1
	s_cbranch_scc1 .LBB165_75
; %bb.64:                               ;   in Loop: Header=BB165_61 Depth=3
	s_mov_b32 s51, 0
	s_mov_b32 s52, s47
	s_branch .LBB165_66
.LBB165_65:                             ;   in Loop: Header=BB165_66 Depth=4
	s_add_co_i32 s51, s51, 1
	s_addk_co_i32 s52, 0xe0
	s_cmp_eq_u32 s51, s3
	s_cbranch_scc1 .LBB165_75
.LBB165_66:                             ;   Parent Loop BB165_3 Depth=1
                                        ;     Parent Loop BB165_58 Depth=2
                                        ;       Parent Loop BB165_61 Depth=3
                                        ; =>      This Loop Header: Depth=4
                                        ;           Child Loop BB165_68 Depth 5
                                        ;           Child Loop BB165_74 Depth 5
	v_mad_u32 v14, 0xe0, s51, v22
	s_and_b32 vcc_lo, exec_lo, s43
	ds_load_b64 v[14:15], v14
	s_cbranch_vccz .LBB165_70
; %bb.67:                               ;   in Loop: Header=BB165_66 Depth=4
	s_wait_dscnt 0x0
	s_wait_xcnt 0x0
	v_dual_mov_b32 v18, v14 :: v_dual_mov_b32 v19, v14
	v_dual_mov_b32 v16, v15 :: v_dual_mov_b32 v20, v15
	v_mov_b32_e32 v21, v15
	s_mov_b32 s53, s44
	s_mov_b32 s54, s40
	;; [unrolled: 1-line block ×3, first 2 shown]
.LBB165_68:                             ;   Parent Loop BB165_3 Depth=1
                                        ;     Parent Loop BB165_58 Depth=2
                                        ;       Parent Loop BB165_61 Depth=3
                                        ;         Parent Loop BB165_66 Depth=4
                                        ; =>        This Inner Loop Header: Depth=5
	scratch_load_b128 v[24:27], off, s54 offset:-8
	v_mov_b32_e32 v17, s55
	s_add_co_i32 s53, s53, -2
	s_add_co_i32 s55, s55, 16
	ds_load_2addr_b64 v[28:31], v17 offset1:1
	s_wait_dscnt 0x0
	v_dual_mov_b32 v33, v30 :: v_dual_mov_b32 v30, v29
	v_mov_b32_e32 v32, v28
	s_delay_alu instid0(VALU_DEP_2) | instskip(SKIP_1) | instid1(VALU_DEP_2)
	v_pk_mul_f32 v[28:29], v[30:31], v[20:21]
	v_pk_mul_f32 v[30:31], v[30:31], v[18:19]
	v_pk_fma_f32 v[28:29], v[32:33], v[18:19], v[28:29] neg_lo:[0,0,1] neg_hi:[0,0,1]
	s_delay_alu instid0(VALU_DEP_2) | instskip(SKIP_2) | instid1(VALU_DEP_1)
	v_pk_fma_f32 v[30:31], v[32:33], v[20:21], v[30:31]
	s_wait_loadcnt 0x0
	v_dual_mov_b32 v32, v24 :: v_dual_mov_b32 v33, v26
	v_pk_add_f32 v[28:29], v[32:33], v[28:29] neg_lo:[0,1] neg_hi:[0,1]
	s_delay_alu instid0(VALU_DEP_1) | instskip(NEXT) | instid1(VALU_DEP_1)
	v_dual_mov_b32 v26, v25 :: v_dual_mov_b32 v24, v28
	v_pk_add_f32 v[26:27], v[26:27], v[30:31] neg_lo:[0,1] neg_hi:[0,1]
	s_delay_alu instid0(VALU_DEP_1)
	v_dual_mov_b32 v25, v26 :: v_dual_mov_b32 v26, v29
	scratch_store_b128 off, v[24:27], s54 offset:-8
	s_wait_xcnt 0x0
	s_add_co_i32 s54, s54, 16
	s_cmp_lg_u32 s53, 0
	s_cbranch_scc1 .LBB165_68
; %bb.69:                               ;   in Loop: Header=BB165_66 Depth=4
	s_mov_b32 s53, s46
	s_mov_b32 s54, s44
	s_branch .LBB165_72
.LBB165_70:                             ;   in Loop: Header=BB165_66 Depth=4
	s_wait_dscnt 0x0
	v_mov_b32_e32 v16, v15
	s_mov_b32 s53, 0
	s_mov_b32 s54, s44
	s_cbranch_execz .LBB165_72
; %bb.71:                               ;   in Loop: Header=BB165_66 Depth=4
	s_mov_b32 s53, -1
	s_mov_b32 s54, 0
.LBB165_72:                             ;   in Loop: Header=BB165_66 Depth=4
	s_and_not1_b32 vcc_lo, exec_lo, s53
	s_cbranch_vccnz .LBB165_65
; %bb.73:                               ;   in Loop: Header=BB165_66 Depth=4
	v_dual_mov_b32 v17, v15 :: v_dual_mov_b32 v15, v14
	s_sub_co_i32 s53, s42, s54
	s_lshl_b32 s54, s54, 3
.LBB165_74:                             ;   Parent Loop BB165_3 Depth=1
                                        ;     Parent Loop BB165_58 Depth=2
                                        ;       Parent Loop BB165_61 Depth=3
                                        ;         Parent Loop BB165_66 Depth=4
                                        ; =>        This Inner Loop Header: Depth=5
	scratch_load_b64 v[18:19], off, s54
	s_add_co_i32 s56, s52, s54
	s_add_co_i32 s53, s53, -1
	v_mov_b32_e32 v20, s56
	s_mov_b32 s55, s54
	s_wait_xcnt 0x0
	s_add_co_i32 s54, s54, 8
	s_cmp_eq_u32 s53, 0
	ds_load_b64 v[20:21], v20
	s_wait_dscnt 0x0
	v_pk_mul_f32 v[24:25], v[20:21], v[16:17] op_sel:[1,0] op_sel_hi:[0,1]
	s_delay_alu instid0(VALU_DEP_1) | instskip(SKIP_1) | instid1(VALU_DEP_2)
	v_pk_fma_f32 v[26:27], v[20:21], v[14:15], v[24:25]
	v_pk_fma_f32 v[20:21], v[20:21], v[14:15], v[24:25] neg_lo:[0,0,1] neg_hi:[0,0,1]
	v_mov_b32_e32 v21, v27
	s_wait_loadcnt 0x0
	s_delay_alu instid0(VALU_DEP_1)
	v_pk_add_f32 v[18:19], v[18:19], v[20:21] neg_lo:[0,1] neg_hi:[0,1]
	scratch_store_b64 off, v[18:19], s55
	s_cbranch_scc0 .LBB165_74
	s_branch .LBB165_65
.LBB165_75:                             ;   in Loop: Header=BB165_61 Depth=3
	s_mov_b32 s51, 0
	s_mov_b32 s52, s49
	s_branch .LBB165_77
.LBB165_76:                             ;   in Loop: Header=BB165_77 Depth=4
	s_add_co_i32 s53, s51, s3
	s_add_co_i32 s52, s52, 8
	s_mul_i32 s54, s53, 0xe8
	v_mad_u32 v24, 0xe0, s53, v22
	v_mov_b32_e32 v15, s54
	s_lshl_b32 s53, s51, 3
	s_add_co_i32 s51, s51, 1
	s_delay_alu instid0(SALU_CYCLE_1) | instskip(SKIP_4) | instid1(VALU_DEP_1)
	s_cmp_eq_u32 s51, s42
	s_wait_xcnt 0x0
	ds_load_b64 v[18:19], v15
	s_wait_dscnt 0x0
	v_pk_mul_f32 v[16:17], v[18:19], v[16:17] op_sel:[1,0] op_sel_hi:[0,0]
	v_pk_fma_f32 v[20:21], v[18:19], v[14:15], v[16:17] op_sel_hi:[1,0,1]
	v_pk_fma_f32 v[14:15], v[18:19], v[14:15], v[16:17] neg_lo:[0,0,1] neg_hi:[0,0,1]
	s_delay_alu instid0(VALU_DEP_2)
	v_mov_b32_e32 v15, v21
	scratch_store_b64 off, v[14:15], s53
	ds_store_b64 v24, v[14:15]
	s_cbranch_scc1 .LBB165_60
.LBB165_77:                             ;   Parent Loop BB165_3 Depth=1
                                        ;     Parent Loop BB165_58 Depth=2
                                        ;       Parent Loop BB165_61 Depth=3
                                        ; =>      This Loop Header: Depth=4
                                        ;           Child Loop BB165_79 Depth 5
	s_cmp_lg_u32 s51, 0
	s_cbranch_scc0 .LBB165_81
; %bb.78:                               ;   in Loop: Header=BB165_77 Depth=4
	s_wait_xcnt 0x0
	s_lshl_b32 s53, s51, 3
	s_mov_b32 s54, 0
	scratch_load_b64 v[14:15], off, s53
	s_wait_xcnt 0x1
	s_mov_b32 s55, s52
	s_mov_b32 s56, s51
.LBB165_79:                             ;   Parent Loop BB165_3 Depth=1
                                        ;     Parent Loop BB165_58 Depth=2
                                        ;       Parent Loop BB165_61 Depth=3
                                        ;         Parent Loop BB165_77 Depth=4
                                        ; =>        This Inner Loop Header: Depth=5
	scratch_load_b64 v[16:17], off, s54
	v_mov_b32_e32 v18, s55
	s_add_co_i32 s56, s56, -1
	s_addk_co_i32 s55, 0xe0
	s_wait_xcnt 0x0
	s_add_co_i32 s54, s54, 8
	s_cmp_eq_u32 s56, 0
	ds_load_b64 v[18:19], v18
	s_wait_loadcnt_dscnt 0x0
	v_pk_mul_f32 v[20:21], v[18:19], v[16:17] op_sel:[1,1] op_sel_hi:[0,1]
	s_delay_alu instid0(VALU_DEP_1) | instskip(SKIP_1) | instid1(VALU_DEP_2)
	v_pk_fma_f32 v[24:25], v[18:19], v[16:17], v[20:21] op_sel_hi:[1,0,1]
	v_pk_fma_f32 v[16:17], v[18:19], v[16:17], v[20:21] neg_lo:[0,0,1] neg_hi:[0,0,1]
	v_mov_b32_e32 v17, v25
	s_delay_alu instid0(VALU_DEP_1)
	v_pk_add_f32 v[14:15], v[14:15], v[16:17] neg_lo:[0,1] neg_hi:[0,1]
	scratch_store_b64 off, v[14:15], s53
	s_cbranch_scc0 .LBB165_79
; %bb.80:                               ;   in Loop: Header=BB165_77 Depth=4
	v_mov_b32_e32 v16, v15
	s_wait_xcnt 0x0
	s_branch .LBB165_76
.LBB165_81:                             ;   in Loop: Header=BB165_77 Depth=4
	s_wait_xcnt 0x0
                                        ; implicit-def: $vgpr14
                                        ; implicit-def: $vgpr16
	s_cbranch_execz .LBB165_76
; %bb.82:                               ;   in Loop: Header=BB165_77 Depth=4
	scratch_load_b64 v[14:15], off, off
	s_wait_loadcnt 0x0
	v_mov_b32_e32 v16, v15
	s_branch .LBB165_76
.LBB165_83:                             ;   in Loop: Header=BB165_3 Depth=1
	; wave barrier
	s_wait_storecnt_dscnt 0x0
	s_wait_xcnt 0x0
	s_and_saveexec_b32 s3, s36
	s_cbranch_execz .LBB165_2
; %bb.84:                               ;   in Loop: Header=BB165_3 Depth=1
	v_add_nc_u64_e32 v[14:15], s[26:27], v[6:7]
	v_mov_b32_e32 v3, v22
	s_mov_b32 s18, s31
.LBB165_85:                             ;   Parent Loop BB165_3 Depth=1
                                        ; =>  This Inner Loop Header: Depth=2
	ds_load_b64 v[16:17], v3
	v_add_nc_u32_e32 v3, 0xe0, v3
	s_add_co_i32 s18, s18, -1
	s_delay_alu instid0(SALU_CYCLE_1)
	s_cmp_lg_u32 s18, 0
	s_wait_dscnt 0x0
	global_store_b64 v[14:15], v[16:17], off
	s_wait_xcnt 0x0
	v_add_nc_u64_e32 v[14:15], 8, v[14:15]
	s_cbranch_scc1 .LBB165_85
	s_branch .LBB165_2
.LBB165_86:
	s_endpgm
	.section	.rodata,"a",@progbits
	.p2align	6, 0x0
	.amdhsa_kernel _ZL38rocblas_trsm_small_left_device_sharedBILi28ELi28ELb1E19rocblas_complex_numIfES1_PKS1_PS1_Ev13rocblas_fill_18rocblas_operation_17rocblas_diagonal_iiT3_T4_lilT5_lili
		.amdhsa_group_segment_fixed_size 12544
		.amdhsa_private_segment_fixed_size 240
		.amdhsa_kernarg_size 360
		.amdhsa_user_sgpr_count 2
		.amdhsa_user_sgpr_dispatch_ptr 0
		.amdhsa_user_sgpr_queue_ptr 0
		.amdhsa_user_sgpr_kernarg_segment_ptr 1
		.amdhsa_user_sgpr_dispatch_id 0
		.amdhsa_user_sgpr_kernarg_preload_length 0
		.amdhsa_user_sgpr_kernarg_preload_offset 0
		.amdhsa_user_sgpr_private_segment_size 0
		.amdhsa_wavefront_size32 1
		.amdhsa_uses_dynamic_stack 0
		.amdhsa_enable_private_segment 1
		.amdhsa_system_sgpr_workgroup_id_x 1
		.amdhsa_system_sgpr_workgroup_id_y 0
		.amdhsa_system_sgpr_workgroup_id_z 1
		.amdhsa_system_sgpr_workgroup_info 0
		.amdhsa_system_vgpr_workitem_id 0
		.amdhsa_next_free_vgpr 129
		.amdhsa_next_free_sgpr 60
		.amdhsa_named_barrier_count 0
		.amdhsa_reserve_vcc 1
		.amdhsa_float_round_mode_32 0
		.amdhsa_float_round_mode_16_64 0
		.amdhsa_float_denorm_mode_32 3
		.amdhsa_float_denorm_mode_16_64 3
		.amdhsa_fp16_overflow 0
		.amdhsa_memory_ordered 1
		.amdhsa_forward_progress 1
		.amdhsa_inst_pref_size 31
		.amdhsa_round_robin_scheduling 0
		.amdhsa_exception_fp_ieee_invalid_op 0
		.amdhsa_exception_fp_denorm_src 0
		.amdhsa_exception_fp_ieee_div_zero 0
		.amdhsa_exception_fp_ieee_overflow 0
		.amdhsa_exception_fp_ieee_underflow 0
		.amdhsa_exception_fp_ieee_inexact 0
		.amdhsa_exception_int_div_zero 0
	.end_amdhsa_kernel
	.section	.text._ZL38rocblas_trsm_small_left_device_sharedBILi28ELi28ELb1E19rocblas_complex_numIfES1_PKS1_PS1_Ev13rocblas_fill_18rocblas_operation_17rocblas_diagonal_iiT3_T4_lilT5_lili,"axG",@progbits,_ZL38rocblas_trsm_small_left_device_sharedBILi28ELi28ELb1E19rocblas_complex_numIfES1_PKS1_PS1_Ev13rocblas_fill_18rocblas_operation_17rocblas_diagonal_iiT3_T4_lilT5_lili,comdat
.Lfunc_end165:
	.size	_ZL38rocblas_trsm_small_left_device_sharedBILi28ELi28ELb1E19rocblas_complex_numIfES1_PKS1_PS1_Ev13rocblas_fill_18rocblas_operation_17rocblas_diagonal_iiT3_T4_lilT5_lili, .Lfunc_end165-_ZL38rocblas_trsm_small_left_device_sharedBILi28ELi28ELb1E19rocblas_complex_numIfES1_PKS1_PS1_Ev13rocblas_fill_18rocblas_operation_17rocblas_diagonal_iiT3_T4_lilT5_lili
                                        ; -- End function
	.set _ZL38rocblas_trsm_small_left_device_sharedBILi28ELi28ELb1E19rocblas_complex_numIfES1_PKS1_PS1_Ev13rocblas_fill_18rocblas_operation_17rocblas_diagonal_iiT3_T4_lilT5_lili.num_vgpr, 34
	.set _ZL38rocblas_trsm_small_left_device_sharedBILi28ELi28ELb1E19rocblas_complex_numIfES1_PKS1_PS1_Ev13rocblas_fill_18rocblas_operation_17rocblas_diagonal_iiT3_T4_lilT5_lili.num_agpr, 0
	.set _ZL38rocblas_trsm_small_left_device_sharedBILi28ELi28ELb1E19rocblas_complex_numIfES1_PKS1_PS1_Ev13rocblas_fill_18rocblas_operation_17rocblas_diagonal_iiT3_T4_lilT5_lili.numbered_sgpr, 60
	.set _ZL38rocblas_trsm_small_left_device_sharedBILi28ELi28ELb1E19rocblas_complex_numIfES1_PKS1_PS1_Ev13rocblas_fill_18rocblas_operation_17rocblas_diagonal_iiT3_T4_lilT5_lili.num_named_barrier, 0
	.set _ZL38rocblas_trsm_small_left_device_sharedBILi28ELi28ELb1E19rocblas_complex_numIfES1_PKS1_PS1_Ev13rocblas_fill_18rocblas_operation_17rocblas_diagonal_iiT3_T4_lilT5_lili.private_seg_size, 240
	.set _ZL38rocblas_trsm_small_left_device_sharedBILi28ELi28ELb1E19rocblas_complex_numIfES1_PKS1_PS1_Ev13rocblas_fill_18rocblas_operation_17rocblas_diagonal_iiT3_T4_lilT5_lili.uses_vcc, 1
	.set _ZL38rocblas_trsm_small_left_device_sharedBILi28ELi28ELb1E19rocblas_complex_numIfES1_PKS1_PS1_Ev13rocblas_fill_18rocblas_operation_17rocblas_diagonal_iiT3_T4_lilT5_lili.uses_flat_scratch, 0
	.set _ZL38rocblas_trsm_small_left_device_sharedBILi28ELi28ELb1E19rocblas_complex_numIfES1_PKS1_PS1_Ev13rocblas_fill_18rocblas_operation_17rocblas_diagonal_iiT3_T4_lilT5_lili.has_dyn_sized_stack, 0
	.set _ZL38rocblas_trsm_small_left_device_sharedBILi28ELi28ELb1E19rocblas_complex_numIfES1_PKS1_PS1_Ev13rocblas_fill_18rocblas_operation_17rocblas_diagonal_iiT3_T4_lilT5_lili.has_recursion, 0
	.set _ZL38rocblas_trsm_small_left_device_sharedBILi28ELi28ELb1E19rocblas_complex_numIfES1_PKS1_PS1_Ev13rocblas_fill_18rocblas_operation_17rocblas_diagonal_iiT3_T4_lilT5_lili.has_indirect_call, 0
	.section	.AMDGPU.csdata,"",@progbits
; Kernel info:
; codeLenInByte = 3932
; TotalNumSgprs: 62
; NumVgprs: 34
; ScratchSize: 240
; MemoryBound: 0
; FloatMode: 240
; IeeeMode: 1
; LDSByteSize: 12544 bytes/workgroup (compile time only)
; SGPRBlocks: 0
; VGPRBlocks: 8
; NumSGPRsForWavesPerEU: 62
; NumVGPRsForWavesPerEU: 129
; NamedBarCnt: 0
; Occupancy: 7
; WaveLimiterHint : 0
; COMPUTE_PGM_RSRC2:SCRATCH_EN: 1
; COMPUTE_PGM_RSRC2:USER_SGPR: 2
; COMPUTE_PGM_RSRC2:TRAP_HANDLER: 0
; COMPUTE_PGM_RSRC2:TGID_X_EN: 1
; COMPUTE_PGM_RSRC2:TGID_Y_EN: 0
; COMPUTE_PGM_RSRC2:TGID_Z_EN: 1
; COMPUTE_PGM_RSRC2:TIDIG_COMP_CNT: 0
	.section	.text._ZL30rocblas_trsm_small_left_deviceILi28ELi28ELb1E19rocblas_complex_numIfES1_PKS1_PS1_Ev13rocblas_fill_18rocblas_operation_17rocblas_diagonal_iiT3_T4_lilT5_lili,"axG",@progbits,_ZL30rocblas_trsm_small_left_deviceILi28ELi28ELb1E19rocblas_complex_numIfES1_PKS1_PS1_Ev13rocblas_fill_18rocblas_operation_17rocblas_diagonal_iiT3_T4_lilT5_lili,comdat
	.globl	_ZL30rocblas_trsm_small_left_deviceILi28ELi28ELb1E19rocblas_complex_numIfES1_PKS1_PS1_Ev13rocblas_fill_18rocblas_operation_17rocblas_diagonal_iiT3_T4_lilT5_lili ; -- Begin function _ZL30rocblas_trsm_small_left_deviceILi28ELi28ELb1E19rocblas_complex_numIfES1_PKS1_PS1_Ev13rocblas_fill_18rocblas_operation_17rocblas_diagonal_iiT3_T4_lilT5_lili
	.p2align	8
	.type	_ZL30rocblas_trsm_small_left_deviceILi28ELi28ELb1E19rocblas_complex_numIfES1_PKS1_PS1_Ev13rocblas_fill_18rocblas_operation_17rocblas_diagonal_iiT3_T4_lilT5_lili,@function
_ZL30rocblas_trsm_small_left_deviceILi28ELi28ELb1E19rocblas_complex_numIfES1_PKS1_PS1_Ev13rocblas_fill_18rocblas_operation_17rocblas_diagonal_iiT3_T4_lilT5_lili: ; @_ZL30rocblas_trsm_small_left_deviceILi28ELi28ELb1E19rocblas_complex_numIfES1_PKS1_PS1_Ev13rocblas_fill_18rocblas_operation_17rocblas_diagonal_iiT3_T4_lilT5_lili
; %bb.0:
	s_load_b32 s33, s[0:1], 0x60
	s_bfe_u32 s2, ttmp6, 0x40014
	s_lshr_b32 s4, ttmp7, 16
	s_add_co_i32 s2, s2, 1
	s_bfe_u32 s5, ttmp6, 0x40008
	s_mul_i32 s2, s4, s2
	s_getreg_b32 s3, hwreg(HW_REG_IB_STS2, 6, 4)
	s_add_co_i32 s5, s5, s2
	s_cmp_eq_u32 s3, 0
	s_mov_b32 s17, 0
	s_cselect_b32 s2, s4, s5
	s_wait_kmcnt 0x0
	s_cmp_ge_u32 s2, s33
	s_cbranch_scc1 .LBB166_88
; %bb.1:
	s_clause 0x4
	s_load_b32 s26, s[0:1], 0x30
	s_load_b96 s[8:10], s[0:1], 0x48
	s_load_b128 s[4:7], s[0:1], 0x4
	s_load_b32 s12, s[0:1], 0x68
	s_load_b64 s[18:19], s[0:1], 0x14
	v_mul_u32_u24_e32 v12, 0xe0, v0
	v_mov_b64_e32 v[4:5], 0xbf80000000000000
	v_mov_b64_e32 v[10:11], 0x3f800000
	s_mov_b32 s41, 0
                                        ; implicit-def: $sgpr42
                                        ; implicit-def: $sgpr43
	s_wait_kmcnt 0x0
	s_ashr_i32 s27, s26, 31
	s_ashr_i32 s11, s10, 31
	s_cmp_lg_u32 s4, 0x71
	s_cselect_b32 s34, -1, 0
	s_min_i32 s35, s6, 28
	s_bfe_u32 s6, ttmp6, 0x4000c
	s_lshl_b64 s[28:29], s[8:9], 3
	s_add_co_i32 s6, s6, 1
	s_and_b32 s8, ttmp6, 15
	s_mul_i32 s6, ttmp9, s6
	s_add_co_i32 s16, s12, -1
	s_add_co_i32 s36, s35, -1
	s_add_co_i32 s8, s8, s6
	s_cmp_eq_u32 s3, 0
	s_mov_b32 s22, s18
	s_cselect_b32 s3, ttmp9, s8
	s_mov_b32 s23, s18
	v_mad_u32 v2, s3, 28, v0
	s_mov_b32 s6, s19
	s_mov_b32 s24, s19
	s_mov_b32 s25, s18
	s_delay_alu instid0(VALU_DEP_1) | instskip(NEXT) | instid1(VALU_DEP_1)
	v_ashrrev_i32_e32 v3, 31, v2
	v_mul_u64_e32 v[6:7], s[10:11], v[2:3]
	s_clause 0x2
	s_load_b128 s[12:15], s[0:1], 0x20
	s_load_b128 s[8:11], s[0:1], 0x38
	s_load_b64 s[20:21], s[0:1], 0x58
	s_wait_xcnt 0x0
	s_mul_i32 s0, s3, 0xffffffe4
	v_lshlrev_b32_e32 v2, 3, v0
	s_add_co_i32 s0, s7, s0
	s_cmp_ge_u32 s3, s16
	v_mov_b32_e32 v3, 0
	s_cselect_b32 s3, s0, 28
	s_cmp_lg_u32 s5, 0x84
	s_mov_b32 s7, s19
	s_cselect_b32 s37, -1, 0
	s_cmp_lg_u32 s4, 0x6f
	s_cselect_b32 s38, -1, 0
	s_lshl_b32 s40, s35, 3
	s_or_b32 s39, 0, 8
	s_add_co_i32 s40, s40, -8
	s_wait_kmcnt 0x0
	s_lshl_b64 s[0:1], s[14:15], 3
	s_add_nc_u64 s[10:11], s[10:11], s[28:29]
	s_add_nc_u64 s[4:5], s[12:13], s[0:1]
	v_cmp_gt_i32_e64 s0, s35, v0
	v_add_nc_u64_e32 v[8:9], s[4:5], v[2:3]
	v_cmp_gt_i32_e64 s1, s3, v0
	v_add_nc_u32_e32 v3, v2, v12
	s_lshl_b64 s[4:5], s[8:9], 3
	s_lshl_b64 s[8:9], s[26:27], 3
	;; [unrolled: 1-line block ×3, first 2 shown]
	v_lshl_add_u64 v[0:1], v[6:7], 3, s[10:11]
	v_add_nc_u64_e32 v[6:7], 4, v[8:9]
	s_get_pc_i64 s[10:11]
	s_add_nc_u64 s[10:11], s[10:11], __const._ZL30rocblas_trsm_small_left_deviceILi28ELi28ELb1E19rocblas_complex_numIfES1_PKS1_PS1_Ev13rocblas_fill_18rocblas_operation_17rocblas_diagonal_iiT3_T4_lilT5_lili.step_sizes@rel64+4
	s_delay_alu instid0(VALU_DEP_2)
	v_add_nc_u64_e32 v[8:9], 4, v[0:1]
	s_branch .LBB166_4
.LBB166_2:                              ;   in Loop: Header=BB166_4 Depth=1
	s_add_co_i32 s2, s2, 0x10000
	s_delay_alu instid0(SALU_CYCLE_1)
	s_cmp_ge_u32 s2, s33
	s_cselect_b32 s3, -1, 0
	s_and_not1_b32 s43, s43, exec_lo
	s_or_not1_b32 s14, s3, exec_lo
.LBB166_3:                              ;   in Loop: Header=BB166_4 Depth=1
	s_wait_xcnt 0x0
	s_or_b32 exec_lo, exec_lo, s44
	s_delay_alu instid0(SALU_CYCLE_1) | instskip(NEXT) | instid1(SALU_CYCLE_1)
	s_and_b32 s3, exec_lo, s14
	s_or_b32 s41, s3, s41
	s_and_not1_b32 s3, s42, exec_lo
	s_and_b32 s14, s43, exec_lo
	s_delay_alu instid0(SALU_CYCLE_1)
	s_or_b32 s42, s3, s14
	s_and_not1_b32 exec_lo, exec_lo, s41
	s_cbranch_execz .LBB166_87
.LBB166_4:                              ; =>This Loop Header: Depth=1
                                        ;     Child Loop BB166_7 Depth 2
                                        ;     Child Loop BB166_23 Depth 2
                                        ;       Child Loop BB166_26 Depth 3
                                        ;         Child Loop BB166_28 Depth 4
                                        ;         Child Loop BB166_32 Depth 4
	;; [unrolled: 1-line block ×3, first 2 shown]
                                        ;           Child Loop BB166_38 Depth 5
                                        ;           Child Loop BB166_44 Depth 5
                                        ;         Child Loop BB166_47 Depth 4
                                        ;           Child Loop BB166_49 Depth 5
                                        ;     Child Loop BB166_57 Depth 2
                                        ;       Child Loop BB166_60 Depth 3
                                        ;         Child Loop BB166_62 Depth 4
                                        ;         Child Loop BB166_66 Depth 4
                                        ;         Child Loop BB166_70 Depth 4
                                        ;           Child Loop BB166_72 Depth 5
                                        ;           Child Loop BB166_78 Depth 5
                                        ;         Child Loop BB166_81 Depth 4
                                        ;           Child Loop BB166_83 Depth 5
	s_mov_b32 s3, s17
	s_and_saveexec_b32 s14, s0
	s_cbranch_execz .LBB166_19
; %bb.5:                                ;   in Loop: Header=BB166_4 Depth=1
	v_mad_nc_u64_u32 v[12:13], s4, s2, v[6:7]
	v_mov_b32_e32 v16, v2
	s_mov_b32 s15, s35
	s_delay_alu instid0(VALU_DEP_2)
	v_mad_u32 v13, s5, s2, v13
	s_branch .LBB166_7
.LBB166_6:                              ;   in Loop: Header=BB166_7 Depth=2
	global_load_b32 v14, v[12:13], off offset:-4
	s_wait_xcnt 0x0
	v_add_nc_u64_e32 v[12:13], s[8:9], v[12:13]
	s_add_co_i32 s15, s15, -1
	s_delay_alu instid0(SALU_CYCLE_1)
	s_cmp_eq_u32 s15, 0
	s_wait_loadcnt 0x0
	ds_store_b64 v16, v[14:15]
	v_add_nc_u32_e32 v16, 0xe0, v16
	s_cbranch_scc1 .LBB166_11
.LBB166_7:                              ;   Parent Loop BB166_4 Depth=1
                                        ; =>  This Inner Loop Header: Depth=2
	s_and_b32 vcc_lo, exec_lo, s34
	s_mov_b32 s16, -1
                                        ; implicit-def: $vgpr15
	s_cbranch_vccz .LBB166_9
; %bb.8:                                ;   in Loop: Header=BB166_7 Depth=2
	global_load_b32 v15, v[12:13], off
	s_mov_b32 s16, 0
.LBB166_9:                              ;   in Loop: Header=BB166_7 Depth=2
	s_delay_alu instid0(SALU_CYCLE_1)
	s_and_not1_b32 vcc_lo, exec_lo, s16
	s_cbranch_vccnz .LBB166_6
; %bb.10:                               ;   in Loop: Header=BB166_7 Depth=2
	global_load_b32 v14, v[12:13], off
	s_wait_loadcnt 0x0
	v_xor_b32_e32 v15, 0x80000000, v14
	s_branch .LBB166_6
.LBB166_11:                             ;   in Loop: Header=BB166_4 Depth=1
	s_and_b32 vcc_lo, exec_lo, s37
	s_mov_b32 s15, -1
	s_cbranch_vccz .LBB166_17
; %bb.12:                               ;   in Loop: Header=BB166_4 Depth=1
	ds_load_b64 v[12:13], v3
                                        ; implicit-def: $vgpr14_vgpr15
	s_wait_dscnt 0x0
	v_cmp_ngt_f32_e64 s15, |v12|, |v13|
	s_and_saveexec_b32 s16, s15
	s_delay_alu instid0(SALU_CYCLE_1)
	s_xor_b32 s15, exec_lo, s16
	s_cbranch_execz .LBB166_14
; %bb.13:                               ;   in Loop: Header=BB166_4 Depth=1
	v_div_scale_f32 v14, null, v13, v13, v12
	v_div_scale_f32 v17, vcc_lo, v12, v13, v12
	s_delay_alu instid0(VALU_DEP_2) | instskip(SKIP_1) | instid1(TRANS32_DEP_1)
	v_rcp_f32_e32 v15, v14
	v_nop
	v_fma_f32 v16, -v14, v15, 1.0
	s_delay_alu instid0(VALU_DEP_1) | instskip(NEXT) | instid1(VALU_DEP_1)
	v_fmac_f32_e32 v15, v16, v15
	v_mul_f32_e32 v16, v17, v15
	s_delay_alu instid0(VALU_DEP_1) | instskip(NEXT) | instid1(VALU_DEP_1)
	v_fma_f32 v18, -v14, v16, v17
	v_fmac_f32_e32 v16, v18, v15
	s_delay_alu instid0(VALU_DEP_1) | instskip(NEXT) | instid1(VALU_DEP_1)
	v_fma_f32 v14, -v14, v16, v17
	v_div_fmas_f32 v14, v14, v15, v16
	s_delay_alu instid0(VALU_DEP_1) | instskip(NEXT) | instid1(VALU_DEP_1)
	v_div_fixup_f32 v14, v14, v13, v12
	v_fmac_f32_e32 v13, v12, v14
	s_delay_alu instid0(VALU_DEP_1) | instskip(SKIP_1) | instid1(VALU_DEP_2)
	v_div_scale_f32 v12, null, v13, v13, 1.0
	v_div_scale_f32 v17, vcc_lo, 1.0, v13, 1.0
	v_rcp_f32_e32 v15, v12
	v_nop
	s_delay_alu instid0(TRANS32_DEP_1) | instskip(NEXT) | instid1(VALU_DEP_1)
	v_fma_f32 v16, -v12, v15, 1.0
	v_fmac_f32_e32 v15, v16, v15
	s_delay_alu instid0(VALU_DEP_1) | instskip(NEXT) | instid1(VALU_DEP_1)
	v_mul_f32_e32 v16, v17, v15
	v_fma_f32 v18, -v12, v16, v17
	s_delay_alu instid0(VALU_DEP_1) | instskip(NEXT) | instid1(VALU_DEP_1)
	v_fmac_f32_e32 v16, v18, v15
	v_fma_f32 v12, -v12, v16, v17
	s_delay_alu instid0(VALU_DEP_1) | instskip(SKIP_1) | instid1(VALU_DEP_2)
	v_div_fmas_f32 v12, v12, v15, v16
	v_mul_f32_e32 v15, 0, v14
	v_div_fixup_f32 v12, v12, v13, 1.0
	s_delay_alu instid0(VALU_DEP_2) | instskip(NEXT) | instid1(VALU_DEP_1)
	v_pk_add_f32 v[14:15], v[14:15], v[4:5]
	v_pk_mul_f32 v[14:15], v[14:15], v[12:13] op_sel_hi:[1,0]
                                        ; implicit-def: $vgpr12_vgpr13
.LBB166_14:                             ;   in Loop: Header=BB166_4 Depth=1
	s_and_not1_saveexec_b32 s15, s15
	s_cbranch_execz .LBB166_16
; %bb.15:                               ;   in Loop: Header=BB166_4 Depth=1
	v_div_scale_f32 v14, null, v12, v12, v13
	v_div_scale_f32 v17, vcc_lo, v13, v12, v13
	s_delay_alu instid0(VALU_DEP_2) | instskip(SKIP_1) | instid1(TRANS32_DEP_1)
	v_rcp_f32_e32 v15, v14
	v_nop
	v_fma_f32 v16, -v14, v15, 1.0
	s_delay_alu instid0(VALU_DEP_1) | instskip(NEXT) | instid1(VALU_DEP_1)
	v_fmac_f32_e32 v15, v16, v15
	v_mul_f32_e32 v16, v17, v15
	s_delay_alu instid0(VALU_DEP_1) | instskip(NEXT) | instid1(VALU_DEP_1)
	v_fma_f32 v18, -v14, v16, v17
	v_fmac_f32_e32 v16, v18, v15
	s_delay_alu instid0(VALU_DEP_1) | instskip(NEXT) | instid1(VALU_DEP_1)
	v_fma_f32 v14, -v14, v16, v17
	v_div_fmas_f32 v14, v14, v15, v16
	s_delay_alu instid0(VALU_DEP_1) | instskip(NEXT) | instid1(VALU_DEP_1)
	v_div_fixup_f32 v15, v14, v12, v13
	v_fmac_f32_e32 v12, v13, v15
	s_delay_alu instid0(VALU_DEP_1) | instskip(SKIP_1) | instid1(VALU_DEP_2)
	v_div_scale_f32 v13, null, v12, v12, 1.0
	v_div_scale_f32 v17, vcc_lo, 1.0, v12, 1.0
	v_rcp_f32_e32 v14, v13
	v_nop
	s_delay_alu instid0(TRANS32_DEP_1) | instskip(NEXT) | instid1(VALU_DEP_1)
	v_fma_f32 v16, -v13, v14, 1.0
	v_fmac_f32_e32 v14, v16, v14
	s_delay_alu instid0(VALU_DEP_1) | instskip(NEXT) | instid1(VALU_DEP_1)
	v_mul_f32_e32 v16, v17, v14
	v_fma_f32 v18, -v13, v16, v17
	s_delay_alu instid0(VALU_DEP_1) | instskip(NEXT) | instid1(VALU_DEP_1)
	v_fmac_f32_e32 v16, v18, v14
	v_dual_fma_f32 v13, -v13, v16, v17 :: v_dual_mul_f32 v17, 0, v15
	v_sub_f32_e32 v15, 0, v15
	s_delay_alu instid0(VALU_DEP_2) | instskip(NEXT) | instid1(VALU_DEP_3)
	v_div_fmas_f32 v13, v13, v14, v16
	v_add_f32_e32 v14, 1.0, v17
	s_delay_alu instid0(VALU_DEP_2) | instskip(NEXT) | instid1(VALU_DEP_1)
	v_div_fixup_f32 v12, v13, v12, 1.0
	v_pk_mul_f32 v[14:15], v[14:15], v[12:13] op_sel_hi:[1,0]
.LBB166_16:                             ;   in Loop: Header=BB166_4 Depth=1
	s_or_b32 exec_lo, exec_lo, s15
	s_mov_b32 s15, 0
	ds_store_b64 v3, v[14:15]
.LBB166_17:                             ;   in Loop: Header=BB166_4 Depth=1
	s_and_b32 vcc_lo, exec_lo, s15
	s_cbranch_vccz .LBB166_19
; %bb.18:                               ;   in Loop: Header=BB166_4 Depth=1
	ds_store_b64 v3, v[10:11]
.LBB166_19:                             ;   in Loop: Header=BB166_4 Depth=1
	s_or_b32 exec_lo, exec_lo, s14
	s_mov_b32 s14, -1
	s_or_b32 s43, s43, exec_lo
	s_wait_dscnt 0x0
	; wave barrier
	s_and_saveexec_b32 s44, s1
	s_cbranch_execz .LBB166_3
; %bb.20:                               ;   in Loop: Header=BB166_4 Depth=1
	s_mul_u64 s[14:15], s[20:21], s[2:3]
	s_and_not1_b32 vcc_lo, exec_lo, s38
	v_lshl_add_u64 v[12:13], s[14:15], 3, v[0:1]
	s_mul_u64 s[14:15], s[12:13], s[2:3]
	s_mov_b32 s3, -1
	s_cbranch_vccnz .LBB166_54
; %bb.21:                               ;   in Loop: Header=BB166_4 Depth=1
	v_add_nc_u64_e32 v[14:15], s[14:15], v[8:9]
	s_mov_b32 s3, 0
	s_mov_b32 s26, s36
	s_branch .LBB166_23
.LBB166_22:                             ;   in Loop: Header=BB166_23 Depth=2
	s_cmp_gt_i32 s26, -1
	s_cselect_b32 s16, -1, 0
	s_add_co_i32 s27, s3, 1
	s_cmp_lt_u32 s3, 2
	s_wait_xcnt 0x0
	s_cselect_b32 s3, -1, 0
	s_delay_alu instid0(SALU_CYCLE_1) | instskip(NEXT) | instid1(SALU_CYCLE_1)
	s_and_b32 s3, s16, s3
	s_and_b32 vcc_lo, exec_lo, s3
	s_mov_b32 s3, s27
	s_cbranch_vccz .LBB166_53
.LBB166_23:                             ;   Parent Loop BB166_4 Depth=1
                                        ; =>  This Loop Header: Depth=2
                                        ;       Child Loop BB166_26 Depth 3
                                        ;         Child Loop BB166_28 Depth 4
                                        ;         Child Loop BB166_32 Depth 4
	;; [unrolled: 1-line block ×3, first 2 shown]
                                        ;           Child Loop BB166_38 Depth 5
                                        ;           Child Loop BB166_44 Depth 5
                                        ;         Child Loop BB166_47 Depth 4
                                        ;           Child Loop BB166_49 Depth 5
	s_load_b32 s45, s[10:11], s3 offset:0x0 scale_offset
	s_wait_kmcnt 0x0
	s_add_co_i32 s46, s45, -1
	s_delay_alu instid0(SALU_CYCLE_1)
	s_cmp_lt_i32 s26, s46
	s_cbranch_scc1 .LBB166_22
; %bb.24:                               ;   in Loop: Header=BB166_23 Depth=2
	s_max_i32 s47, s45, 1
	s_cmp_lg_u32 s3, 2
	s_mul_i32 s16, s26, 0xe0
	s_cselect_b32 s48, -1, 0
	s_and_b32 s49, s47, 0x7ffffffe
	s_mul_i32 s52, s45, 0xffffff20
	s_cmp_lg_u32 s47, s49
	s_mul_i32 s53, s26, 0xe8
	s_cselect_b32 s50, -1, 0
	s_add_co_i32 s51, s40, s16
	s_mul_i32 s54, s45, 0xffffff18
	s_branch .LBB166_26
.LBB166_25:                             ;   in Loop: Header=BB166_26 Depth=3
	s_sub_co_i32 s26, s26, s45
	s_add_co_i32 s51, s51, s52
	s_add_co_i32 s53, s53, s54
	s_cmp_lt_i32 s26, s46
	s_cbranch_scc1 .LBB166_22
.LBB166_26:                             ;   Parent Loop BB166_4 Depth=1
                                        ;     Parent Loop BB166_23 Depth=2
                                        ; =>    This Loop Header: Depth=3
                                        ;         Child Loop BB166_28 Depth 4
                                        ;         Child Loop BB166_32 Depth 4
	;; [unrolled: 1-line block ×3, first 2 shown]
                                        ;           Child Loop BB166_38 Depth 5
                                        ;           Child Loop BB166_44 Depth 5
                                        ;         Child Loop BB166_47 Depth 4
                                        ;           Child Loop BB166_49 Depth 5
	s_and_not1_b32 vcc_lo, exec_lo, s48
	s_cbranch_vccnz .LBB166_30
; %bb.27:                               ;   in Loop: Header=BB166_26 Depth=3
	s_mov_b32 s27, s26
	s_mov_b32 s28, 1
	;; [unrolled: 1-line block ×3, first 2 shown]
	s_wait_xcnt 0x0
	s_mov_b32 s30, s49
	s_mov_b32 s31, s39
.LBB166_28:                             ;   Parent Loop BB166_4 Depth=1
                                        ;     Parent Loop BB166_23 Depth=2
                                        ;       Parent Loop BB166_26 Depth=3
                                        ; =>      This Inner Loop Header: Depth=4
	s_sub_co_i32 s56, s27, s28
	s_sub_co_i32 s58, s26, s29
	s_ashr_i32 s57, s56, 31
	s_ashr_i32 s59, s58, 31
	v_lshl_add_u64 v[16:17], s[56:57], 3, v[12:13]
	v_lshl_add_u64 v[18:19], s[58:59], 3, v[12:13]
	v_mov_b64_e32 v[20:21], s[6:7]
	v_mov_b64_e32 v[22:23], s[22:23]
	s_add_co_i32 s30, s30, -2
	s_clause 0x1
	global_load_b64 v[16:17], v[16:17], off
	global_load_b64 v[18:19], v[18:19], off
	s_add_co_i32 s29, s29, 2
	s_add_co_i32 s28, s28, 2
	s_mov_b32 s16, s49
	s_mov_b32 s55, s50
	s_wait_loadcnt 0x0
	s_wait_xcnt 0x1
	v_dual_mov_b32 v25, v16 :: v_dual_mov_b32 v16, v19
	v_mov_b32_e32 v24, v18
	s_wait_xcnt 0x0
	s_delay_alu instid0(VALU_DEP_2) | instskip(SKIP_1) | instid1(VALU_DEP_2)
	v_pk_mul_f32 v[18:19], v[16:17], v[20:21]
	v_pk_mul_f32 v[16:17], v[16:17], v[22:23]
	v_pk_fma_f32 v[22:23], v[24:25], v[22:23], v[18:19] neg_lo:[0,0,1] neg_hi:[0,0,1]
	s_delay_alu instid0(VALU_DEP_2) | instskip(NEXT) | instid1(VALU_DEP_1)
	v_pk_fma_f32 v[18:19], v[24:25], v[20:21], v[16:17]
	v_dual_mov_b32 v16, v22 :: v_dual_mov_b32 v17, v18
	s_delay_alu instid0(VALU_DEP_3)
	v_mov_b32_e32 v18, v23
	scratch_store_b128 off, v[16:19], s31 offset:-8
	s_wait_xcnt 0x0
	s_add_co_i32 s31, s31, 16
	s_cmp_lg_u32 s30, 0
	s_cbranch_scc1 .LBB166_28
; %bb.29:                               ;   in Loop: Header=BB166_26 Depth=3
	s_and_b32 vcc_lo, exec_lo, s55
	s_ashr_i32 s27, s26, 31
	s_cbranch_vccnz .LBB166_31
	s_branch .LBB166_33
.LBB166_30:                             ;   in Loop: Header=BB166_26 Depth=3
	s_mov_b32 s16, 0
	s_ashr_i32 s27, s26, 31
	s_cbranch_execz .LBB166_33
.LBB166_31:                             ;   in Loop: Header=BB166_26 Depth=3
	s_lshl_b64 s[28:29], s[26:27], 3
	s_wait_xcnt 0x0
	s_lshl_b64 s[30:31], s[16:17], 3
	s_delay_alu instid0(SALU_CYCLE_1) | instskip(NEXT) | instid1(SALU_CYCLE_1)
	s_sub_nc_u64 s[28:29], s[28:29], s[30:31]
	v_add_nc_u64_e32 v[16:17], s[28:29], v[14:15]
	s_lshl_b32 s28, s16, 3
	s_sub_co_i32 s16, s47, s16
.LBB166_32:                             ;   Parent Loop BB166_4 Depth=1
                                        ;     Parent Loop BB166_23 Depth=2
                                        ;       Parent Loop BB166_26 Depth=3
                                        ; =>      This Inner Loop Header: Depth=4
	global_load_b64 v[18:19], v[16:17], off offset:-4
	v_mov_b64_e32 v[20:21], s[24:25]
	v_mov_b64_e32 v[22:23], s[18:19]
	s_wait_xcnt 0x0
	v_add_nc_u64_e32 v[16:17], -8, v[16:17]
	s_add_co_i32 s16, s16, -1
	s_wait_loadcnt 0x0
	s_delay_alu instid0(VALU_DEP_3) | instskip(NEXT) | instid1(VALU_DEP_1)
	v_pk_mul_f32 v[20:21], v[18:19], v[20:21] op_sel:[1,0]
	v_pk_fma_f32 v[24:25], v[18:19], v[22:23], v[20:21] op_sel_hi:[0,1,1]
	v_pk_fma_f32 v[18:19], v[18:19], v[22:23], v[20:21] neg_lo:[0,0,1] neg_hi:[0,0,1]
	s_delay_alu instid0(VALU_DEP_2)
	v_mov_b32_e32 v19, v25
	scratch_store_b64 off, v[18:19], s28
	s_wait_xcnt 0x0
	s_add_co_i32 s28, s28, 8
	s_cmp_eq_u32 s16, 0
	s_cbranch_scc0 .LBB166_32
.LBB166_33:                             ;   in Loop: Header=BB166_26 Depth=3
	s_cmp_le_i32 s36, s26
	s_cbranch_scc1 .LBB166_45
; %bb.34:                               ;   in Loop: Header=BB166_26 Depth=3
	s_mov_b32 s16, s26
	s_wait_xcnt 0x0
	s_mov_b32 s30, s26
	s_mov_b32 s31, s51
	;; [unrolled: 1-line block ×3, first 2 shown]
	s_branch .LBB166_36
.LBB166_35:                             ;   in Loop: Header=BB166_36 Depth=4
	s_add_co_i32 s28, s28, -1
	s_add_co_i32 s31, s31, -8
	s_cmp_le_i32 s28, s26
	s_cbranch_scc1 .LBB166_45
.LBB166_36:                             ;   Parent Loop BB166_4 Depth=1
                                        ;     Parent Loop BB166_23 Depth=2
                                        ;       Parent Loop BB166_26 Depth=3
                                        ; =>      This Loop Header: Depth=4
                                        ;           Child Loop BB166_38 Depth 5
                                        ;           Child Loop BB166_44 Depth 5
	s_ashr_i32 s29, s28, 31
	s_and_b32 vcc_lo, exec_lo, s48
	s_wait_xcnt 0x0
	v_lshl_add_u64 v[16:17], s[28:29], 3, v[12:13]
	global_load_b64 v[16:17], v[16:17], off
	s_cbranch_vccz .LBB166_40
; %bb.37:                               ;   in Loop: Header=BB166_36 Depth=4
	s_wait_loadcnt 0x0
	v_dual_mov_b32 v20, v16 :: v_dual_mov_b32 v21, v16
	v_dual_mov_b32 v18, v17 :: v_dual_mov_b32 v22, v17
	v_mov_b32_e32 v23, v17
	s_lshl_b32 s29, s28, 3
	s_mov_b32 s55, 1
	s_mov_b32 s56, 0
	s_mov_b32 s57, s49
	s_mov_b32 s58, s39
.LBB166_38:                             ;   Parent Loop BB166_4 Depth=1
                                        ;     Parent Loop BB166_23 Depth=2
                                        ;       Parent Loop BB166_26 Depth=3
                                        ;         Parent Loop BB166_36 Depth=4
                                        ; =>        This Inner Loop Header: Depth=5
	scratch_load_b128 v[24:27], off, s58 offset:-8
	s_sub_co_i32 s59, s30, s55
	s_sub_co_i32 s60, s16, s56
	s_mulk_i32 s59, 0xe0
	s_mulk_i32 s60, 0xe0
	s_add_co_i32 s59, s29, s59
	s_add_co_i32 s60, s29, s60
	s_delay_alu instid0(SALU_CYCLE_1)
	v_dual_mov_b32 v19, s59 :: v_dual_mov_b32 v30, s60
	s_add_co_i32 s57, s57, -2
	s_add_co_i32 s56, s56, 2
	ds_load_b64 v[28:29], v19
	ds_load_b64 v[30:31], v30
	s_add_co_i32 s55, s55, 2
	s_wait_dscnt 0x0
	v_dual_mov_b32 v33, v28 :: v_dual_mov_b32 v28, v31
	v_mov_b32_e32 v32, v30
	s_delay_alu instid0(VALU_DEP_2) | instskip(SKIP_1) | instid1(VALU_DEP_2)
	v_pk_mul_f32 v[30:31], v[28:29], v[22:23]
	v_pk_mul_f32 v[28:29], v[28:29], v[20:21]
	v_pk_fma_f32 v[30:31], v[32:33], v[20:21], v[30:31] neg_lo:[0,0,1] neg_hi:[0,0,1]
	s_delay_alu instid0(VALU_DEP_2) | instskip(SKIP_3) | instid1(VALU_DEP_2)
	v_pk_fma_f32 v[28:29], v[32:33], v[22:23], v[28:29]
	s_wait_loadcnt 0x0
	v_dual_mov_b32 v32, v24 :: v_dual_mov_b32 v33, v26
	v_mov_b32_e32 v26, v25
	v_pk_add_f32 v[30:31], v[32:33], v[30:31] neg_lo:[0,1] neg_hi:[0,1]
	s_delay_alu instid0(VALU_DEP_2) | instskip(NEXT) | instid1(VALU_DEP_1)
	v_pk_add_f32 v[26:27], v[26:27], v[28:29] neg_lo:[0,1] neg_hi:[0,1]
	v_dual_mov_b32 v24, v30 :: v_dual_mov_b32 v25, v26
	s_delay_alu instid0(VALU_DEP_3)
	v_mov_b32_e32 v26, v31
	scratch_store_b128 off, v[24:27], s58 offset:-8
	s_wait_xcnt 0x0
	s_add_co_i32 s58, s58, 16
	s_cmp_lg_u32 s57, 0
	s_cbranch_scc1 .LBB166_38
; %bb.39:                               ;   in Loop: Header=BB166_36 Depth=4
	s_mov_b32 s29, s50
	s_mov_b32 s55, s49
	s_branch .LBB166_42
.LBB166_40:                             ;   in Loop: Header=BB166_36 Depth=4
	s_wait_loadcnt 0x0
	v_mov_b32_e32 v18, v17
	s_mov_b32 s29, 0
	s_mov_b32 s55, s49
	s_cbranch_execz .LBB166_42
; %bb.41:                               ;   in Loop: Header=BB166_36 Depth=4
	s_mov_b32 s29, -1
	s_mov_b32 s55, 0
.LBB166_42:                             ;   in Loop: Header=BB166_36 Depth=4
	s_and_not1_b32 vcc_lo, exec_lo, s29
	s_cbranch_vccnz .LBB166_35
; %bb.43:                               ;   in Loop: Header=BB166_36 Depth=4
	s_wait_xcnt 0x0
	v_dual_mov_b32 v19, v17 :: v_dual_mov_b32 v17, v16
	s_mul_i32 s56, s55, 0xffffff20
	s_lshl_b32 s57, s55, 3
	s_sub_co_i32 s29, s47, s55
	s_add_co_i32 s55, s31, s56
	s_mov_b32 s56, s57
.LBB166_44:                             ;   Parent Loop BB166_4 Depth=1
                                        ;     Parent Loop BB166_23 Depth=2
                                        ;       Parent Loop BB166_26 Depth=3
                                        ;         Parent Loop BB166_36 Depth=4
                                        ; =>        This Inner Loop Header: Depth=5
	scratch_load_b64 v[20:21], off, s56
	v_mov_b32_e32 v22, s55
	s_add_co_i32 s29, s29, -1
	s_addk_co_i32 s55, 0xff20
	ds_load_b64 v[22:23], v22
	s_wait_dscnt 0x0
	v_pk_mul_f32 v[24:25], v[22:23], v[18:19] op_sel:[1,0] op_sel_hi:[0,1]
	s_delay_alu instid0(VALU_DEP_1) | instskip(SKIP_1) | instid1(VALU_DEP_2)
	v_pk_fma_f32 v[26:27], v[22:23], v[16:17], v[24:25]
	v_pk_fma_f32 v[22:23], v[22:23], v[16:17], v[24:25] neg_lo:[0,0,1] neg_hi:[0,0,1]
	v_mov_b32_e32 v23, v27
	s_wait_loadcnt 0x0
	s_delay_alu instid0(VALU_DEP_1)
	v_pk_add_f32 v[20:21], v[20:21], v[22:23] neg_lo:[0,1] neg_hi:[0,1]
	scratch_store_b64 off, v[20:21], s56
	s_wait_xcnt 0x0
	s_add_co_i32 s56, s56, 8
	s_cmp_eq_u32 s29, 0
	s_cbranch_scc0 .LBB166_44
	s_branch .LBB166_35
.LBB166_45:                             ;   in Loop: Header=BB166_26 Depth=3
	s_mov_b32 s16, 0
	s_mov_b32 s55, s53
	s_branch .LBB166_47
.LBB166_46:                             ;   in Loop: Header=BB166_47 Depth=4
	s_wait_xcnt 0x0
	s_mulk_i32 s30, 0xe8
	v_lshl_add_u64 v[24:25], s[28:29], 3, v[12:13]
	s_wait_xcnt 0x0
	v_mov_b32_e32 v17, s30
	s_lshl_b32 s30, s16, 3
	s_add_co_i32 s16, s16, 1
	s_addk_co_i32 s55, 0xff20
	s_cmp_eq_u32 s16, s47
	ds_load_b64 v[20:21], v17
	s_wait_dscnt 0x0
	v_pk_mul_f32 v[18:19], v[20:21], v[18:19] op_sel:[1,0] op_sel_hi:[0,0]
	s_delay_alu instid0(VALU_DEP_1) | instskip(SKIP_1) | instid1(VALU_DEP_2)
	v_pk_fma_f32 v[22:23], v[20:21], v[16:17], v[18:19] op_sel_hi:[1,0,1]
	v_pk_fma_f32 v[16:17], v[20:21], v[16:17], v[18:19] neg_lo:[0,0,1] neg_hi:[0,0,1]
	v_mov_b32_e32 v17, v23
	scratch_store_b64 off, v[16:17], s30
	global_store_b64 v[24:25], v[16:17], off
	s_cbranch_scc1 .LBB166_25
.LBB166_47:                             ;   Parent Loop BB166_4 Depth=1
                                        ;     Parent Loop BB166_23 Depth=2
                                        ;       Parent Loop BB166_26 Depth=3
                                        ; =>      This Loop Header: Depth=4
                                        ;           Child Loop BB166_49 Depth 5
	s_cmp_lg_u32 s16, 0
	s_cbranch_scc0 .LBB166_51
; %bb.48:                               ;   in Loop: Header=BB166_47 Depth=4
	s_lshl_b32 s28, s16, 3
	s_mov_b32 s29, 0
	scratch_load_b64 v[16:17], off, s28
	s_mov_b32 s30, s55
	s_mov_b32 s31, s16
.LBB166_49:                             ;   Parent Loop BB166_4 Depth=1
                                        ;     Parent Loop BB166_23 Depth=2
                                        ;       Parent Loop BB166_26 Depth=3
                                        ;         Parent Loop BB166_47 Depth=4
                                        ; =>        This Inner Loop Header: Depth=5
	scratch_load_b64 v[18:19], off, s29
	v_mov_b32_e32 v20, s30
	s_add_co_i32 s31, s31, -1
	s_add_co_i32 s30, s30, -8
	s_wait_xcnt 0x0
	s_add_co_i32 s29, s29, 8
	s_cmp_eq_u32 s31, 0
	ds_load_b64 v[20:21], v20
	s_wait_loadcnt_dscnt 0x0
	v_pk_mul_f32 v[22:23], v[20:21], v[18:19] op_sel:[1,1] op_sel_hi:[0,1]
	s_delay_alu instid0(VALU_DEP_1) | instskip(SKIP_1) | instid1(VALU_DEP_2)
	v_pk_fma_f32 v[24:25], v[20:21], v[18:19], v[22:23] op_sel_hi:[1,0,1]
	v_pk_fma_f32 v[18:19], v[20:21], v[18:19], v[22:23] neg_lo:[0,0,1] neg_hi:[0,0,1]
	v_mov_b32_e32 v19, v25
	s_delay_alu instid0(VALU_DEP_1)
	v_pk_add_f32 v[16:17], v[16:17], v[18:19] neg_lo:[0,1] neg_hi:[0,1]
	scratch_store_b64 off, v[16:17], s28
	s_cbranch_scc0 .LBB166_49
; %bb.50:                               ;   in Loop: Header=BB166_47 Depth=4
	s_sub_co_i32 s30, s26, s16
	v_mov_b32_e32 v18, v17
	s_ashr_i32 s31, s30, 31
	s_wait_xcnt 0x0
	s_mov_b64 s[28:29], s[30:31]
	s_branch .LBB166_46
.LBB166_51:                             ;   in Loop: Header=BB166_47 Depth=4
                                        ; implicit-def: $vgpr16
                                        ; implicit-def: $vgpr18
                                        ; implicit-def: $sgpr30
                                        ; implicit-def: $sgpr28_sgpr29
	s_cbranch_execz .LBB166_46
; %bb.52:                               ;   in Loop: Header=BB166_47 Depth=4
	scratch_load_b64 v[16:17], off, off
	s_mov_b64 s[28:29], s[26:27]
	s_mov_b32 s30, s26
	s_wait_loadcnt 0x0
	v_mov_b32_e32 v18, v17
	s_branch .LBB166_46
.LBB166_53:                             ;   in Loop: Header=BB166_4 Depth=1
	s_mov_b32 s3, 0
.LBB166_54:                             ;   in Loop: Header=BB166_4 Depth=1
	s_delay_alu instid0(SALU_CYCLE_1)
	s_and_b32 vcc_lo, exec_lo, s3
	s_cbranch_vccz .LBB166_2
; %bb.55:                               ;   in Loop: Header=BB166_4 Depth=1
	v_add_nc_u64_e32 v[14:15], s[14:15], v[8:9]
	s_mov_b32 s14, 0
	s_mov_b32 s3, 0
	s_branch .LBB166_57
.LBB166_56:                             ;   in Loop: Header=BB166_57 Depth=2
	s_cmp_lt_i32 s14, s35
	s_cselect_b32 s15, -1, 0
	s_add_co_i32 s16, s3, 1
	s_cmp_lt_u32 s3, 2
	s_wait_xcnt 0x0
	s_cselect_b32 s3, -1, 0
	s_delay_alu instid0(SALU_CYCLE_1) | instskip(NEXT) | instid1(SALU_CYCLE_1)
	s_and_b32 s3, s15, s3
	s_and_not1_b32 vcc_lo, exec_lo, s3
	s_mov_b32 s3, s16
	s_cbranch_vccnz .LBB166_2
.LBB166_57:                             ;   Parent Loop BB166_4 Depth=1
                                        ; =>  This Loop Header: Depth=2
                                        ;       Child Loop BB166_60 Depth 3
                                        ;         Child Loop BB166_62 Depth 4
                                        ;         Child Loop BB166_66 Depth 4
	;; [unrolled: 1-line block ×3, first 2 shown]
                                        ;           Child Loop BB166_72 Depth 5
                                        ;           Child Loop BB166_78 Depth 5
                                        ;         Child Loop BB166_81 Depth 4
                                        ;           Child Loop BB166_83 Depth 5
	s_load_b32 s26, s[10:11], s3 offset:0x0 scale_offset
	s_wait_kmcnt 0x0
	s_add_co_i32 s28, s26, -1
	s_delay_alu instid0(SALU_CYCLE_1) | instskip(NEXT) | instid1(SALU_CYCLE_1)
	s_add_co_i32 s15, s28, s14
	s_cmp_ge_i32 s15, s35
	s_cbranch_scc1 .LBB166_56
; %bb.58:                               ;   in Loop: Header=BB166_57 Depth=2
	s_max_i32 s29, s26, 1
	s_cmp_lg_u32 s3, 2
	s_mul_i32 s48, s14, 0xe8
	s_cselect_b32 s30, -1, 0
	s_and_b32 s31, s29, 0x7ffffffe
	s_mul_i32 s49, s26, 0xe8
	s_cmp_lg_u32 s29, s31
	s_cselect_b32 s45, -1, 0
	s_ashr_i32 s15, s14, 31
	s_ashr_i32 s27, s26, 31
	s_lshl_b32 s46, s14, 3
	s_lshl_b32 s47, s26, 3
	s_branch .LBB166_60
.LBB166_59:                             ;   in Loop: Header=BB166_60 Depth=3
	s_add_nc_u64 s[14:15], s[14:15], s[26:27]
	s_add_co_i32 s46, s46, s47
	s_add_co_i32 s16, s28, s14
	;; [unrolled: 1-line block ×3, first 2 shown]
	s_cmp_ge_i32 s16, s35
	s_cbranch_scc1 .LBB166_56
.LBB166_60:                             ;   Parent Loop BB166_4 Depth=1
                                        ;     Parent Loop BB166_57 Depth=2
                                        ; =>    This Loop Header: Depth=3
                                        ;         Child Loop BB166_62 Depth 4
                                        ;         Child Loop BB166_66 Depth 4
	;; [unrolled: 1-line block ×3, first 2 shown]
                                        ;           Child Loop BB166_72 Depth 5
                                        ;           Child Loop BB166_78 Depth 5
                                        ;         Child Loop BB166_81 Depth 4
                                        ;           Child Loop BB166_83 Depth 5
	s_and_not1_b32 vcc_lo, exec_lo, s30
	s_cbranch_vccnz .LBB166_64
; %bb.61:                               ;   in Loop: Header=BB166_60 Depth=3
	s_mov_b32 s50, s14
	s_wait_xcnt 0x0
	s_mov_b32 s51, s14
	s_mov_b32 s52, 1
	;; [unrolled: 1-line block ×5, first 2 shown]
.LBB166_62:                             ;   Parent Loop BB166_4 Depth=1
                                        ;     Parent Loop BB166_57 Depth=2
                                        ;       Parent Loop BB166_60 Depth=3
                                        ; =>      This Inner Loop Header: Depth=4
	s_add_co_i32 s56, s52, s51
	s_add_co_i32 s58, s53, s50
	s_ashr_i32 s57, s56, 31
	s_ashr_i32 s59, s58, 31
	v_lshl_add_u64 v[16:17], s[56:57], 3, v[12:13]
	v_lshl_add_u64 v[18:19], s[58:59], 3, v[12:13]
	v_mov_b64_e32 v[20:21], s[6:7]
	v_mov_b64_e32 v[22:23], s[22:23]
	s_add_co_i32 s54, s54, -2
	s_clause 0x1
	global_load_b64 v[16:17], v[16:17], off
	global_load_b64 v[18:19], v[18:19], off
	s_add_co_i32 s53, s53, 2
	s_add_co_i32 s52, s52, 2
	s_mov_b32 s16, s31
	s_mov_b32 s56, s45
	s_wait_loadcnt 0x0
	s_wait_xcnt 0x1
	v_dual_mov_b32 v25, v16 :: v_dual_mov_b32 v16, v19
	v_mov_b32_e32 v24, v18
	s_wait_xcnt 0x0
	s_delay_alu instid0(VALU_DEP_2) | instskip(SKIP_1) | instid1(VALU_DEP_2)
	v_pk_mul_f32 v[18:19], v[16:17], v[20:21]
	v_pk_mul_f32 v[16:17], v[16:17], v[22:23]
	v_pk_fma_f32 v[22:23], v[24:25], v[22:23], v[18:19] neg_lo:[0,0,1] neg_hi:[0,0,1]
	s_delay_alu instid0(VALU_DEP_2) | instskip(NEXT) | instid1(VALU_DEP_1)
	v_pk_fma_f32 v[18:19], v[24:25], v[20:21], v[16:17]
	v_dual_mov_b32 v16, v22 :: v_dual_mov_b32 v17, v18
	s_delay_alu instid0(VALU_DEP_3)
	v_mov_b32_e32 v18, v23
	scratch_store_b128 off, v[16:19], s55 offset:-8
	s_wait_xcnt 0x0
	s_add_co_i32 s55, s55, 16
	s_cmp_lg_u32 s54, 0
	s_cbranch_scc1 .LBB166_62
; %bb.63:                               ;   in Loop: Header=BB166_60 Depth=3
	s_and_b32 vcc_lo, exec_lo, s56
	s_cbranch_vccnz .LBB166_65
	s_branch .LBB166_67
.LBB166_64:                             ;   in Loop: Header=BB166_60 Depth=3
	s_mov_b32 s16, 0
	s_cbranch_execz .LBB166_67
.LBB166_65:                             ;   in Loop: Header=BB166_60 Depth=3
	s_wait_xcnt 0x0
	s_add_nc_u64 s[50:51], s[14:15], s[16:17]
	s_delay_alu instid0(SALU_CYCLE_1)
	v_lshl_add_u64 v[16:17], s[50:51], 3, v[14:15]
	s_lshl_b32 s50, s16, 3
	s_sub_co_i32 s16, s29, s16
.LBB166_66:                             ;   Parent Loop BB166_4 Depth=1
                                        ;     Parent Loop BB166_57 Depth=2
                                        ;       Parent Loop BB166_60 Depth=3
                                        ; =>      This Inner Loop Header: Depth=4
	global_load_b64 v[18:19], v[16:17], off offset:-4
	v_mov_b64_e32 v[20:21], s[24:25]
	v_mov_b64_e32 v[22:23], s[18:19]
	s_wait_xcnt 0x0
	v_add_nc_u64_e32 v[16:17], 8, v[16:17]
	s_add_co_i32 s16, s16, -1
	s_wait_loadcnt 0x0
	s_delay_alu instid0(VALU_DEP_3) | instskip(NEXT) | instid1(VALU_DEP_1)
	v_pk_mul_f32 v[20:21], v[18:19], v[20:21] op_sel:[1,0]
	v_pk_fma_f32 v[24:25], v[18:19], v[22:23], v[20:21] op_sel_hi:[0,1,1]
	v_pk_fma_f32 v[18:19], v[18:19], v[22:23], v[20:21] neg_lo:[0,0,1] neg_hi:[0,0,1]
	s_delay_alu instid0(VALU_DEP_2)
	v_mov_b32_e32 v19, v25
	scratch_store_b64 off, v[18:19], s50
	s_wait_xcnt 0x0
	s_add_co_i32 s50, s50, 8
	s_cmp_eq_u32 s16, 0
	s_cbranch_scc0 .LBB166_66
.LBB166_67:                             ;   in Loop: Header=BB166_60 Depth=3
	s_cmp_lt_i32 s14, 1
	s_cbranch_scc1 .LBB166_79
; %bb.68:                               ;   in Loop: Header=BB166_60 Depth=3
	s_mov_b32 s16, 0
	s_mov_b32 s50, s46
	s_branch .LBB166_70
.LBB166_69:                             ;   in Loop: Header=BB166_70 Depth=4
	s_add_co_i32 s16, s16, 1
	s_addk_co_i32 s50, 0xe0
	s_cmp_eq_u32 s16, s14
	s_cbranch_scc1 .LBB166_79
.LBB166_70:                             ;   Parent Loop BB166_4 Depth=1
                                        ;     Parent Loop BB166_57 Depth=2
                                        ;       Parent Loop BB166_60 Depth=3
                                        ; =>      This Loop Header: Depth=4
                                        ;           Child Loop BB166_72 Depth 5
                                        ;           Child Loop BB166_78 Depth 5
	s_wait_xcnt 0x0
	v_lshl_add_u64 v[16:17], s[16:17], 3, v[12:13]
	s_and_b32 vcc_lo, exec_lo, s30
	global_load_b64 v[16:17], v[16:17], off
	s_cbranch_vccz .LBB166_74
; %bb.71:                               ;   in Loop: Header=BB166_70 Depth=4
	s_wait_loadcnt 0x0
	v_dual_mov_b32 v20, v16 :: v_dual_mov_b32 v21, v16
	v_dual_mov_b32 v18, v17 :: v_dual_mov_b32 v22, v17
	v_mov_b32_e32 v23, v17
	s_mov_b32 s51, s31
	s_mov_b32 s52, s39
	s_mov_b32 s53, s50
.LBB166_72:                             ;   Parent Loop BB166_4 Depth=1
                                        ;     Parent Loop BB166_57 Depth=2
                                        ;       Parent Loop BB166_60 Depth=3
                                        ;         Parent Loop BB166_70 Depth=4
                                        ; =>        This Inner Loop Header: Depth=5
	scratch_load_b128 v[24:27], off, s52 offset:-8
	v_mov_b32_e32 v19, s53
	s_add_co_i32 s51, s51, -2
	s_add_co_i32 s53, s53, 16
	ds_load_2addr_b64 v[28:31], v19 offset1:1
	s_wait_dscnt 0x0
	v_dual_mov_b32 v33, v30 :: v_dual_mov_b32 v30, v29
	v_mov_b32_e32 v32, v28
	s_delay_alu instid0(VALU_DEP_2) | instskip(SKIP_1) | instid1(VALU_DEP_2)
	v_pk_mul_f32 v[28:29], v[30:31], v[22:23]
	v_pk_mul_f32 v[30:31], v[30:31], v[20:21]
	v_pk_fma_f32 v[28:29], v[32:33], v[20:21], v[28:29] neg_lo:[0,0,1] neg_hi:[0,0,1]
	s_delay_alu instid0(VALU_DEP_2) | instskip(SKIP_2) | instid1(VALU_DEP_1)
	v_pk_fma_f32 v[30:31], v[32:33], v[22:23], v[30:31]
	s_wait_loadcnt 0x0
	v_dual_mov_b32 v32, v24 :: v_dual_mov_b32 v33, v26
	v_pk_add_f32 v[28:29], v[32:33], v[28:29] neg_lo:[0,1] neg_hi:[0,1]
	s_delay_alu instid0(VALU_DEP_1) | instskip(NEXT) | instid1(VALU_DEP_1)
	v_dual_mov_b32 v26, v25 :: v_dual_mov_b32 v24, v28
	v_pk_add_f32 v[26:27], v[26:27], v[30:31] neg_lo:[0,1] neg_hi:[0,1]
	s_delay_alu instid0(VALU_DEP_1)
	v_dual_mov_b32 v25, v26 :: v_dual_mov_b32 v26, v29
	scratch_store_b128 off, v[24:27], s52 offset:-8
	s_wait_xcnt 0x0
	s_add_co_i32 s52, s52, 16
	s_cmp_lg_u32 s51, 0
	s_cbranch_scc1 .LBB166_72
; %bb.73:                               ;   in Loop: Header=BB166_70 Depth=4
	s_mov_b32 s51, s45
	s_mov_b32 s52, s31
	s_branch .LBB166_76
.LBB166_74:                             ;   in Loop: Header=BB166_70 Depth=4
	s_wait_loadcnt 0x0
	v_mov_b32_e32 v18, v17
	s_mov_b32 s51, 0
	s_mov_b32 s52, s31
	s_cbranch_execz .LBB166_76
; %bb.75:                               ;   in Loop: Header=BB166_70 Depth=4
	s_mov_b32 s51, -1
	s_mov_b32 s52, 0
.LBB166_76:                             ;   in Loop: Header=BB166_70 Depth=4
	s_and_not1_b32 vcc_lo, exec_lo, s51
	s_cbranch_vccnz .LBB166_69
; %bb.77:                               ;   in Loop: Header=BB166_70 Depth=4
	s_wait_xcnt 0x0
	v_dual_mov_b32 v19, v17 :: v_dual_mov_b32 v17, v16
	s_sub_co_i32 s51, s29, s52
	s_lshl_b32 s52, s52, 3
.LBB166_78:                             ;   Parent Loop BB166_4 Depth=1
                                        ;     Parent Loop BB166_57 Depth=2
                                        ;       Parent Loop BB166_60 Depth=3
                                        ;         Parent Loop BB166_70 Depth=4
                                        ; =>        This Inner Loop Header: Depth=5
	scratch_load_b64 v[20:21], off, s52
	s_add_co_i32 s54, s50, s52
	s_add_co_i32 s51, s51, -1
	v_mov_b32_e32 v22, s54
	s_mov_b32 s53, s52
	s_wait_xcnt 0x0
	s_add_co_i32 s52, s52, 8
	s_cmp_eq_u32 s51, 0
	ds_load_b64 v[22:23], v22
	s_wait_dscnt 0x0
	v_pk_mul_f32 v[24:25], v[22:23], v[18:19] op_sel:[1,0] op_sel_hi:[0,1]
	s_delay_alu instid0(VALU_DEP_1) | instskip(SKIP_1) | instid1(VALU_DEP_2)
	v_pk_fma_f32 v[26:27], v[22:23], v[16:17], v[24:25]
	v_pk_fma_f32 v[22:23], v[22:23], v[16:17], v[24:25] neg_lo:[0,0,1] neg_hi:[0,0,1]
	v_mov_b32_e32 v23, v27
	s_wait_loadcnt 0x0
	s_delay_alu instid0(VALU_DEP_1)
	v_pk_add_f32 v[20:21], v[20:21], v[22:23] neg_lo:[0,1] neg_hi:[0,1]
	scratch_store_b64 off, v[20:21], s53
	s_cbranch_scc0 .LBB166_78
	s_branch .LBB166_69
.LBB166_79:                             ;   in Loop: Header=BB166_60 Depth=3
	s_mov_b32 s16, 0
	s_mov_b32 s50, s48
	s_branch .LBB166_81
.LBB166_80:                             ;   in Loop: Header=BB166_81 Depth=4
	s_add_co_i32 s52, s16, s14
	s_add_co_i32 s50, s50, 8
	s_mul_i32 s51, s52, 0xe8
	s_wait_xcnt 0x0
	s_ashr_i32 s53, s52, 31
	v_mov_b32_e32 v17, s51
	s_lshl_b32 s51, s16, 3
	s_add_co_i32 s16, s16, 1
	s_delay_alu instid0(SALU_CYCLE_1) | instskip(SKIP_3) | instid1(VALU_DEP_1)
	s_cmp_eq_u32 s16, s29
	ds_load_b64 v[20:21], v17
	s_wait_dscnt 0x0
	v_pk_mul_f32 v[18:19], v[20:21], v[18:19] op_sel:[1,0] op_sel_hi:[0,0]
	v_pk_fma_f32 v[22:23], v[20:21], v[16:17], v[18:19] op_sel_hi:[1,0,1]
	v_pk_fma_f32 v[16:17], v[20:21], v[16:17], v[18:19] neg_lo:[0,0,1] neg_hi:[0,0,1]
	v_lshl_add_u64 v[18:19], s[52:53], 3, v[12:13]
	s_delay_alu instid0(VALU_DEP_3)
	v_mov_b32_e32 v17, v23
	scratch_store_b64 off, v[16:17], s51
	global_store_b64 v[18:19], v[16:17], off
	s_cbranch_scc1 .LBB166_59
.LBB166_81:                             ;   Parent Loop BB166_4 Depth=1
                                        ;     Parent Loop BB166_57 Depth=2
                                        ;       Parent Loop BB166_60 Depth=3
                                        ; =>      This Loop Header: Depth=4
                                        ;           Child Loop BB166_83 Depth 5
	s_cmp_lg_u32 s16, 0
	s_cbranch_scc0 .LBB166_85
; %bb.82:                               ;   in Loop: Header=BB166_81 Depth=4
	s_wait_xcnt 0x0
	s_lshl_b32 s51, s16, 3
	s_mov_b32 s52, 0
	scratch_load_b64 v[16:17], off, s51
	s_mov_b32 s53, s50
	s_mov_b32 s54, s16
.LBB166_83:                             ;   Parent Loop BB166_4 Depth=1
                                        ;     Parent Loop BB166_57 Depth=2
                                        ;       Parent Loop BB166_60 Depth=3
                                        ;         Parent Loop BB166_81 Depth=4
                                        ; =>        This Inner Loop Header: Depth=5
	scratch_load_b64 v[18:19], off, s52
	v_mov_b32_e32 v20, s53
	s_add_co_i32 s54, s54, -1
	s_addk_co_i32 s53, 0xe0
	s_wait_xcnt 0x0
	s_add_co_i32 s52, s52, 8
	s_cmp_eq_u32 s54, 0
	ds_load_b64 v[20:21], v20
	s_wait_loadcnt_dscnt 0x0
	v_pk_mul_f32 v[22:23], v[20:21], v[18:19] op_sel:[1,1] op_sel_hi:[0,1]
	s_delay_alu instid0(VALU_DEP_1) | instskip(SKIP_1) | instid1(VALU_DEP_2)
	v_pk_fma_f32 v[24:25], v[20:21], v[18:19], v[22:23] op_sel_hi:[1,0,1]
	v_pk_fma_f32 v[18:19], v[20:21], v[18:19], v[22:23] neg_lo:[0,0,1] neg_hi:[0,0,1]
	v_mov_b32_e32 v19, v25
	s_delay_alu instid0(VALU_DEP_1)
	v_pk_add_f32 v[16:17], v[16:17], v[18:19] neg_lo:[0,1] neg_hi:[0,1]
	scratch_store_b64 off, v[16:17], s51
	s_cbranch_scc0 .LBB166_83
; %bb.84:                               ;   in Loop: Header=BB166_81 Depth=4
	v_mov_b32_e32 v18, v17
	s_wait_xcnt 0x0
	s_branch .LBB166_80
.LBB166_85:                             ;   in Loop: Header=BB166_81 Depth=4
	s_wait_xcnt 0x0
                                        ; implicit-def: $vgpr16
                                        ; implicit-def: $vgpr18
	s_cbranch_execz .LBB166_80
; %bb.86:                               ;   in Loop: Header=BB166_81 Depth=4
	scratch_load_b64 v[16:17], off, off
	s_wait_loadcnt 0x0
	v_mov_b32_e32 v18, v17
	s_branch .LBB166_80
.LBB166_87:
	s_or_b32 exec_lo, exec_lo, s41
	s_and_saveexec_b32 s0, s42
	s_delay_alu instid0(SALU_CYCLE_1)
	s_xor_b32 s0, exec_lo, s0
.LBB166_88:
	s_endpgm
	.section	.rodata,"a",@progbits
	.p2align	6, 0x0
	.amdhsa_kernel _ZL30rocblas_trsm_small_left_deviceILi28ELi28ELb1E19rocblas_complex_numIfES1_PKS1_PS1_Ev13rocblas_fill_18rocblas_operation_17rocblas_diagonal_iiT3_T4_lilT5_lili
		.amdhsa_group_segment_fixed_size 6272
		.amdhsa_private_segment_fixed_size 240
		.amdhsa_kernarg_size 360
		.amdhsa_user_sgpr_count 2
		.amdhsa_user_sgpr_dispatch_ptr 0
		.amdhsa_user_sgpr_queue_ptr 0
		.amdhsa_user_sgpr_kernarg_segment_ptr 1
		.amdhsa_user_sgpr_dispatch_id 0
		.amdhsa_user_sgpr_kernarg_preload_length 0
		.amdhsa_user_sgpr_kernarg_preload_offset 0
		.amdhsa_user_sgpr_private_segment_size 0
		.amdhsa_wavefront_size32 1
		.amdhsa_uses_dynamic_stack 0
		.amdhsa_enable_private_segment 1
		.amdhsa_system_sgpr_workgroup_id_x 1
		.amdhsa_system_sgpr_workgroup_id_y 0
		.amdhsa_system_sgpr_workgroup_id_z 1
		.amdhsa_system_sgpr_workgroup_info 0
		.amdhsa_system_vgpr_workitem_id 0
		.amdhsa_next_free_vgpr 34
		.amdhsa_next_free_sgpr 61
		.amdhsa_named_barrier_count 0
		.amdhsa_reserve_vcc 1
		.amdhsa_float_round_mode_32 0
		.amdhsa_float_round_mode_16_64 0
		.amdhsa_float_denorm_mode_32 3
		.amdhsa_float_denorm_mode_16_64 3
		.amdhsa_fp16_overflow 0
		.amdhsa_memory_ordered 1
		.amdhsa_forward_progress 1
		.amdhsa_inst_pref_size 33
		.amdhsa_round_robin_scheduling 0
		.amdhsa_exception_fp_ieee_invalid_op 0
		.amdhsa_exception_fp_denorm_src 0
		.amdhsa_exception_fp_ieee_div_zero 0
		.amdhsa_exception_fp_ieee_overflow 0
		.amdhsa_exception_fp_ieee_underflow 0
		.amdhsa_exception_fp_ieee_inexact 0
		.amdhsa_exception_int_div_zero 0
	.end_amdhsa_kernel
	.section	.text._ZL30rocblas_trsm_small_left_deviceILi28ELi28ELb1E19rocblas_complex_numIfES1_PKS1_PS1_Ev13rocblas_fill_18rocblas_operation_17rocblas_diagonal_iiT3_T4_lilT5_lili,"axG",@progbits,_ZL30rocblas_trsm_small_left_deviceILi28ELi28ELb1E19rocblas_complex_numIfES1_PKS1_PS1_Ev13rocblas_fill_18rocblas_operation_17rocblas_diagonal_iiT3_T4_lilT5_lili,comdat
.Lfunc_end166:
	.size	_ZL30rocblas_trsm_small_left_deviceILi28ELi28ELb1E19rocblas_complex_numIfES1_PKS1_PS1_Ev13rocblas_fill_18rocblas_operation_17rocblas_diagonal_iiT3_T4_lilT5_lili, .Lfunc_end166-_ZL30rocblas_trsm_small_left_deviceILi28ELi28ELb1E19rocblas_complex_numIfES1_PKS1_PS1_Ev13rocblas_fill_18rocblas_operation_17rocblas_diagonal_iiT3_T4_lilT5_lili
                                        ; -- End function
	.set _ZL30rocblas_trsm_small_left_deviceILi28ELi28ELb1E19rocblas_complex_numIfES1_PKS1_PS1_Ev13rocblas_fill_18rocblas_operation_17rocblas_diagonal_iiT3_T4_lilT5_lili.num_vgpr, 34
	.set _ZL30rocblas_trsm_small_left_deviceILi28ELi28ELb1E19rocblas_complex_numIfES1_PKS1_PS1_Ev13rocblas_fill_18rocblas_operation_17rocblas_diagonal_iiT3_T4_lilT5_lili.num_agpr, 0
	.set _ZL30rocblas_trsm_small_left_deviceILi28ELi28ELb1E19rocblas_complex_numIfES1_PKS1_PS1_Ev13rocblas_fill_18rocblas_operation_17rocblas_diagonal_iiT3_T4_lilT5_lili.numbered_sgpr, 61
	.set _ZL30rocblas_trsm_small_left_deviceILi28ELi28ELb1E19rocblas_complex_numIfES1_PKS1_PS1_Ev13rocblas_fill_18rocblas_operation_17rocblas_diagonal_iiT3_T4_lilT5_lili.num_named_barrier, 0
	.set _ZL30rocblas_trsm_small_left_deviceILi28ELi28ELb1E19rocblas_complex_numIfES1_PKS1_PS1_Ev13rocblas_fill_18rocblas_operation_17rocblas_diagonal_iiT3_T4_lilT5_lili.private_seg_size, 240
	.set _ZL30rocblas_trsm_small_left_deviceILi28ELi28ELb1E19rocblas_complex_numIfES1_PKS1_PS1_Ev13rocblas_fill_18rocblas_operation_17rocblas_diagonal_iiT3_T4_lilT5_lili.uses_vcc, 1
	.set _ZL30rocblas_trsm_small_left_deviceILi28ELi28ELb1E19rocblas_complex_numIfES1_PKS1_PS1_Ev13rocblas_fill_18rocblas_operation_17rocblas_diagonal_iiT3_T4_lilT5_lili.uses_flat_scratch, 0
	.set _ZL30rocblas_trsm_small_left_deviceILi28ELi28ELb1E19rocblas_complex_numIfES1_PKS1_PS1_Ev13rocblas_fill_18rocblas_operation_17rocblas_diagonal_iiT3_T4_lilT5_lili.has_dyn_sized_stack, 0
	.set _ZL30rocblas_trsm_small_left_deviceILi28ELi28ELb1E19rocblas_complex_numIfES1_PKS1_PS1_Ev13rocblas_fill_18rocblas_operation_17rocblas_diagonal_iiT3_T4_lilT5_lili.has_recursion, 0
	.set _ZL30rocblas_trsm_small_left_deviceILi28ELi28ELb1E19rocblas_complex_numIfES1_PKS1_PS1_Ev13rocblas_fill_18rocblas_operation_17rocblas_diagonal_iiT3_T4_lilT5_lili.has_indirect_call, 0
	.section	.AMDGPU.csdata,"",@progbits
; Kernel info:
; codeLenInByte = 4104
; TotalNumSgprs: 63
; NumVgprs: 34
; ScratchSize: 240
; MemoryBound: 0
; FloatMode: 240
; IeeeMode: 1
; LDSByteSize: 6272 bytes/workgroup (compile time only)
; SGPRBlocks: 0
; VGPRBlocks: 2
; NumSGPRsForWavesPerEU: 63
; NumVGPRsForWavesPerEU: 34
; NamedBarCnt: 0
; Occupancy: 13
; WaveLimiterHint : 1
; COMPUTE_PGM_RSRC2:SCRATCH_EN: 1
; COMPUTE_PGM_RSRC2:USER_SGPR: 2
; COMPUTE_PGM_RSRC2:TRAP_HANDLER: 0
; COMPUTE_PGM_RSRC2:TGID_X_EN: 1
; COMPUTE_PGM_RSRC2:TGID_Y_EN: 0
; COMPUTE_PGM_RSRC2:TGID_Z_EN: 1
; COMPUTE_PGM_RSRC2:TIDIG_COMP_CNT: 0
	.section	.text._ZL31rocblas_trsm_small_right_deviceI19rocblas_complex_numIfES1_PKS1_PS1_Li28EEv13rocblas_fill_18rocblas_operation_17rocblas_diagonal_iiT0_T1_lilT2_lili,"axG",@progbits,_ZL31rocblas_trsm_small_right_deviceI19rocblas_complex_numIfES1_PKS1_PS1_Li28EEv13rocblas_fill_18rocblas_operation_17rocblas_diagonal_iiT0_T1_lilT2_lili,comdat
	.globl	_ZL31rocblas_trsm_small_right_deviceI19rocblas_complex_numIfES1_PKS1_PS1_Li28EEv13rocblas_fill_18rocblas_operation_17rocblas_diagonal_iiT0_T1_lilT2_lili ; -- Begin function _ZL31rocblas_trsm_small_right_deviceI19rocblas_complex_numIfES1_PKS1_PS1_Li28EEv13rocblas_fill_18rocblas_operation_17rocblas_diagonal_iiT0_T1_lilT2_lili
	.p2align	8
	.type	_ZL31rocblas_trsm_small_right_deviceI19rocblas_complex_numIfES1_PKS1_PS1_Li28EEv13rocblas_fill_18rocblas_operation_17rocblas_diagonal_iiT0_T1_lilT2_lili,@function
_ZL31rocblas_trsm_small_right_deviceI19rocblas_complex_numIfES1_PKS1_PS1_Li28EEv13rocblas_fill_18rocblas_operation_17rocblas_diagonal_iiT0_T1_lilT2_lili: ; @_ZL31rocblas_trsm_small_right_deviceI19rocblas_complex_numIfES1_PKS1_PS1_Li28EEv13rocblas_fill_18rocblas_operation_17rocblas_diagonal_iiT0_T1_lilT2_lili
; %bb.0:
	s_load_b32 s33, s[0:1], 0x60
	s_bfe_u32 s2, ttmp6, 0x40014
	s_lshr_b32 s4, ttmp7, 16
	s_add_co_i32 s2, s2, 1
	s_bfe_u32 s5, ttmp6, 0x40008
	s_mul_i32 s2, s4, s2
	s_getreg_b32 s3, hwreg(HW_REG_IB_STS2, 6, 4)
	s_add_co_i32 s5, s5, s2
	s_cmp_eq_u32 s3, 0
	s_mov_b32 s19, 0
	s_cselect_b32 s2, s4, s5
	s_wait_kmcnt 0x0
	s_cmp_ge_u32 s2, s33
	s_cbranch_scc1 .LBB167_155
; %bb.1:
	s_clause 0x7
	s_load_b96 s[20:22], s[0:1], 0x48
	s_load_b32 s26, s[0:1], 0x30
	s_load_b128 s[12:15], s[0:1], 0x0
	s_load_b96 s[16:18], s[0:1], 0x10
	s_load_b32 s23, s[0:1], 0x68
	s_load_b128 s[8:11], s[0:1], 0x20
	s_load_b128 s[4:7], s[0:1], 0x38
	s_load_b64 s[24:25], s[0:1], 0x58
	v_dual_mov_b32 v15, 0 :: v_dual_lshlrev_b32 v12, 3, v0
	v_mul_u32_u24_e32 v1, 0xe0, v0
	v_mov_b64_e32 v[22:23], 0x3f800000
	v_lshlrev_b32_e32 v14, 3, v0
	s_delay_alu instid0(VALU_DEP_4) | instskip(NEXT) | instid1(VALU_DEP_4)
	v_dual_mov_b32 v13, v15 :: v_dual_add_nc_u32 v26, 0x1880, v12
	v_add_nc_u32_e32 v28, v12, v1
	s_wait_kmcnt 0x0
	s_ashr_i32 s29, s22, 31
	s_mov_b32 s28, s22
	s_ashr_i32 s27, s26, 31
	s_cmp_eq_u64 s[28:29], 1
	s_mov_b32 s22, s18
	s_cselect_b32 s34, -1, 0
	s_lshl_b64 s[0:1], s[20:21], 3
	s_cmp_lg_u32 s12, 0x7a
	s_cselect_b32 s35, -1, 0
	s_cmp_lg_u32 s13, 0x71
	s_cselect_b32 s36, -1, 0
	s_bfe_u32 s20, ttmp6, 0x4000c
	s_min_i32 s37, s16, 28
	s_add_co_i32 s20, s20, 1
	s_and_b32 s21, ttmp6, 15
	s_mul_i32 s20, ttmp9, s20
	s_add_co_i32 s23, s23, -1
	s_add_co_i32 s38, s37, -1
	s_add_co_i32 s21, s21, s20
	s_cmp_eq_u32 s3, 0
	s_mov_b32 s20, s17
	s_cselect_b32 s30, ttmp9, s21
	s_mov_b32 s21, s18
	s_mul_i32 s3, s30, 0xffffffe4
	s_delay_alu instid0(SALU_CYCLE_1)
	s_add_co_i32 s3, s15, s3
	s_cmp_ge_u32 s30, s23
	s_mov_b32 s15, s17
	s_cselect_b32 s3, s3, 28
	s_ashr_i32 s31, s30, 31
	s_cmp_eq_u32 s14, 0x84
	v_cmp_gt_i32_e32 vcc_lo, s3, v0
	s_cselect_b32 s39, -1, 0
	s_cmp_gt_i32 s16, 0
	s_mul_u64 s[30:31], s[30:31], 0xe0
	s_cselect_b32 s43, -1, 0
	s_cmp_lg_u32 s13, 0x6f
	s_mov_b32 s14, s17
	s_cselect_b32 s13, -1, 0
	s_cmp_lg_u32 s12, 0x79
	s_mov_b32 s23, s18
	s_cselect_b32 s3, -1, 0
	s_or_b32 s40, s35, s13
	s_or_b32 s41, s3, s13
	s_cmp_gt_i32 s16, 3
	v_cndmask_b32_e64 v27, 0, 1, s3
	s_cselect_b32 s42, -1, 0
	s_and_b32 s43, vcc_lo, s43
	s_cmp_gt_u32 s16, 1
	s_mov_b32 s13, s17
	s_cselect_b32 s3, -1, 0
	s_and_b32 s44, s16, 0x7ffffffe
	s_and_b32 s45, s3, s34
	s_cmp_lg_u32 s16, s44
	s_add_nc_u64 s[34:35], s[30:31], s[0:1]
	s_cselect_b32 s46, -1, 0
	s_lshl_b64 s[10:11], s[10:11], 3
	s_mul_i32 s17, s37, 0xe0
	s_add_nc_u64 s[8:9], s[8:9], s[10:11]
	s_add_nc_u64 s[10:11], s[6:7], s[34:35]
	v_add_nc_u64_e32 v[2:3], s[8:9], v[12:13]
	v_add_nc_u64_e32 v[16:17], s[10:11], v[12:13]
	s_add_nc_u64 s[6:7], s[6:7], s[0:1]
	v_cmp_gt_i32_e64 s0, s37, v0
	v_add3_u32 v13, s17, v12, 0x17a0
	s_mul_i32 s1, s37, 0xe8
	s_lshl_b32 s48, s37, 3
	v_add_nc_u64_e32 v[18:19], 4, v[2:3]
	v_add_nc_u64_e32 v[20:21], 4, v[16:17]
	s_mov_b32 s12, s18
	s_add_nc_u64 s[6:7], s[6:7], s[30:31]
	s_lshl_b64 s[4:5], s[4:5], 3
	s_lshl_b64 s[8:9], s[26:27], 3
	;; [unrolled: 1-line block ×4, first 2 shown]
	s_addk_co_i32 s17, 0xff20
	s_add_co_i32 s47, s1, 0xfffffc78
	s_add_co_i32 s48, s48, -8
	s_branch .LBB167_3
.LBB167_2:                              ;   in Loop: Header=BB167_3 Depth=1
	s_or_b32 exec_lo, exec_lo, s3
	s_add_co_i32 s2, s2, 0x10000
	s_delay_alu instid0(SALU_CYCLE_1)
	s_cmp_lt_u32 s2, s33
	s_cbranch_scc0 .LBB167_155
.LBB167_3:                              ; =>This Loop Header: Depth=1
                                        ;     Child Loop BB167_6 Depth 2
                                        ;     Child Loop BB167_15 Depth 2
	;; [unrolled: 1-line block ×4, first 2 shown]
                                        ;       Child Loop BB167_26 Depth 3
                                        ;     Child Loop BB167_48 Depth 2
                                        ;       Child Loop BB167_49 Depth 3
                                        ;     Child Loop BB167_57 Depth 2
	;; [unrolled: 2-line block ×8, first 2 shown]
	s_mov_b32 s3, s19
	s_and_saveexec_b32 s18, s0
	s_cbranch_execz .LBB167_12
; %bb.4:                                ;   in Loop: Header=BB167_3 Depth=1
	v_mad_nc_u64_u32 v[0:1], s4, s2, v[18:19]
	v_mov_b32_e32 v4, v12
	s_mov_b32 s28, s37
	s_delay_alu instid0(VALU_DEP_2)
	v_mad_u32 v1, s5, s2, v1
	s_branch .LBB167_6
.LBB167_5:                              ;   in Loop: Header=BB167_6 Depth=2
	global_load_b32 v2, v[0:1], off offset:-4
	s_wait_xcnt 0x0
	v_add_nc_u64_e32 v[0:1], s[8:9], v[0:1]
	s_add_co_i32 s28, s28, -1
	s_delay_alu instid0(SALU_CYCLE_1)
	s_cmp_eq_u32 s28, 0
	s_wait_loadcnt 0x0
	ds_store_b64 v4, v[2:3]
	v_add_nc_u32_e32 v4, 0xe0, v4
	s_cbranch_scc1 .LBB167_10
.LBB167_6:                              ;   Parent Loop BB167_3 Depth=1
                                        ; =>  This Inner Loop Header: Depth=2
	s_and_b32 vcc_lo, exec_lo, s36
	s_mov_b32 s29, -1
                                        ; implicit-def: $vgpr3
	s_cbranch_vccz .LBB167_8
; %bb.7:                                ;   in Loop: Header=BB167_6 Depth=2
	global_load_b32 v3, v[0:1], off
	s_mov_b32 s29, 0
.LBB167_8:                              ;   in Loop: Header=BB167_6 Depth=2
	s_delay_alu instid0(SALU_CYCLE_1)
	s_and_not1_b32 vcc_lo, exec_lo, s29
	s_cbranch_vccnz .LBB167_5
; %bb.9:                                ;   in Loop: Header=BB167_6 Depth=2
	global_load_b32 v2, v[0:1], off
	s_wait_loadcnt 0x0
	v_xor_b32_e32 v3, 0x80000000, v2
	s_branch .LBB167_5
.LBB167_10:                             ;   in Loop: Header=BB167_3 Depth=1
	s_and_b32 vcc_lo, exec_lo, s39
	s_cbranch_vccz .LBB167_12
; %bb.11:                               ;   in Loop: Header=BB167_3 Depth=1
	ds_store_b64 v28, v[22:23]
.LBB167_12:                             ;   in Loop: Header=BB167_3 Depth=1
	s_or_b32 exec_lo, exec_lo, s18
	s_mul_u64 s[28:29], s[26:27], s[2:3]
	s_and_saveexec_b32 s49, s43
	s_cbranch_execz .LBB167_20
; %bb.13:                               ;   in Loop: Header=BB167_3 Depth=1
	s_and_not1_b32 vcc_lo, exec_lo, s45
	s_cbranch_vccnz .LBB167_17
; %bb.14:                               ;   in Loop: Header=BB167_3 Depth=1
	s_mul_u64 s[30:31], s[24:25], s[2:3]
	s_mov_b32 s18, 0
	s_lshl_b64 s[30:31], s[30:31], 3
	s_mov_b32 s3, s44
	s_add_nc_u64 s[30:31], s[6:7], s[30:31]
	s_delay_alu instid0(SALU_CYCLE_1)
	v_add_nc_u64_e32 v[0:1], s[30:31], v[14:15]
	s_mov_b32 s30, 1
.LBB167_15:                             ;   Parent Loop BB167_3 Depth=1
                                        ; =>  This Inner Loop Header: Depth=2
	s_mov_b32 s31, s19
	s_delay_alu instid0(VALU_DEP_1)
	v_lshl_add_u64 v[2:3], s[18:19], 3, v[0:1]
	v_lshl_add_u64 v[4:5], s[30:31], 3, v[0:1]
	v_mad_u32 v24, 0xe0, s18, v26
	v_mad_u32 v25, 0xe0, s30, v26
	s_add_co_i32 s3, s3, -2
	s_clause 0x1
	global_load_b64 v[6:7], v[2:3], off
	global_load_b64 v[8:9], v[4:5], off
	s_wait_xcnt 0x1
	v_mov_b64_e32 v[2:3], s[22:23]
	s_wait_xcnt 0x0
	v_mov_b64_e32 v[4:5], s[14:15]
	s_add_co_i32 s18, s18, 2
	s_add_co_i32 s30, s30, 2
	s_mov_b32 s34, s44
	s_mov_b32 s31, s46
	s_cmp_lg_u32 s3, 0
	s_wait_loadcnt 0x0
	v_dual_mov_b32 v10, v6 :: v_dual_mov_b32 v11, v8
	v_mov_b32_e32 v8, v7
	s_delay_alu instid0(VALU_DEP_1) | instskip(SKIP_1) | instid1(VALU_DEP_2)
	v_pk_mul_f32 v[6:7], v[2:3], v[8:9]
	v_pk_mul_f32 v[8:9], v[4:5], v[8:9]
	v_pk_fma_f32 v[4:5], v[4:5], v[10:11], v[6:7] neg_lo:[0,0,1] neg_hi:[0,0,1]
	s_delay_alu instid0(VALU_DEP_2)
	v_pk_fma_f32 v[2:3], v[2:3], v[10:11], v[8:9]
	ds_store_b32 v24, v4
	ds_store_b32 v25, v5
	ds_store_b32 v24, v2 offset:4
	ds_store_b32 v25, v3 offset:4
	s_cbranch_scc1 .LBB167_15
; %bb.16:                               ;   in Loop: Header=BB167_3 Depth=1
	s_and_b32 vcc_lo, exec_lo, s31
	s_cbranch_vccnz .LBB167_18
	s_branch .LBB167_20
.LBB167_17:                             ;   in Loop: Header=BB167_3 Depth=1
	s_mov_b32 s34, 0
	s_cbranch_execz .LBB167_20
.LBB167_18:                             ;   in Loop: Header=BB167_3 Depth=1
	s_mov_b32 s35, s19
	v_mad_u32 v2, 0xe0, s34, v26
	s_mul_u64 s[30:31], s[10:11], s[34:35]
	s_sub_co_i32 s3, s16, s34
	s_add_nc_u64 s[30:31], s[30:31], s[28:29]
	s_delay_alu instid0(SALU_CYCLE_1)
	v_add_nc_u64_e32 v[0:1], s[30:31], v[20:21]
.LBB167_19:                             ;   Parent Loop BB167_3 Depth=1
                                        ; =>  This Inner Loop Header: Depth=2
	global_load_b64 v[4:5], v[0:1], off offset:-4
	v_mov_b64_e32 v[6:7], s[12:13]
	v_mov_b64_e32 v[8:9], s[20:21]
	s_wait_xcnt 0x0
	v_add_nc_u64_e32 v[0:1], s[10:11], v[0:1]
	s_add_co_i32 s3, s3, -1
	s_delay_alu instid0(SALU_CYCLE_1) | instskip(SKIP_2) | instid1(VALU_DEP_1)
	s_cmp_lg_u32 s3, 0
	s_wait_loadcnt 0x0
	v_pk_mul_f32 v[6:7], v[6:7], v[4:5] op_sel:[0,1]
	v_pk_fma_f32 v[10:11], v[8:9], v[4:5], v[6:7] op_sel_hi:[1,0,1]
	v_pk_fma_f32 v[4:5], v[8:9], v[4:5], v[6:7] neg_lo:[0,0,1] neg_hi:[0,0,1]
	s_delay_alu instid0(VALU_DEP_2)
	v_mov_b32_e32 v5, v11
	ds_store_b64 v2, v[4:5]
	v_add_nc_u32_e32 v2, 0xe0, v2
	s_cbranch_scc1 .LBB167_19
.LBB167_20:                             ;   in Loop: Header=BB167_3 Depth=1
	s_or_b32 exec_lo, exec_lo, s49
	s_delay_alu instid0(SALU_CYCLE_1)
	s_and_b32 vcc_lo, exec_lo, s41
	s_mov_b32 s3, -1
	s_wait_dscnt 0x0
	; wave barrier
	s_cbranch_vccz .LBB167_120
; %bb.21:                               ;   in Loop: Header=BB167_3 Depth=1
	s_and_b32 vcc_lo, exec_lo, s40
	s_cbranch_vccz .LBB167_88
; %bb.22:                               ;   in Loop: Header=BB167_3 Depth=1
	v_cmp_ne_u32_e32 vcc_lo, 1, v27
	s_cbranch_vccnz .LBB167_55
; %bb.23:                               ;   in Loop: Header=BB167_3 Depth=1
	s_and_not1_b32 vcc_lo, exec_lo, s42
	s_mov_b32 s30, 0
	s_cbranch_vccnz .LBB167_45
; %bb.24:                               ;   in Loop: Header=BB167_3 Depth=1
	s_mov_b32 s3, 0
	s_mov_b32 s18, 0
.LBB167_25:                             ;   Parent Loop BB167_3 Depth=1
                                        ; =>  This Loop Header: Depth=2
                                        ;       Child Loop BB167_26 Depth 3
	s_delay_alu instid0(SALU_CYCLE_1) | instskip(SKIP_3) | instid1(SALU_CYCLE_1)
	v_mad_u32 v30, 0xe0, s18, v26
	s_or_b32 s30, s18, 3
	s_cmp_eq_u32 s18, 0
	s_mulk_i32 s30, 0xe0
	v_dual_mov_b32 v4, v26 :: v_dual_add_nc_u32 v29, s30, v26
	s_mov_b32 s30, s3
	s_mov_b32 s31, s18
	ds_load_2addr_b64 v[0:3], v30 offset1:28
	ds_load_b64 v[10:11], v30 offset:448
	ds_load_b64 v[8:9], v29
	s_cbranch_scc1 .LBB167_27
.LBB167_26:                             ;   Parent Loop BB167_3 Depth=1
                                        ;     Parent Loop BB167_25 Depth=2
                                        ; =>    This Inner Loop Header: Depth=3
	v_mov_b32_e32 v5, s30
	s_add_co_i32 s31, s31, -1
	s_addk_co_i32 s30, 0xe0
	s_cmp_eq_u32 s31, 0
	ds_load_b64 v[6:7], v4
	ds_load_b128 v[32:35], v5
	ds_load_b128 v[36:39], v5 offset:16
	s_wait_dscnt 0x1
	v_dual_mul_f32 v5, v33, v7 :: v_dual_add_nc_u32 v4, 0xe0, v4
	v_dual_mul_f32 v31, v32, v7 :: v_dual_mul_f32 v42, v35, v7
	v_mul_f32_e32 v43, v35, v6
	s_wait_dscnt 0x0
	v_pk_mul_f32 v[24:25], v[36:37], v[6:7] op_sel:[0,1]
	v_pk_mul_f32 v[40:41], v[38:39], v[6:7] op_sel:[0,1]
	v_dual_fma_f32 v5, v32, v6, -v5 :: v_dual_fmac_f32 v31, v33, v6
	v_dual_fma_f32 v42, v34, v6, -v42 :: v_dual_fmac_f32 v43, v34, v7
	s_delay_alu instid0(VALU_DEP_4) | instskip(NEXT) | instid1(VALU_DEP_4)
	v_pk_fma_f32 v[32:33], v[36:37], v[6:7], v[24:25] op_sel:[0,0,1] op_sel_hi:[1,0,0]
	v_pk_fma_f32 v[34:35], v[38:39], v[6:7], v[40:41] op_sel:[0,0,1] op_sel_hi:[1,0,0]
	v_pk_fma_f32 v[24:25], v[36:37], v[6:7], v[24:25] op_sel:[0,0,1] op_sel_hi:[1,1,0] neg_lo:[0,0,1] neg_hi:[0,0,1]
	v_pk_fma_f32 v[6:7], v[38:39], v[6:7], v[40:41] op_sel:[0,0,1] op_sel_hi:[1,1,0] neg_lo:[0,0,1] neg_hi:[0,0,1]
	s_delay_alu instid0(VALU_DEP_4) | instskip(NEXT) | instid1(VALU_DEP_4)
	v_dual_sub_f32 v0, v0, v5 :: v_dual_mov_b32 v25, v33
	v_dual_mov_b32 v7, v35 :: v_dual_sub_f32 v1, v1, v31
	v_dual_sub_f32 v2, v2, v42 :: v_dual_sub_f32 v3, v3, v43
	s_delay_alu instid0(VALU_DEP_3) | instskip(NEXT) | instid1(VALU_DEP_3)
	v_pk_add_f32 v[10:11], v[10:11], v[24:25] neg_lo:[0,1] neg_hi:[0,1]
	v_pk_add_f32 v[8:9], v[8:9], v[6:7] neg_lo:[0,1] neg_hi:[0,1]
	s_cbranch_scc0 .LBB167_26
.LBB167_27:                             ;   in Loop: Header=BB167_25 Depth=2
	s_lshl_b32 s30, s18, 3
	s_mul_i32 s31, s18, 0xe0
	s_mov_b32 s34, -1
	s_add_co_i32 s31, s30, s31
                                        ; implicit-def: $vgpr25
	s_delay_alu instid0(SALU_CYCLE_1) | instskip(SKIP_4) | instid1(VALU_DEP_1)
	v_mov_b32_e32 v4, s31
	ds_load_b64 v[4:5], v4
	s_wait_dscnt 0x0
	v_and_b32_e32 v6, 0x7fffffff, v4
	v_and_b32_e32 v7, 0x7fffffff, v5
	v_cmp_ngt_f32_e32 vcc_lo, v6, v7
	s_cbranch_vccz .LBB167_29
; %bb.28:                               ;   in Loop: Header=BB167_25 Depth=2
	v_div_scale_f32 v6, null, v5, v5, v4
	v_div_scale_f32 v25, vcc_lo, v4, v5, v4
	s_mov_b32 s34, 0
	v_rcp_f32_e32 v7, v6
	v_nop
	v_xor_b32_e32 v6, 0x80000000, v6
	s_delay_alu instid0(TRANS32_DEP_1) | instid1(VALU_DEP_1)
	v_fma_f32 v24, v6, v7, 1.0
	s_delay_alu instid0(VALU_DEP_1) | instskip(NEXT) | instid1(VALU_DEP_1)
	v_fmac_f32_e32 v7, v24, v7
	v_mul_f32_e32 v24, v25, v7
	s_delay_alu instid0(VALU_DEP_1) | instskip(NEXT) | instid1(VALU_DEP_1)
	v_fma_f32 v31, v6, v24, v25
	v_fmac_f32_e32 v24, v31, v7
	s_delay_alu instid0(VALU_DEP_1) | instskip(NEXT) | instid1(VALU_DEP_1)
	v_fmac_f32_e32 v25, v6, v24
	v_div_fmas_f32 v6, v25, v7, v24
	s_delay_alu instid0(VALU_DEP_1) | instskip(NEXT) | instid1(VALU_DEP_1)
	v_div_fixup_f32 v6, v6, v5, v4
	v_fma_f32 v7, v4, v6, v5
	s_delay_alu instid0(VALU_DEP_1) | instskip(SKIP_1) | instid1(VALU_DEP_2)
	v_div_scale_f32 v24, null, v7, v7, 1.0
	v_div_scale_f32 v32, vcc_lo, 1.0, v7, 1.0
	v_rcp_f32_e32 v25, v24
	v_nop
	v_xor_b32_e32 v24, 0x80000000, v24
	s_delay_alu instid0(TRANS32_DEP_1) | instid1(VALU_DEP_1)
	v_fma_f32 v31, v24, v25, 1.0
	s_delay_alu instid0(VALU_DEP_1) | instskip(NEXT) | instid1(VALU_DEP_1)
	v_fmac_f32_e32 v25, v31, v25
	v_mul_f32_e32 v31, v32, v25
	s_delay_alu instid0(VALU_DEP_1) | instskip(NEXT) | instid1(VALU_DEP_1)
	v_fma_f32 v33, v24, v31, v32
	v_fmac_f32_e32 v31, v33, v25
	s_delay_alu instid0(VALU_DEP_1) | instskip(NEXT) | instid1(VALU_DEP_1)
	v_fmac_f32_e32 v32, v24, v31
	v_div_fmas_f32 v24, v32, v25, v31
	v_dual_fma_f32 v25, v0, v6, v1 :: v_dual_fma_f32 v6, v1, v6, -v0
	s_delay_alu instid0(VALU_DEP_2) | instskip(NEXT) | instid1(VALU_DEP_1)
	v_div_fixup_f32 v7, v24, v7, 1.0
	v_dual_mul_f32 v24, v25, v7 :: v_dual_mul_f32 v25, v6, v7
.LBB167_29:                             ;   in Loop: Header=BB167_25 Depth=2
	s_and_not1_b32 vcc_lo, exec_lo, s34
	s_cbranch_vccnz .LBB167_31
; %bb.30:                               ;   in Loop: Header=BB167_25 Depth=2
	v_div_scale_f32 v6, null, v4, v4, v5
	v_div_scale_f32 v25, vcc_lo, v5, v4, v5
	s_delay_alu instid0(VALU_DEP_2)
	v_rcp_f32_e32 v7, v6
	v_nop
	v_xor_b32_e32 v6, 0x80000000, v6
	s_delay_alu instid0(TRANS32_DEP_1) | instid1(VALU_DEP_1)
	v_fma_f32 v24, v6, v7, 1.0
	s_delay_alu instid0(VALU_DEP_1) | instskip(NEXT) | instid1(VALU_DEP_1)
	v_fmac_f32_e32 v7, v24, v7
	v_mul_f32_e32 v24, v25, v7
	s_delay_alu instid0(VALU_DEP_1) | instskip(NEXT) | instid1(VALU_DEP_1)
	v_fma_f32 v31, v6, v24, v25
	v_fmac_f32_e32 v24, v31, v7
	s_delay_alu instid0(VALU_DEP_1) | instskip(NEXT) | instid1(VALU_DEP_1)
	v_fmac_f32_e32 v25, v6, v24
	v_div_fmas_f32 v6, v25, v7, v24
	s_delay_alu instid0(VALU_DEP_1) | instskip(NEXT) | instid1(VALU_DEP_1)
	v_div_fixup_f32 v6, v6, v4, v5
	v_fmac_f32_e32 v4, v5, v6
	s_delay_alu instid0(VALU_DEP_1) | instskip(SKIP_1) | instid1(VALU_DEP_2)
	v_div_scale_f32 v5, null, v4, v4, 1.0
	v_div_scale_f32 v25, vcc_lo, 1.0, v4, 1.0
	v_rcp_f32_e32 v7, v5
	v_nop
	v_xor_b32_e32 v5, 0x80000000, v5
	s_delay_alu instid0(TRANS32_DEP_1) | instid1(VALU_DEP_1)
	v_fma_f32 v24, v5, v7, 1.0
	s_delay_alu instid0(VALU_DEP_1) | instskip(NEXT) | instid1(VALU_DEP_1)
	v_fmac_f32_e32 v7, v24, v7
	v_mul_f32_e32 v24, v25, v7
	s_delay_alu instid0(VALU_DEP_1) | instskip(NEXT) | instid1(VALU_DEP_1)
	v_fma_f32 v31, v5, v24, v25
	v_fmac_f32_e32 v24, v31, v7
	s_delay_alu instid0(VALU_DEP_1) | instskip(NEXT) | instid1(VALU_DEP_1)
	v_fmac_f32_e32 v25, v5, v24
	v_div_fmas_f32 v5, v25, v7, v24
	v_dual_fma_f32 v7, v1, v6, v0 :: v_dual_fma_f32 v0, -v0, v6, v1
	s_delay_alu instid0(VALU_DEP_2) | instskip(NEXT) | instid1(VALU_DEP_1)
	v_div_fixup_f32 v4, v5, v4, 1.0
	v_dual_mul_f32 v24, v7, v4 :: v_dual_mul_f32 v25, v0, v4
.LBB167_31:                             ;   in Loop: Header=BB167_25 Depth=2
	v_mov_b32_e32 v0, s31
	s_mov_b32 s34, -1
	ds_store_b64 v30, v[24:25]
	ds_load_2addr_b64 v[4:7], v0 offset0:1 offset1:29
	s_wait_dscnt 0x0
	v_dual_mul_f32 v1, v24, v5 :: v_dual_mul_f32 v0, v25, v5
	v_and_b32_e32 v5, 0x7fffffff, v6
	v_and_b32_e32 v31, 0x7fffffff, v7
	s_delay_alu instid0(VALU_DEP_3) | instskip(NEXT) | instid1(VALU_DEP_2)
	v_dual_fmac_f32 v1, v25, v4 :: v_dual_fma_f32 v0, v24, v4, -v0
	v_cmp_ngt_f32_e32 vcc_lo, v5, v31
                                        ; implicit-def: $vgpr5
	s_delay_alu instid0(VALU_DEP_2)
	v_dual_sub_f32 v1, v3, v1 :: v_dual_sub_f32 v0, v2, v0
	s_cbranch_vccz .LBB167_33
; %bb.32:                               ;   in Loop: Header=BB167_25 Depth=2
	v_div_scale_f32 v2, null, v7, v7, v6
	v_div_scale_f32 v5, vcc_lo, v6, v7, v6
	s_mov_b32 s34, 0
	v_rcp_f32_e32 v3, v2
	v_nop
	v_xor_b32_e32 v2, 0x80000000, v2
	s_delay_alu instid0(TRANS32_DEP_1) | instid1(VALU_DEP_1)
	v_fma_f32 v4, v2, v3, 1.0
	s_delay_alu instid0(VALU_DEP_1) | instskip(NEXT) | instid1(VALU_DEP_1)
	v_fmac_f32_e32 v3, v4, v3
	v_mul_f32_e32 v4, v5, v3
	s_delay_alu instid0(VALU_DEP_1) | instskip(NEXT) | instid1(VALU_DEP_1)
	v_fma_f32 v31, v2, v4, v5
	v_fmac_f32_e32 v4, v31, v3
	s_delay_alu instid0(VALU_DEP_1) | instskip(NEXT) | instid1(VALU_DEP_1)
	v_fmac_f32_e32 v5, v2, v4
	v_div_fmas_f32 v2, v5, v3, v4
	s_delay_alu instid0(VALU_DEP_1) | instskip(NEXT) | instid1(VALU_DEP_1)
	v_div_fixup_f32 v2, v2, v7, v6
	v_fma_f32 v3, v6, v2, v7
	s_delay_alu instid0(VALU_DEP_1) | instskip(SKIP_1) | instid1(VALU_DEP_2)
	v_div_scale_f32 v4, null, v3, v3, 1.0
	v_div_scale_f32 v32, vcc_lo, 1.0, v3, 1.0
	v_rcp_f32_e32 v5, v4
	v_nop
	v_xor_b32_e32 v4, 0x80000000, v4
	s_delay_alu instid0(TRANS32_DEP_1) | instid1(VALU_DEP_1)
	v_fma_f32 v31, v4, v5, 1.0
	s_delay_alu instid0(VALU_DEP_1) | instskip(NEXT) | instid1(VALU_DEP_1)
	v_fmac_f32_e32 v5, v31, v5
	v_mul_f32_e32 v31, v32, v5
	s_delay_alu instid0(VALU_DEP_1) | instskip(NEXT) | instid1(VALU_DEP_1)
	v_fma_f32 v33, v4, v31, v32
	v_fmac_f32_e32 v31, v33, v5
	s_delay_alu instid0(VALU_DEP_1) | instskip(NEXT) | instid1(VALU_DEP_1)
	v_fmac_f32_e32 v32, v4, v31
	v_div_fmas_f32 v4, v32, v5, v31
	v_fma_f32 v5, v2, v0, v1
	s_delay_alu instid0(VALU_DEP_2) | instskip(NEXT) | instid1(VALU_DEP_1)
	v_div_fixup_f32 v3, v4, v3, 1.0
	v_dual_fma_f32 v2, v2, v1, -v0 :: v_dual_mul_f32 v4, v5, v3
	s_delay_alu instid0(VALU_DEP_1)
	v_mul_f32_e32 v5, v2, v3
.LBB167_33:                             ;   in Loop: Header=BB167_25 Depth=2
	s_and_not1_b32 vcc_lo, exec_lo, s34
	s_cbranch_vccnz .LBB167_35
; %bb.34:                               ;   in Loop: Header=BB167_25 Depth=2
	v_div_scale_f32 v2, null, v6, v6, v7
	v_div_scale_f32 v5, vcc_lo, v7, v6, v7
	s_delay_alu instid0(VALU_DEP_2)
	v_rcp_f32_e32 v3, v2
	v_nop
	v_xor_b32_e32 v2, 0x80000000, v2
	s_delay_alu instid0(TRANS32_DEP_1) | instid1(VALU_DEP_1)
	v_fma_f32 v4, v2, v3, 1.0
	s_delay_alu instid0(VALU_DEP_1) | instskip(NEXT) | instid1(VALU_DEP_1)
	v_fmac_f32_e32 v3, v4, v3
	v_mul_f32_e32 v4, v5, v3
	s_delay_alu instid0(VALU_DEP_1) | instskip(NEXT) | instid1(VALU_DEP_1)
	v_fma_f32 v31, v2, v4, v5
	v_fmac_f32_e32 v4, v31, v3
	s_delay_alu instid0(VALU_DEP_1) | instskip(NEXT) | instid1(VALU_DEP_1)
	v_fmac_f32_e32 v5, v2, v4
	v_div_fmas_f32 v2, v5, v3, v4
	s_delay_alu instid0(VALU_DEP_1) | instskip(NEXT) | instid1(VALU_DEP_1)
	v_div_fixup_f32 v2, v2, v6, v7
	v_fmac_f32_e32 v6, v7, v2
	s_delay_alu instid0(VALU_DEP_1) | instskip(SKIP_1) | instid1(VALU_DEP_2)
	v_div_scale_f32 v3, null, v6, v6, 1.0
	v_div_scale_f32 v7, vcc_lo, 1.0, v6, 1.0
	v_rcp_f32_e32 v4, v3
	v_nop
	v_xor_b32_e32 v3, 0x80000000, v3
	s_delay_alu instid0(TRANS32_DEP_1) | instid1(VALU_DEP_1)
	v_fma_f32 v5, v3, v4, 1.0
	s_delay_alu instid0(VALU_DEP_1) | instskip(NEXT) | instid1(VALU_DEP_1)
	v_fmac_f32_e32 v4, v5, v4
	v_mul_f32_e32 v5, v7, v4
	s_delay_alu instid0(VALU_DEP_1) | instskip(NEXT) | instid1(VALU_DEP_1)
	v_fma_f32 v31, v3, v5, v7
	v_fmac_f32_e32 v5, v31, v4
	s_delay_alu instid0(VALU_DEP_1) | instskip(NEXT) | instid1(VALU_DEP_1)
	v_fmac_f32_e32 v7, v3, v5
	v_div_fmas_f32 v3, v7, v4, v5
	v_dual_fma_f32 v4, v2, v1, v0 :: v_dual_fma_f32 v0, -v2, v0, v1
	s_delay_alu instid0(VALU_DEP_2) | instskip(NEXT) | instid1(VALU_DEP_1)
	v_div_fixup_f32 v3, v3, v6, 1.0
	v_mul_f32_e32 v4, v4, v3
	s_delay_alu instid0(VALU_DEP_3)
	v_mul_f32_e32 v5, v0, v3
.LBB167_35:                             ;   in Loop: Header=BB167_25 Depth=2
	s_add_co_i32 s34, s31, 0xe8
	s_or_b32 s35, s30, 8
	s_delay_alu instid0(VALU_DEP_1) | instskip(SKIP_3) | instid1(SALU_CYCLE_1)
	v_dual_mov_b32 v32, v25 :: v_dual_mov_b32 v34, v5
	s_sub_co_i32 s35, s34, s35
	s_mov_b32 s49, -1
	s_add_co_i32 s35, s35, s30
	v_dual_mov_b32 v0, s31 :: v_dual_mov_b32 v6, s35
	ds_store_b64 v30, v[4:5] offset:224
	ds_load_2addr_b64 v[0:3], v0 offset0:2 offset1:58
	ds_load_b64 v[6:7], v6 offset:16
	s_wait_dscnt 0x1
	v_pk_mul_f32 v[32:33], v[32:33], v[0:1] op_sel_hi:[0,1]
	s_wait_dscnt 0x0
	v_pk_mul_f32 v[34:35], v[34:35], v[6:7] op_sel_hi:[0,1]
	v_and_b32_e32 v31, 0x7fffffff, v2
	s_delay_alu instid0(VALU_DEP_3) | instskip(SKIP_1) | instid1(VALU_DEP_4)
	v_pk_fma_f32 v[36:37], v[24:25], v[0:1], v[32:33] op_sel:[0,0,1] op_sel_hi:[0,1,0]
	v_pk_fma_f32 v[0:1], v[24:25], v[0:1], v[32:33] op_sel:[0,0,1] op_sel_hi:[1,1,0] neg_lo:[0,0,1] neg_hi:[0,0,1]
	v_pk_fma_f32 v[32:33], v[4:5], v[6:7], v[34:35] op_sel:[0,0,1] op_sel_hi:[0,1,0]
	v_and_b32_e32 v32, 0x7fffffff, v3
	v_pk_fma_f32 v[6:7], v[4:5], v[6:7], v[34:35] op_sel:[0,0,1] op_sel_hi:[1,1,0] neg_lo:[0,0,1] neg_hi:[0,0,1]
	s_delay_alu instid0(VALU_DEP_3) | instskip(NEXT) | instid1(VALU_DEP_3)
	v_dual_mov_b32 v1, v37 :: v_dual_mov_b32 v7, v33
	v_cmp_ngt_f32_e32 vcc_lo, v31, v32
	s_delay_alu instid0(VALU_DEP_2) | instskip(NEXT) | instid1(VALU_DEP_1)
	v_pk_add_f32 v[0:1], v[10:11], v[0:1] neg_lo:[0,1] neg_hi:[0,1]
	v_pk_add_f32 v[0:1], v[0:1], v[6:7] neg_lo:[0,1] neg_hi:[0,1]
                                        ; implicit-def: $vgpr6_vgpr7
	s_cbranch_vccz .LBB167_37
; %bb.36:                               ;   in Loop: Header=BB167_25 Depth=2
	v_div_scale_f32 v6, null, v3, v3, v2
	v_div_scale_f32 v11, vcc_lo, v2, v3, v2
	s_mov_b32 s49, 0
	v_rcp_f32_e32 v7, v6
	v_nop
	v_xor_b32_e32 v6, 0x80000000, v6
	s_delay_alu instid0(TRANS32_DEP_1) | instid1(VALU_DEP_1)
	v_fma_f32 v10, v6, v7, 1.0
	s_delay_alu instid0(VALU_DEP_1) | instskip(NEXT) | instid1(VALU_DEP_1)
	v_fmac_f32_e32 v7, v10, v7
	v_mul_f32_e32 v10, v11, v7
	s_delay_alu instid0(VALU_DEP_1) | instskip(NEXT) | instid1(VALU_DEP_1)
	v_fma_f32 v31, v6, v10, v11
	v_fmac_f32_e32 v10, v31, v7
	s_delay_alu instid0(VALU_DEP_1) | instskip(NEXT) | instid1(VALU_DEP_1)
	v_fmac_f32_e32 v11, v6, v10
	v_div_fmas_f32 v6, v11, v7, v10
	s_delay_alu instid0(VALU_DEP_1) | instskip(NEXT) | instid1(VALU_DEP_1)
	v_div_fixup_f32 v6, v6, v3, v2
	v_fma_f32 v7, v2, v6, v3
	s_delay_alu instid0(VALU_DEP_1) | instskip(NEXT) | instid1(VALU_DEP_1)
	v_div_scale_f32 v10, null, v7, v7, 1.0
	v_rcp_f32_e32 v11, v10
	v_nop
	v_xor_b32_e32 v10, 0x80000000, v10
	s_delay_alu instid0(TRANS32_DEP_1) | instid1(VALU_DEP_1)
	v_fma_f32 v31, v10, v11, 1.0
	s_delay_alu instid0(VALU_DEP_1) | instskip(SKIP_1) | instid1(VALU_DEP_1)
	v_fmac_f32_e32 v11, v31, v11
	v_div_scale_f32 v31, vcc_lo, 1.0, v7, 1.0
	v_mul_f32_e32 v32, v31, v11
	s_delay_alu instid0(VALU_DEP_1) | instskip(NEXT) | instid1(VALU_DEP_1)
	v_fma_f32 v33, v10, v32, v31
	v_fmac_f32_e32 v32, v33, v11
	s_delay_alu instid0(VALU_DEP_1) | instskip(NEXT) | instid1(VALU_DEP_1)
	v_dual_fmac_f32 v31, v10, v32 :: v_dual_mov_b32 v10, v1
	v_div_fmas_f32 v31, v31, v11, v32
	s_delay_alu instid0(VALU_DEP_2) | instskip(NEXT) | instid1(VALU_DEP_2)
	v_pk_fma_f32 v[10:11], v[6:7], v[0:1], v[10:11]
	v_div_fixup_f32 v11, v31, v7, 1.0
	s_delay_alu instid0(VALU_DEP_1) | instskip(NEXT) | instid1(VALU_DEP_1)
	v_dual_fma_f32 v7, v6, v1, -v0 :: v_dual_mov_b32 v6, v11
	v_pk_mul_f32 v[6:7], v[10:11], v[6:7]
.LBB167_37:                             ;   in Loop: Header=BB167_25 Depth=2
	s_and_not1_b32 vcc_lo, exec_lo, s49
	s_cbranch_vccnz .LBB167_39
; %bb.38:                               ;   in Loop: Header=BB167_25 Depth=2
	v_div_scale_f32 v6, null, v2, v2, v3
	v_div_scale_f32 v11, vcc_lo, v3, v2, v3
	s_delay_alu instid0(VALU_DEP_2)
	v_rcp_f32_e32 v7, v6
	v_nop
	v_xor_b32_e32 v6, 0x80000000, v6
	s_delay_alu instid0(TRANS32_DEP_1) | instid1(VALU_DEP_1)
	v_fma_f32 v10, v6, v7, 1.0
	s_delay_alu instid0(VALU_DEP_1) | instskip(NEXT) | instid1(VALU_DEP_1)
	v_fmac_f32_e32 v7, v10, v7
	v_mul_f32_e32 v10, v11, v7
	s_delay_alu instid0(VALU_DEP_1) | instskip(NEXT) | instid1(VALU_DEP_1)
	v_fma_f32 v31, v6, v10, v11
	v_fmac_f32_e32 v10, v31, v7
	s_delay_alu instid0(VALU_DEP_1) | instskip(NEXT) | instid1(VALU_DEP_1)
	v_fmac_f32_e32 v11, v6, v10
	v_div_fmas_f32 v6, v11, v7, v10
	s_delay_alu instid0(VALU_DEP_1) | instskip(NEXT) | instid1(VALU_DEP_1)
	v_div_fixup_f32 v6, v6, v2, v3
	v_fma_f32 v7, v3, v6, v2
	s_delay_alu instid0(VALU_DEP_1) | instskip(NEXT) | instid1(VALU_DEP_1)
	v_div_scale_f32 v2, null, v7, v7, 1.0
	v_rcp_f32_e32 v3, v2
	v_nop
	v_xor_b32_e32 v2, 0x80000000, v2
	s_delay_alu instid0(TRANS32_DEP_1) | instid1(VALU_DEP_1)
	v_fma_f32 v10, v2, v3, 1.0
	s_delay_alu instid0(VALU_DEP_1) | instskip(SKIP_1) | instid1(VALU_DEP_1)
	v_fmac_f32_e32 v3, v10, v3
	v_div_scale_f32 v11, vcc_lo, 1.0, v7, 1.0
	v_mul_f32_e32 v10, v11, v3
	s_delay_alu instid0(VALU_DEP_1) | instskip(NEXT) | instid1(VALU_DEP_1)
	v_fma_f32 v31, v2, v10, v11
	v_fmac_f32_e32 v10, v31, v3
	s_delay_alu instid0(VALU_DEP_1) | instskip(NEXT) | instid1(VALU_DEP_1)
	v_fmac_f32_e32 v11, v2, v10
	v_div_fmas_f32 v10, v11, v3, v10
	v_pk_fma_f32 v[2:3], v[6:7], v[0:1], v[0:1] op_sel:[0,1,0] op_sel_hi:[0,0,1] neg_lo:[1,0,0] neg_hi:[1,0,0]
	v_pk_fma_f32 v[0:1], v[6:7], v[0:1], v[0:1] op_sel:[0,1,0] op_sel_hi:[1,0,1]
	s_delay_alu instid0(VALU_DEP_3) | instskip(NEXT) | instid1(VALU_DEP_3)
	v_div_fixup_f32 v2, v10, v7, 1.0
	v_mov_b32_e32 v1, v3
	s_delay_alu instid0(VALU_DEP_1)
	v_pk_mul_f32 v[6:7], v[0:1], v[2:3] op_sel_hi:[1,0]
.LBB167_39:                             ;   in Loop: Header=BB167_25 Depth=2
	v_dual_mov_b32 v0, s31 :: v_dual_mov_b32 v10, s35
	s_or_b32 s31, s30, 16
	v_mov_b32_e32 v35, v25
	s_sub_co_i32 s31, s34, s31
	ds_load_2addr_b64 v[0:3], v0 offset0:3 offset1:87
	s_add_co_i32 s30, s31, s30
	ds_load_b64 v[10:11], v10 offset:24
	v_dual_mov_b32 v31, s30 :: v_dual_mov_b32 v34, v25
	v_dual_mov_b32 v25, v24 :: v_dual_mov_b32 v36, v5
	v_mov_b32_e32 v37, v5
	ds_load_b64 v[32:33], v31 offset:256
	s_mov_b32 s30, -1
	ds_store_b64 v30, v[6:7] offset:448
	s_wait_dscnt 0x3
	v_pk_mul_f32 v[34:35], v[34:35], v[0:1]
	s_wait_dscnt 0x2
	v_pk_mul_f32 v[36:37], v[36:37], v[10:11]
	s_delay_alu instid0(VALU_DEP_2)
	v_pk_fma_f32 v[38:39], v[24:25], v[0:1], v[34:35] op_sel:[0,0,1] op_sel_hi:[1,1,0]
	v_mov_b32_e32 v5, v4
	v_pk_fma_f32 v[0:1], v[24:25], v[0:1], v[34:35] op_sel:[0,0,1] op_sel_hi:[1,1,0] neg_lo:[0,0,1] neg_hi:[0,0,1]
	s_wait_dscnt 0x1
	v_pk_mul_f32 v[34:35], v[6:7], v[32:33] op_sel:[1,1] op_sel_hi:[1,0]
	v_mov_b32_e32 v1, v39
	v_pk_fma_f32 v[24:25], v[4:5], v[10:11], v[36:37] op_sel:[0,0,1] op_sel_hi:[1,1,0]
	v_pk_fma_f32 v[4:5], v[4:5], v[10:11], v[36:37] op_sel:[0,0,1] op_sel_hi:[1,1,0] neg_lo:[0,0,1] neg_hi:[0,0,1]
	v_and_b32_e32 v24, 0x7fffffff, v3
	v_pk_fma_f32 v[10:11], v[6:7], v[32:33], v[34:35] neg_lo:[0,0,1] neg_hi:[0,0,1]
	v_pk_add_f32 v[0:1], v[8:9], v[0:1] neg_lo:[0,1] neg_hi:[0,1]
	v_pk_fma_f32 v[8:9], v[6:7], v[32:33], v[34:35] op_sel_hi:[0,1,1]
	v_mov_b32_e32 v5, v25
	v_and_b32_e32 v8, 0x7fffffff, v2
	s_delay_alu instid0(VALU_DEP_3) | instskip(NEXT) | instid1(VALU_DEP_3)
	v_mov_b32_e32 v11, v9
	v_pk_add_f32 v[0:1], v[0:1], v[4:5] neg_lo:[0,1] neg_hi:[0,1]
	s_delay_alu instid0(VALU_DEP_3) | instskip(NEXT) | instid1(VALU_DEP_2)
	v_cmp_ngt_f32_e32 vcc_lo, v8, v24
                                        ; implicit-def: $vgpr4_vgpr5
	v_pk_add_f32 v[0:1], v[0:1], v[10:11] neg_lo:[0,1] neg_hi:[0,1]
	s_cbranch_vccz .LBB167_41
; %bb.40:                               ;   in Loop: Header=BB167_25 Depth=2
	v_div_scale_f32 v4, null, v3, v3, v2
	v_div_scale_f32 v7, vcc_lo, v2, v3, v2
	s_mov_b32 s30, 0
	v_rcp_f32_e32 v5, v4
	v_nop
	v_xor_b32_e32 v4, 0x80000000, v4
	s_delay_alu instid0(TRANS32_DEP_1) | instid1(VALU_DEP_1)
	v_fma_f32 v6, v4, v5, 1.0
	s_delay_alu instid0(VALU_DEP_1) | instskip(NEXT) | instid1(VALU_DEP_1)
	v_fmac_f32_e32 v5, v6, v5
	v_mul_f32_e32 v6, v7, v5
	s_delay_alu instid0(VALU_DEP_1) | instskip(NEXT) | instid1(VALU_DEP_1)
	v_fma_f32 v8, v4, v6, v7
	v_fmac_f32_e32 v6, v8, v5
	s_delay_alu instid0(VALU_DEP_1) | instskip(NEXT) | instid1(VALU_DEP_1)
	v_fmac_f32_e32 v7, v4, v6
	v_div_fmas_f32 v4, v7, v5, v6
	s_delay_alu instid0(VALU_DEP_1) | instskip(NEXT) | instid1(VALU_DEP_1)
	v_div_fixup_f32 v4, v4, v3, v2
	v_fma_f32 v5, v2, v4, v3
	s_delay_alu instid0(VALU_DEP_1) | instskip(NEXT) | instid1(VALU_DEP_1)
	v_div_scale_f32 v6, null, v5, v5, 1.0
	v_rcp_f32_e32 v7, v6
	v_nop
	v_xor_b32_e32 v6, 0x80000000, v6
	s_delay_alu instid0(TRANS32_DEP_1) | instid1(VALU_DEP_1)
	v_fma_f32 v8, v6, v7, 1.0
	s_delay_alu instid0(VALU_DEP_1) | instskip(SKIP_1) | instid1(VALU_DEP_1)
	v_fmac_f32_e32 v7, v8, v7
	v_div_scale_f32 v8, vcc_lo, 1.0, v5, 1.0
	v_mul_f32_e32 v9, v8, v7
	s_delay_alu instid0(VALU_DEP_1) | instskip(NEXT) | instid1(VALU_DEP_1)
	v_fma_f32 v10, v6, v9, v8
	v_fmac_f32_e32 v9, v10, v7
	s_delay_alu instid0(VALU_DEP_1) | instskip(NEXT) | instid1(VALU_DEP_1)
	v_dual_fmac_f32 v8, v6, v9 :: v_dual_mov_b32 v6, v1
	v_div_fmas_f32 v8, v8, v7, v9
	s_delay_alu instid0(VALU_DEP_2) | instskip(NEXT) | instid1(VALU_DEP_2)
	v_pk_fma_f32 v[6:7], v[4:5], v[0:1], v[6:7]
	v_div_fixup_f32 v7, v8, v5, 1.0
	s_delay_alu instid0(VALU_DEP_1) | instskip(NEXT) | instid1(VALU_DEP_1)
	v_dual_fma_f32 v5, v4, v1, -v0 :: v_dual_mov_b32 v4, v7
	v_pk_mul_f32 v[4:5], v[6:7], v[4:5]
.LBB167_41:                             ;   in Loop: Header=BB167_25 Depth=2
	s_and_not1_b32 vcc_lo, exec_lo, s30
	s_cbranch_vccnz .LBB167_43
; %bb.42:                               ;   in Loop: Header=BB167_25 Depth=2
	v_div_scale_f32 v4, null, v2, v2, v3
	v_div_scale_f32 v7, vcc_lo, v3, v2, v3
	s_delay_alu instid0(VALU_DEP_2)
	v_rcp_f32_e32 v5, v4
	v_nop
	v_xor_b32_e32 v4, 0x80000000, v4
	s_delay_alu instid0(TRANS32_DEP_1) | instid1(VALU_DEP_1)
	v_fma_f32 v6, v4, v5, 1.0
	s_delay_alu instid0(VALU_DEP_1) | instskip(NEXT) | instid1(VALU_DEP_1)
	v_fmac_f32_e32 v5, v6, v5
	v_mul_f32_e32 v6, v7, v5
	s_delay_alu instid0(VALU_DEP_1) | instskip(NEXT) | instid1(VALU_DEP_1)
	v_fma_f32 v8, v4, v6, v7
	v_fmac_f32_e32 v6, v8, v5
	s_delay_alu instid0(VALU_DEP_1) | instskip(NEXT) | instid1(VALU_DEP_1)
	v_fmac_f32_e32 v7, v4, v6
	v_div_fmas_f32 v4, v7, v5, v6
	s_delay_alu instid0(VALU_DEP_1) | instskip(NEXT) | instid1(VALU_DEP_1)
	v_div_fixup_f32 v4, v4, v2, v3
	v_fma_f32 v5, v3, v4, v2
	s_delay_alu instid0(VALU_DEP_1) | instskip(SKIP_1) | instid1(VALU_DEP_2)
	v_div_scale_f32 v2, null, v5, v5, 1.0
	v_div_scale_f32 v7, vcc_lo, 1.0, v5, 1.0
	v_rcp_f32_e32 v3, v2
	v_nop
	v_xor_b32_e32 v2, 0x80000000, v2
	s_delay_alu instid0(TRANS32_DEP_1) | instid1(VALU_DEP_1)
	v_fma_f32 v6, v2, v3, 1.0
	s_delay_alu instid0(VALU_DEP_1) | instskip(NEXT) | instid1(VALU_DEP_1)
	v_fmac_f32_e32 v3, v6, v3
	v_mul_f32_e32 v6, v7, v3
	s_delay_alu instid0(VALU_DEP_1) | instskip(NEXT) | instid1(VALU_DEP_1)
	v_fma_f32 v8, v2, v6, v7
	v_fmac_f32_e32 v6, v8, v3
	s_delay_alu instid0(VALU_DEP_1) | instskip(NEXT) | instid1(VALU_DEP_1)
	v_fmac_f32_e32 v7, v2, v6
	v_div_fmas_f32 v6, v7, v3, v6
	v_pk_fma_f32 v[2:3], v[4:5], v[0:1], v[0:1] op_sel:[0,1,0] op_sel_hi:[0,0,1] neg_lo:[1,0,0] neg_hi:[1,0,0]
	v_pk_fma_f32 v[0:1], v[4:5], v[0:1], v[0:1] op_sel:[0,1,0] op_sel_hi:[1,0,1]
	s_delay_alu instid0(VALU_DEP_3) | instskip(NEXT) | instid1(VALU_DEP_3)
	v_div_fixup_f32 v2, v6, v5, 1.0
	v_mov_b32_e32 v1, v3
	s_delay_alu instid0(VALU_DEP_1)
	v_pk_mul_f32 v[4:5], v[0:1], v[2:3] op_sel_hi:[1,0]
.LBB167_43:                             ;   in Loop: Header=BB167_25 Depth=2
	s_add_co_i32 s30, s18, 4
	s_add_co_i32 s18, s18, 7
	;; [unrolled: 1-line block ×3, first 2 shown]
	s_cmp_ge_i32 s18, s37
	ds_store_b64 v29, v[4:5]
	s_cbranch_scc1 .LBB167_45
; %bb.44:                               ;   in Loop: Header=BB167_25 Depth=2
	s_mov_b32 s18, s30
	s_branch .LBB167_25
.LBB167_45:                             ;   in Loop: Header=BB167_3 Depth=1
	s_cmp_ge_i32 s30, s37
	s_cbranch_scc1 .LBB167_54
; %bb.46:                               ;   in Loop: Header=BB167_3 Depth=1
	s_lshl_b32 s3, s30, 3
	s_branch .LBB167_48
.LBB167_47:                             ;   in Loop: Header=BB167_48 Depth=2
	s_add_co_i32 s30, s30, 1
	s_add_co_i32 s3, s3, 8
	s_cmp_ge_i32 s30, s37
	ds_store_b64 v6, v[4:5]
	s_cbranch_scc1 .LBB167_54
.LBB167_48:                             ;   Parent Loop BB167_3 Depth=1
                                        ; =>  This Loop Header: Depth=2
                                        ;       Child Loop BB167_49 Depth 3
	s_mul_i32 s18, s30, 0xe0
	s_cmp_eq_u32 s30, 0
	v_dual_add_nc_u32 v6, s18, v26 :: v_dual_mov_b32 v2, v26
	s_mov_b32 s31, s3
	s_mov_b32 s34, s30
	ds_load_b64 v[0:1], v6
	s_cbranch_scc1 .LBB167_50
.LBB167_49:                             ;   Parent Loop BB167_3 Depth=1
                                        ;     Parent Loop BB167_48 Depth=2
                                        ; =>    This Inner Loop Header: Depth=3
	v_mov_b32_e32 v3, s31
	s_add_co_i32 s34, s34, -1
	s_addk_co_i32 s31, 0xe0
	s_cmp_eq_u32 s34, 0
	ds_load_b64 v[4:5], v2
	ds_load_b64 v[8:9], v3
	v_add_nc_u32_e32 v2, 0xe0, v2
	s_wait_dscnt 0x0
	v_pk_mul_f32 v[10:11], v[8:9], v[4:5] op_sel:[1,1] op_sel_hi:[0,1]
	s_delay_alu instid0(VALU_DEP_1) | instskip(SKIP_1) | instid1(VALU_DEP_2)
	v_pk_fma_f32 v[24:25], v[8:9], v[4:5], v[10:11] op_sel_hi:[1,0,1]
	v_pk_fma_f32 v[4:5], v[8:9], v[4:5], v[10:11] op_sel_hi:[1,0,1] neg_lo:[0,0,1] neg_hi:[0,0,1]
	v_mov_b32_e32 v5, v25
	s_delay_alu instid0(VALU_DEP_1)
	v_pk_add_f32 v[0:1], v[0:1], v[4:5] neg_lo:[0,1] neg_hi:[0,1]
	s_cbranch_scc0 .LBB167_49
.LBB167_50:                             ;   in Loop: Header=BB167_48 Depth=2
	s_lshl_b32 s31, s30, 3
	s_delay_alu instid0(SALU_CYCLE_1) | instskip(NEXT) | instid1(SALU_CYCLE_1)
	s_add_co_i32 s18, s31, s18
	v_mov_b32_e32 v2, s18
	s_mov_b32 s18, -1
	ds_load_b64 v[2:3], v2
	s_wait_dscnt 0x0
	v_and_b32_e32 v4, 0x7fffffff, v2
	v_and_b32_e32 v5, 0x7fffffff, v3
	s_delay_alu instid0(VALU_DEP_1)
	v_cmp_ngt_f32_e32 vcc_lo, v4, v5
                                        ; implicit-def: $vgpr4_vgpr5
	s_cbranch_vccz .LBB167_52
; %bb.51:                               ;   in Loop: Header=BB167_48 Depth=2
	v_div_scale_f32 v4, null, v3, v3, v2
	v_div_scale_f32 v8, vcc_lo, v2, v3, v2
	s_mov_b32 s18, 0
	v_rcp_f32_e32 v5, v4
	v_nop
	v_xor_b32_e32 v4, 0x80000000, v4
	s_delay_alu instid0(TRANS32_DEP_1) | instid1(VALU_DEP_1)
	v_fma_f32 v7, v4, v5, 1.0
	s_delay_alu instid0(VALU_DEP_1) | instskip(NEXT) | instid1(VALU_DEP_1)
	v_fmac_f32_e32 v5, v7, v5
	v_mul_f32_e32 v7, v8, v5
	s_delay_alu instid0(VALU_DEP_1) | instskip(NEXT) | instid1(VALU_DEP_1)
	v_fma_f32 v9, v4, v7, v8
	v_fmac_f32_e32 v7, v9, v5
	s_delay_alu instid0(VALU_DEP_1) | instskip(NEXT) | instid1(VALU_DEP_1)
	v_fmac_f32_e32 v8, v4, v7
	v_div_fmas_f32 v4, v8, v5, v7
	s_delay_alu instid0(VALU_DEP_1) | instskip(NEXT) | instid1(VALU_DEP_1)
	v_div_fixup_f32 v4, v4, v3, v2
	v_fma_f32 v7, v2, v4, v3
	s_delay_alu instid0(VALU_DEP_1) | instskip(SKIP_1) | instid1(VALU_DEP_2)
	v_div_scale_f32 v5, null, v7, v7, 1.0
	v_div_scale_f32 v10, vcc_lo, 1.0, v7, 1.0
	v_rcp_f32_e32 v8, v5
	v_nop
	v_xor_b32_e32 v5, 0x80000000, v5
	s_delay_alu instid0(TRANS32_DEP_1) | instid1(VALU_DEP_1)
	v_fma_f32 v9, v5, v8, 1.0
	s_delay_alu instid0(VALU_DEP_1) | instskip(NEXT) | instid1(VALU_DEP_1)
	v_fmac_f32_e32 v8, v9, v8
	v_mul_f32_e32 v9, v10, v8
	s_delay_alu instid0(VALU_DEP_1) | instskip(NEXT) | instid1(VALU_DEP_1)
	v_fma_f32 v11, v5, v9, v10
	v_fmac_f32_e32 v9, v11, v8
	s_delay_alu instid0(VALU_DEP_1) | instskip(NEXT) | instid1(VALU_DEP_1)
	v_fmac_f32_e32 v10, v5, v9
	v_div_fmas_f32 v10, v10, v8, v9
	v_pk_fma_f32 v[8:9], v[0:1], v[4:5], v[0:1] op_sel:[0,0,1] op_sel_hi:[1,0,0] neg_lo:[0,0,1] neg_hi:[0,0,1]
	v_pk_fma_f32 v[4:5], v[0:1], v[4:5], v[0:1] op_sel:[0,0,1] op_sel_hi:[1,0,0]
	s_delay_alu instid0(VALU_DEP_3) | instskip(NEXT) | instid1(VALU_DEP_3)
	v_div_fixup_f32 v8, v10, v7, 1.0
	v_mov_b32_e32 v5, v9
	s_delay_alu instid0(VALU_DEP_1)
	v_pk_mul_f32 v[4:5], v[4:5], v[8:9] op_sel_hi:[1,0]
.LBB167_52:                             ;   in Loop: Header=BB167_48 Depth=2
	s_and_not1_b32 vcc_lo, exec_lo, s18
	s_cbranch_vccnz .LBB167_47
; %bb.53:                               ;   in Loop: Header=BB167_48 Depth=2
	v_div_scale_f32 v4, null, v2, v2, v3
	v_div_scale_f32 v8, vcc_lo, v3, v2, v3
	s_delay_alu instid0(VALU_DEP_2)
	v_rcp_f32_e32 v5, v4
	v_nop
	v_xor_b32_e32 v4, 0x80000000, v4
	s_delay_alu instid0(TRANS32_DEP_1) | instid1(VALU_DEP_1)
	v_fma_f32 v7, v4, v5, 1.0
	s_delay_alu instid0(VALU_DEP_1) | instskip(NEXT) | instid1(VALU_DEP_1)
	v_fmac_f32_e32 v5, v7, v5
	v_mul_f32_e32 v7, v8, v5
	s_delay_alu instid0(VALU_DEP_1) | instskip(NEXT) | instid1(VALU_DEP_1)
	v_fma_f32 v9, v4, v7, v8
	v_fmac_f32_e32 v7, v9, v5
	s_delay_alu instid0(VALU_DEP_1) | instskip(NEXT) | instid1(VALU_DEP_1)
	v_fmac_f32_e32 v8, v4, v7
	v_div_fmas_f32 v4, v8, v5, v7
	s_delay_alu instid0(VALU_DEP_1) | instskip(NEXT) | instid1(VALU_DEP_1)
	v_div_fixup_f32 v4, v4, v2, v3
	v_fmac_f32_e32 v2, v3, v4
	s_delay_alu instid0(VALU_DEP_1) | instskip(SKIP_1) | instid1(VALU_DEP_2)
	v_div_scale_f32 v3, null, v2, v2, 1.0
	v_div_scale_f32 v8, vcc_lo, 1.0, v2, 1.0
	v_rcp_f32_e32 v5, v3
	v_nop
	v_xor_b32_e32 v3, 0x80000000, v3
	s_delay_alu instid0(TRANS32_DEP_1) | instid1(VALU_DEP_1)
	v_fma_f32 v7, v3, v5, 1.0
	s_delay_alu instid0(VALU_DEP_1) | instskip(NEXT) | instid1(VALU_DEP_1)
	v_fmac_f32_e32 v5, v7, v5
	v_mul_f32_e32 v7, v8, v5
	s_delay_alu instid0(VALU_DEP_1) | instskip(NEXT) | instid1(VALU_DEP_1)
	v_fma_f32 v9, v3, v7, v8
	v_fmac_f32_e32 v7, v9, v5
	s_delay_alu instid0(VALU_DEP_1) | instskip(NEXT) | instid1(VALU_DEP_1)
	v_fmac_f32_e32 v8, v3, v7
	v_div_fmas_f32 v3, v8, v5, v7
	v_pk_fma_f32 v[8:9], v[0:1], v[4:5], v[0:1] op_sel:[1,0,0] op_sel_hi:[0,0,1] neg_lo:[1,0,0] neg_hi:[1,0,0]
	v_pk_fma_f32 v[0:1], v[0:1], v[4:5], v[0:1] op_sel:[1,0,0] op_sel_hi:[0,0,1]
	s_delay_alu instid0(VALU_DEP_3) | instskip(NEXT) | instid1(VALU_DEP_3)
	v_div_fixup_f32 v2, v3, v2, 1.0
	v_mov_b32_e32 v1, v9
	s_delay_alu instid0(VALU_DEP_1)
	v_pk_mul_f32 v[4:5], v[0:1], v[2:3] op_sel_hi:[1,0]
	s_branch .LBB167_47
.LBB167_54:                             ;   in Loop: Header=BB167_3 Depth=1
	s_mov_b32 s3, 0
.LBB167_55:                             ;   in Loop: Header=BB167_3 Depth=1
	s_delay_alu instid0(SALU_CYCLE_1)
	s_and_b32 vcc_lo, exec_lo, s3
	s_cbranch_vccz .LBB167_87
; %bb.56:                               ;   in Loop: Header=BB167_3 Depth=1
	s_mov_b32 s30, s38
	s_and_not1_b32 vcc_lo, exec_lo, s42
	s_mov_b32 s3, s1
	s_mov_b32 s18, s38
	s_cbranch_vccnz .LBB167_78
.LBB167_57:                             ;   Parent Loop BB167_3 Depth=1
                                        ; =>  This Loop Header: Depth=2
                                        ;       Child Loop BB167_58 Depth 3
	s_mul_i32 s35, s18, 0xe0
	s_mov_b32 s31, s3
	s_add_co_i32 s30, s35, 0xfffffd60
	s_delay_alu instid0(SALU_CYCLE_1) | instskip(SKIP_2) | instid1(VALU_DEP_1)
	v_dual_add_nc_u32 v30, s35, v26 :: v_dual_add_nc_u32 v24, s30, v26
	s_cmp_le_i32 s38, s18
	s_mov_b32 s34, s38
	v_dual_mov_b32 v4, v13 :: v_dual_add_nc_u32 v29, 0xffffff20, v30
	v_add_nc_u32_e32 v25, 0xfffffe40, v30
	ds_load_b64 v[8:9], v30
	ds_load_b64 v[6:7], v29
	;; [unrolled: 1-line block ×4, first 2 shown]
	s_cbranch_scc1 .LBB167_59
.LBB167_58:                             ;   Parent Loop BB167_3 Depth=1
                                        ;     Parent Loop BB167_57 Depth=2
                                        ; =>    This Inner Loop Header: Depth=3
	s_add_co_i32 s49, s31, 0xffffff10
	s_add_co_i32 s50, s31, 0xffffff00
	s_delay_alu instid0(SALU_CYCLE_1)
	v_dual_mov_b32 v5, s49 :: v_dual_mov_b32 v31, s50
	ds_load_b64 v[10:11], v4
	s_add_co_i32 s34, s34, -1
	s_addk_co_i32 s31, 0xff20
	ds_load_2addr_b64 v[32:35], v5 offset1:1
	ds_load_2addr_b64 v[36:39], v31 offset1:1
	v_add_nc_u32_e32 v4, 0xffffff20, v4
	s_cmp_le_i32 s34, s18
	s_wait_dscnt 0x1
	v_dual_mul_f32 v5, v35, v11 :: v_dual_mul_f32 v31, v34, v11
	v_dual_mul_f32 v44, v33, v11 :: v_dual_mul_f32 v45, v33, v10
	s_wait_dscnt 0x0
	v_pk_mul_f32 v[40:41], v[38:39], v[10:11] op_sel:[0,1]
	v_pk_mul_f32 v[42:43], v[36:37], v[10:11] op_sel:[0,1]
	v_dual_fma_f32 v5, v34, v10, -v5 :: v_dual_fmac_f32 v31, v35, v10
	v_dual_fma_f32 v44, v32, v10, -v44 :: v_dual_fmac_f32 v45, v32, v11
	s_delay_alu instid0(VALU_DEP_4) | instskip(NEXT) | instid1(VALU_DEP_4)
	v_pk_fma_f32 v[32:33], v[38:39], v[10:11], v[40:41] op_sel:[0,0,1] op_sel_hi:[1,0,0]
	v_pk_fma_f32 v[34:35], v[36:37], v[10:11], v[42:43] op_sel:[0,0,1] op_sel_hi:[1,0,0]
	v_pk_fma_f32 v[38:39], v[38:39], v[10:11], v[40:41] op_sel:[0,0,1] op_sel_hi:[1,1,0] neg_lo:[0,0,1] neg_hi:[0,0,1]
	v_pk_fma_f32 v[10:11], v[36:37], v[10:11], v[42:43] op_sel:[0,0,1] op_sel_hi:[1,1,0] neg_lo:[0,0,1] neg_hi:[0,0,1]
	s_delay_alu instid0(VALU_DEP_4) | instskip(NEXT) | instid1(VALU_DEP_4)
	v_dual_sub_f32 v8, v8, v5 :: v_dual_mov_b32 v39, v33
	v_dual_mov_b32 v11, v35 :: v_dual_sub_f32 v9, v9, v31
	v_dual_sub_f32 v6, v6, v44 :: v_dual_sub_f32 v7, v7, v45
	s_delay_alu instid0(VALU_DEP_3) | instskip(NEXT) | instid1(VALU_DEP_3)
	v_pk_add_f32 v[2:3], v[2:3], v[38:39] neg_lo:[0,1] neg_hi:[0,1]
	v_pk_add_f32 v[0:1], v[0:1], v[10:11] neg_lo:[0,1] neg_hi:[0,1]
	s_cbranch_scc0 .LBB167_58
.LBB167_59:                             ;   in Loop: Header=BB167_57 Depth=2
	s_add_co_i32 s34, s18, -3
; %bb.60:                               ;   in Loop: Header=BB167_57 Depth=2
	s_lshl_b32 s31, s18, 3
	s_mov_b32 s49, -1
	s_add_co_i32 s35, s31, s35
	s_delay_alu instid0(SALU_CYCLE_1) | instskip(SKIP_4) | instid1(VALU_DEP_1)
	v_mov_b32_e32 v4, s35
	ds_load_b64 v[10:11], v4
	s_wait_dscnt 0x0
	v_and_b32_e32 v4, 0x7fffffff, v10
	v_and_b32_e32 v5, 0x7fffffff, v11
	v_cmp_ngt_f32_e32 vcc_lo, v4, v5
                                        ; implicit-def: $vgpr5
	s_cbranch_vccz .LBB167_62
; %bb.61:                               ;   in Loop: Header=BB167_57 Depth=2
	v_div_scale_f32 v4, null, v11, v11, v10
	v_div_scale_f32 v32, vcc_lo, v10, v11, v10
	s_mov_b32 s49, 0
	v_rcp_f32_e32 v5, v4
	v_nop
	v_xor_b32_e32 v4, 0x80000000, v4
	s_delay_alu instid0(TRANS32_DEP_1) | instid1(VALU_DEP_1)
	v_fma_f32 v31, v4, v5, 1.0
	s_delay_alu instid0(VALU_DEP_1) | instskip(NEXT) | instid1(VALU_DEP_1)
	v_fmac_f32_e32 v5, v31, v5
	v_mul_f32_e32 v31, v32, v5
	s_delay_alu instid0(VALU_DEP_1) | instskip(NEXT) | instid1(VALU_DEP_1)
	v_fma_f32 v33, v4, v31, v32
	v_fmac_f32_e32 v31, v33, v5
	s_delay_alu instid0(VALU_DEP_1) | instskip(NEXT) | instid1(VALU_DEP_1)
	v_fmac_f32_e32 v32, v4, v31
	v_div_fmas_f32 v4, v32, v5, v31
	s_delay_alu instid0(VALU_DEP_1) | instskip(NEXT) | instid1(VALU_DEP_1)
	v_div_fixup_f32 v4, v4, v11, v10
	v_fma_f32 v5, v10, v4, v11
	s_delay_alu instid0(VALU_DEP_1) | instskip(SKIP_1) | instid1(VALU_DEP_2)
	v_div_scale_f32 v31, null, v5, v5, 1.0
	v_div_scale_f32 v34, vcc_lo, 1.0, v5, 1.0
	v_rcp_f32_e32 v32, v31
	v_nop
	v_xor_b32_e32 v31, 0x80000000, v31
	s_delay_alu instid0(TRANS32_DEP_1) | instid1(VALU_DEP_1)
	v_fma_f32 v33, v31, v32, 1.0
	s_delay_alu instid0(VALU_DEP_1) | instskip(NEXT) | instid1(VALU_DEP_1)
	v_fmac_f32_e32 v32, v33, v32
	v_mul_f32_e32 v33, v34, v32
	s_delay_alu instid0(VALU_DEP_1) | instskip(NEXT) | instid1(VALU_DEP_1)
	v_fma_f32 v35, v31, v33, v34
	v_fmac_f32_e32 v33, v35, v32
	s_delay_alu instid0(VALU_DEP_1) | instskip(NEXT) | instid1(VALU_DEP_1)
	v_fmac_f32_e32 v34, v31, v33
	v_div_fmas_f32 v31, v34, v32, v33
	v_fma_f32 v32, v8, v4, v9
	s_delay_alu instid0(VALU_DEP_2) | instskip(NEXT) | instid1(VALU_DEP_1)
	v_div_fixup_f32 v5, v31, v5, 1.0
	v_dual_fma_f32 v31, v9, v4, -v8 :: v_dual_mul_f32 v4, v32, v5
	s_delay_alu instid0(VALU_DEP_1)
	v_mul_f32_e32 v5, v31, v5
.LBB167_62:                             ;   in Loop: Header=BB167_57 Depth=2
	s_and_not1_b32 vcc_lo, exec_lo, s49
	s_cbranch_vccnz .LBB167_64
; %bb.63:                               ;   in Loop: Header=BB167_57 Depth=2
	v_div_scale_f32 v4, null, v10, v10, v11
	v_div_scale_f32 v32, vcc_lo, v11, v10, v11
	s_delay_alu instid0(VALU_DEP_2)
	v_rcp_f32_e32 v5, v4
	v_nop
	v_xor_b32_e32 v4, 0x80000000, v4
	s_delay_alu instid0(TRANS32_DEP_1) | instid1(VALU_DEP_1)
	v_fma_f32 v31, v4, v5, 1.0
	s_delay_alu instid0(VALU_DEP_1) | instskip(NEXT) | instid1(VALU_DEP_1)
	v_fmac_f32_e32 v5, v31, v5
	v_mul_f32_e32 v31, v32, v5
	s_delay_alu instid0(VALU_DEP_1) | instskip(NEXT) | instid1(VALU_DEP_1)
	v_fma_f32 v33, v4, v31, v32
	v_fmac_f32_e32 v31, v33, v5
	s_delay_alu instid0(VALU_DEP_1) | instskip(NEXT) | instid1(VALU_DEP_1)
	v_fmac_f32_e32 v32, v4, v31
	v_div_fmas_f32 v4, v32, v5, v31
	s_delay_alu instid0(VALU_DEP_1) | instskip(NEXT) | instid1(VALU_DEP_1)
	v_div_fixup_f32 v4, v4, v10, v11
	v_fmac_f32_e32 v10, v11, v4
	s_delay_alu instid0(VALU_DEP_1) | instskip(SKIP_1) | instid1(VALU_DEP_2)
	v_div_scale_f32 v5, null, v10, v10, 1.0
	v_div_scale_f32 v32, vcc_lo, 1.0, v10, 1.0
	v_rcp_f32_e32 v11, v5
	v_nop
	v_xor_b32_e32 v5, 0x80000000, v5
	s_delay_alu instid0(TRANS32_DEP_1) | instid1(VALU_DEP_1)
	v_fma_f32 v31, v5, v11, 1.0
	s_delay_alu instid0(VALU_DEP_1) | instskip(NEXT) | instid1(VALU_DEP_1)
	v_fmac_f32_e32 v11, v31, v11
	v_mul_f32_e32 v31, v32, v11
	s_delay_alu instid0(VALU_DEP_1) | instskip(NEXT) | instid1(VALU_DEP_1)
	v_fma_f32 v33, v5, v31, v32
	v_fmac_f32_e32 v31, v33, v11
	s_delay_alu instid0(VALU_DEP_1) | instskip(NEXT) | instid1(VALU_DEP_1)
	v_fmac_f32_e32 v32, v5, v31
	v_div_fmas_f32 v5, v32, v11, v31
	v_dual_fma_f32 v11, v9, v4, v8 :: v_dual_fma_f32 v8, -v8, v4, v9
	s_delay_alu instid0(VALU_DEP_2) | instskip(NEXT) | instid1(VALU_DEP_1)
	v_div_fixup_f32 v5, v5, v10, 1.0
	v_dual_mul_f32 v4, v11, v5 :: v_dual_mul_f32 v5, v8, v5
.LBB167_64:                             ;   in Loop: Header=BB167_57 Depth=2
	s_add_co_i32 s50, s35, -8
	s_add_co_i32 s49, s35, 0xffffff18
	s_delay_alu instid0(SALU_CYCLE_1)
	v_dual_mov_b32 v8, s50 :: v_dual_mov_b32 v9, s49
	s_mov_b32 s50, -1
	ds_load_b64 v[10:11], v8
	ds_load_b64 v[8:9], v9
	ds_store_b64 v30, v[4:5]
	s_wait_dscnt 0x2
	v_dual_mul_f32 v31, v5, v11 :: v_dual_mul_f32 v11, v4, v11
	s_wait_dscnt 0x1
	v_and_b32_e32 v32, 0x7fffffff, v8
	v_and_b32_e32 v33, 0x7fffffff, v9
	s_delay_alu instid0(VALU_DEP_3) | instskip(SKIP_1) | instid1(VALU_DEP_3)
	v_fmac_f32_e32 v11, v5, v10
	v_fma_f32 v31, v4, v10, -v31
	v_cmp_ngt_f32_e32 vcc_lo, v32, v33
	s_delay_alu instid0(VALU_DEP_3) | instskip(NEXT) | instid1(VALU_DEP_3)
	v_sub_f32_e32 v11, v7, v11
	v_sub_f32_e32 v10, v6, v31
                                        ; implicit-def: $vgpr7
	s_cbranch_vccz .LBB167_66
; %bb.65:                               ;   in Loop: Header=BB167_57 Depth=2
	v_div_scale_f32 v6, null, v9, v9, v8
	v_div_scale_f32 v31, vcc_lo, v8, v9, v8
	s_mov_b32 s50, 0
	v_rcp_f32_e32 v7, v6
	v_nop
	v_xor_b32_e32 v6, 0x80000000, v6
	s_delay_alu instid0(TRANS32_DEP_1) | instid1(VALU_DEP_1)
	v_fma_f32 v30, v6, v7, 1.0
	s_delay_alu instid0(VALU_DEP_1) | instskip(NEXT) | instid1(VALU_DEP_1)
	v_fmac_f32_e32 v7, v30, v7
	v_mul_f32_e32 v30, v31, v7
	s_delay_alu instid0(VALU_DEP_1) | instskip(NEXT) | instid1(VALU_DEP_1)
	v_fma_f32 v32, v6, v30, v31
	v_fmac_f32_e32 v30, v32, v7
	s_delay_alu instid0(VALU_DEP_1) | instskip(NEXT) | instid1(VALU_DEP_1)
	v_fmac_f32_e32 v31, v6, v30
	v_div_fmas_f32 v6, v31, v7, v30
	s_delay_alu instid0(VALU_DEP_1) | instskip(NEXT) | instid1(VALU_DEP_1)
	v_div_fixup_f32 v6, v6, v9, v8
	v_fma_f32 v7, v8, v6, v9
	s_delay_alu instid0(VALU_DEP_1) | instskip(SKIP_1) | instid1(VALU_DEP_2)
	v_div_scale_f32 v30, null, v7, v7, 1.0
	v_div_scale_f32 v33, vcc_lo, 1.0, v7, 1.0
	v_rcp_f32_e32 v31, v30
	v_nop
	v_xor_b32_e32 v30, 0x80000000, v30
	s_delay_alu instid0(TRANS32_DEP_1) | instid1(VALU_DEP_1)
	v_fma_f32 v32, v30, v31, 1.0
	s_delay_alu instid0(VALU_DEP_1) | instskip(NEXT) | instid1(VALU_DEP_1)
	v_fmac_f32_e32 v31, v32, v31
	v_mul_f32_e32 v32, v33, v31
	s_delay_alu instid0(VALU_DEP_1) | instskip(NEXT) | instid1(VALU_DEP_1)
	v_fma_f32 v34, v30, v32, v33
	v_fmac_f32_e32 v32, v34, v31
	s_delay_alu instid0(VALU_DEP_1) | instskip(NEXT) | instid1(VALU_DEP_1)
	v_fmac_f32_e32 v33, v30, v32
	v_div_fmas_f32 v30, v33, v31, v32
	v_fma_f32 v31, v6, v10, v11
	s_delay_alu instid0(VALU_DEP_2) | instskip(SKIP_1) | instid1(VALU_DEP_1)
	v_div_fixup_f32 v7, v30, v7, 1.0
	v_fma_f32 v30, v6, v11, -v10
	v_dual_mul_f32 v6, v31, v7 :: v_dual_mul_f32 v7, v30, v7
.LBB167_66:                             ;   in Loop: Header=BB167_57 Depth=2
	s_and_not1_b32 vcc_lo, exec_lo, s50
	s_cbranch_vccnz .LBB167_68
; %bb.67:                               ;   in Loop: Header=BB167_57 Depth=2
	v_div_scale_f32 v6, null, v8, v8, v9
	v_div_scale_f32 v31, vcc_lo, v9, v8, v9
	s_delay_alu instid0(VALU_DEP_2)
	v_rcp_f32_e32 v7, v6
	v_nop
	v_xor_b32_e32 v6, 0x80000000, v6
	s_delay_alu instid0(TRANS32_DEP_1) | instid1(VALU_DEP_1)
	v_fma_f32 v30, v6, v7, 1.0
	s_delay_alu instid0(VALU_DEP_1) | instskip(NEXT) | instid1(VALU_DEP_1)
	v_fmac_f32_e32 v7, v30, v7
	v_mul_f32_e32 v30, v31, v7
	s_delay_alu instid0(VALU_DEP_1) | instskip(NEXT) | instid1(VALU_DEP_1)
	v_fma_f32 v32, v6, v30, v31
	v_fmac_f32_e32 v30, v32, v7
	s_delay_alu instid0(VALU_DEP_1) | instskip(NEXT) | instid1(VALU_DEP_1)
	v_fmac_f32_e32 v31, v6, v30
	v_div_fmas_f32 v6, v31, v7, v30
	s_delay_alu instid0(VALU_DEP_1) | instskip(NEXT) | instid1(VALU_DEP_1)
	v_div_fixup_f32 v6, v6, v8, v9
	v_fmac_f32_e32 v8, v9, v6
	s_delay_alu instid0(VALU_DEP_1) | instskip(SKIP_1) | instid1(VALU_DEP_2)
	v_div_scale_f32 v7, null, v8, v8, 1.0
	v_div_scale_f32 v31, vcc_lo, 1.0, v8, 1.0
	v_rcp_f32_e32 v9, v7
	v_nop
	v_xor_b32_e32 v7, 0x80000000, v7
	s_delay_alu instid0(TRANS32_DEP_1) | instid1(VALU_DEP_1)
	v_fma_f32 v30, v7, v9, 1.0
	s_delay_alu instid0(VALU_DEP_1) | instskip(NEXT) | instid1(VALU_DEP_1)
	v_fmac_f32_e32 v9, v30, v9
	v_mul_f32_e32 v30, v31, v9
	s_delay_alu instid0(VALU_DEP_1) | instskip(NEXT) | instid1(VALU_DEP_1)
	v_fma_f32 v32, v7, v30, v31
	v_fmac_f32_e32 v30, v32, v9
	s_delay_alu instid0(VALU_DEP_1) | instskip(NEXT) | instid1(VALU_DEP_1)
	v_fmac_f32_e32 v31, v7, v30
	v_div_fmas_f32 v7, v31, v9, v30
	v_fma_f32 v9, v6, v11, v10
	s_delay_alu instid0(VALU_DEP_2) | instskip(NEXT) | instid1(VALU_DEP_1)
	v_div_fixup_f32 v7, v7, v8, 1.0
	v_dual_fma_f32 v8, -v6, v10, v11 :: v_dual_mul_f32 v6, v9, v7
	s_delay_alu instid0(VALU_DEP_1)
	v_mul_f32_e32 v7, v8, v7
.LBB167_68:                             ;   in Loop: Header=BB167_57 Depth=2
	s_add_co_i32 s52, s35, -16
	s_add_co_i32 s50, s18, -1
	v_dual_mov_b32 v8, s52 :: v_dual_mov_b32 v32, v5
	s_add_co_i32 s51, s18, -2
	s_lshl_b32 s50, s50, 3
	s_mov_b32 s52, -1
	ds_load_b64 v[10:11], v8
	s_sub_co_i32 s50, s49, s50
	s_lshl_b32 s49, s51, 3
	v_mov_b32_e32 v34, v7
	s_add_co_i32 s51, s50, s49
	ds_store_b64 v29, v[6:7]
	v_mov_b32_e32 v8, s51
	s_add_co_i32 s51, s35, 0xfffffe30
	ds_load_b64 v[30:31], v8
	s_wait_dscnt 0x2
	v_pk_mul_f32 v[32:33], v[32:33], v[10:11] op_sel_hi:[0,1]
	s_delay_alu instid0(VALU_DEP_1) | instskip(SKIP_2) | instid1(VALU_DEP_3)
	v_pk_fma_f32 v[36:37], v[4:5], v[10:11], v[32:33] op_sel:[0,0,1] op_sel_hi:[0,1,0]
	v_mov_b32_e32 v8, s51
	v_pk_fma_f32 v[10:11], v[4:5], v[10:11], v[32:33] op_sel:[0,0,1] op_sel_hi:[1,1,0] neg_lo:[0,0,1] neg_hi:[0,0,1]
	v_mov_b32_e32 v11, v37
	ds_load_b64 v[8:9], v8
	s_wait_dscnt 0x1
	v_pk_mul_f32 v[34:35], v[34:35], v[30:31] op_sel_hi:[0,1]
	v_pk_add_f32 v[2:3], v[2:3], v[10:11] neg_lo:[0,1] neg_hi:[0,1]
	s_delay_alu instid0(VALU_DEP_2) | instskip(SKIP_1) | instid1(VALU_DEP_2)
	v_pk_fma_f32 v[32:33], v[6:7], v[30:31], v[34:35] op_sel:[0,0,1] op_sel_hi:[0,1,0]
	v_pk_fma_f32 v[10:11], v[6:7], v[30:31], v[34:35] op_sel:[0,0,1] op_sel_hi:[1,1,0] neg_lo:[0,0,1] neg_hi:[0,0,1]
	v_mov_b32_e32 v11, v33
	s_delay_alu instid0(VALU_DEP_1) | instskip(SKIP_3) | instid1(VALU_DEP_1)
	v_pk_add_f32 v[2:3], v[2:3], v[10:11] neg_lo:[0,1] neg_hi:[0,1]
                                        ; implicit-def: $vgpr10_vgpr11
	s_wait_dscnt 0x0
	v_and_b32_e32 v32, 0x7fffffff, v8
	v_and_b32_e32 v36, 0x7fffffff, v9
	v_cmp_ngt_f32_e32 vcc_lo, v32, v36
	s_cbranch_vccz .LBB167_70
; %bb.69:                               ;   in Loop: Header=BB167_57 Depth=2
	v_div_scale_f32 v10, null, v9, v9, v8
	v_div_scale_f32 v30, vcc_lo, v8, v9, v8
	s_mov_b32 s52, 0
	v_rcp_f32_e32 v11, v10
	v_nop
	v_xor_b32_e32 v10, 0x80000000, v10
	s_delay_alu instid0(TRANS32_DEP_1) | instid1(VALU_DEP_1)
	v_fma_f32 v29, v10, v11, 1.0
	s_delay_alu instid0(VALU_DEP_1) | instskip(NEXT) | instid1(VALU_DEP_1)
	v_fmac_f32_e32 v11, v29, v11
	v_mul_f32_e32 v29, v30, v11
	s_delay_alu instid0(VALU_DEP_1) | instskip(NEXT) | instid1(VALU_DEP_1)
	v_fma_f32 v31, v10, v29, v30
	v_fmac_f32_e32 v29, v31, v11
	s_delay_alu instid0(VALU_DEP_1) | instskip(NEXT) | instid1(VALU_DEP_1)
	v_fmac_f32_e32 v30, v10, v29
	v_div_fmas_f32 v10, v30, v11, v29
	s_delay_alu instid0(VALU_DEP_1) | instskip(NEXT) | instid1(VALU_DEP_1)
	v_div_fixup_f32 v10, v10, v9, v8
	v_fma_f32 v11, v8, v10, v9
	s_delay_alu instid0(VALU_DEP_1) | instskip(SKIP_1) | instid1(VALU_DEP_2)
	v_div_scale_f32 v29, null, v11, v11, 1.0
	v_div_scale_f32 v32, vcc_lo, 1.0, v11, 1.0
	v_rcp_f32_e32 v31, v29
	v_nop
	v_xor_b32_e32 v29, 0x80000000, v29
	s_delay_alu instid0(TRANS32_DEP_1) | instid1(VALU_DEP_1)
	v_fma_f32 v30, v29, v31, 1.0
	s_delay_alu instid0(VALU_DEP_1) | instskip(NEXT) | instid1(VALU_DEP_1)
	v_fmac_f32_e32 v31, v30, v31
	v_mul_f32_e32 v33, v32, v31
	s_delay_alu instid0(VALU_DEP_1) | instskip(NEXT) | instid1(VALU_DEP_1)
	v_fma_f32 v30, v29, v33, v32
	v_dual_fmac_f32 v33, v30, v31 :: v_dual_mov_b32 v30, v3
	s_delay_alu instid0(VALU_DEP_1) | instskip(NEXT) | instid1(VALU_DEP_1)
	v_fmac_f32_e32 v32, v29, v33
	v_div_fmas_f32 v29, v32, v31, v33
	s_delay_alu instid0(VALU_DEP_3) | instskip(NEXT) | instid1(VALU_DEP_2)
	v_pk_fma_f32 v[30:31], v[10:11], v[2:3], v[30:31]
	v_div_fixup_f32 v31, v29, v11, 1.0
	s_delay_alu instid0(VALU_DEP_1) | instskip(NEXT) | instid1(VALU_DEP_1)
	v_dual_fma_f32 v11, v10, v3, -v2 :: v_dual_mov_b32 v10, v31
	v_pk_mul_f32 v[10:11], v[30:31], v[10:11]
.LBB167_70:                             ;   in Loop: Header=BB167_57 Depth=2
	s_and_not1_b32 vcc_lo, exec_lo, s52
	s_cbranch_vccnz .LBB167_72
; %bb.71:                               ;   in Loop: Header=BB167_57 Depth=2
	v_div_scale_f32 v10, null, v8, v8, v9
	v_div_scale_f32 v30, vcc_lo, v9, v8, v9
	s_delay_alu instid0(VALU_DEP_2)
	v_rcp_f32_e32 v11, v10
	v_nop
	v_xor_b32_e32 v10, 0x80000000, v10
	s_delay_alu instid0(TRANS32_DEP_1) | instid1(VALU_DEP_1)
	v_fma_f32 v29, v10, v11, 1.0
	s_delay_alu instid0(VALU_DEP_1) | instskip(NEXT) | instid1(VALU_DEP_1)
	v_fmac_f32_e32 v11, v29, v11
	v_mul_f32_e32 v29, v30, v11
	s_delay_alu instid0(VALU_DEP_1) | instskip(NEXT) | instid1(VALU_DEP_1)
	v_fma_f32 v31, v10, v29, v30
	v_fmac_f32_e32 v29, v31, v11
	s_delay_alu instid0(VALU_DEP_1) | instskip(NEXT) | instid1(VALU_DEP_1)
	v_fmac_f32_e32 v30, v10, v29
	v_div_fmas_f32 v10, v30, v11, v29
	s_delay_alu instid0(VALU_DEP_1) | instskip(NEXT) | instid1(VALU_DEP_1)
	v_div_fixup_f32 v10, v10, v8, v9
	v_fmac_f32_e32 v8, v9, v10
	s_delay_alu instid0(VALU_DEP_1) | instskip(SKIP_1) | instid1(VALU_DEP_2)
	v_div_scale_f32 v9, null, v8, v8, 1.0
	v_div_scale_f32 v30, vcc_lo, 1.0, v8, 1.0
	v_rcp_f32_e32 v11, v9
	v_nop
	v_xor_b32_e32 v9, 0x80000000, v9
	s_delay_alu instid0(TRANS32_DEP_1) | instid1(VALU_DEP_1)
	v_fma_f32 v29, v9, v11, 1.0
	s_delay_alu instid0(VALU_DEP_1) | instskip(NEXT) | instid1(VALU_DEP_1)
	v_fmac_f32_e32 v11, v29, v11
	v_mul_f32_e32 v29, v30, v11
	s_delay_alu instid0(VALU_DEP_1) | instskip(NEXT) | instid1(VALU_DEP_1)
	v_fma_f32 v31, v9, v29, v30
	v_fmac_f32_e32 v29, v31, v11
	s_delay_alu instid0(VALU_DEP_1) | instskip(NEXT) | instid1(VALU_DEP_1)
	v_fmac_f32_e32 v30, v9, v29
	v_div_fmas_f32 v9, v30, v11, v29
	v_pk_fma_f32 v[30:31], v[10:11], v[2:3], v[2:3] op_sel:[0,1,0] op_sel_hi:[0,0,1] neg_lo:[1,0,0] neg_hi:[1,0,0]
	v_pk_fma_f32 v[2:3], v[10:11], v[2:3], v[2:3] op_sel:[0,1,0] op_sel_hi:[1,0,1]
	s_delay_alu instid0(VALU_DEP_3) | instskip(NEXT) | instid1(VALU_DEP_3)
	v_div_fixup_f32 v8, v9, v8, 1.0
	v_mov_b32_e32 v3, v31
	s_delay_alu instid0(VALU_DEP_1)
	v_pk_mul_f32 v[10:11], v[2:3], v[8:9] op_sel_hi:[1,0]
.LBB167_72:                             ;   in Loop: Header=BB167_57 Depth=2
	s_sub_co_i32 s35, s35, 24
	s_lshl_b32 s34, s34, 3
	v_mov_b32_e32 v2, s35
	s_add_co_i32 s35, s50, s34
	s_add_co_i32 s31, s31, s30
	v_mov_b32_e32 v3, s35
	s_sub_co_i32 s35, s51, s49
	ds_load_b64 v[8:9], v2
	s_add_co_i32 s34, s35, s34
	v_mov_b32_e32 v34, v5
	ds_load_b64 v[30:31], v3
	v_mov_b32_e32 v2, s34
	s_sub_co_i32 s30, s31, 24
	v_dual_mov_b32 v37, v7 :: v_dual_mov_b32 v35, v5
	v_dual_mov_b32 v5, v4 :: v_dual_mov_b32 v36, v7
	ds_load_b64 v[32:33], v2
	v_dual_mov_b32 v2, s30 :: v_dual_mov_b32 v7, v6
	s_mov_b32 s30, -1
	ds_store_b64 v25, v[10:11]
	ds_load_b64 v[2:3], v2
	s_wait_dscnt 0x4
	v_pk_mul_f32 v[34:35], v[34:35], v[8:9]
	s_wait_dscnt 0x3
	v_pk_mul_f32 v[36:37], v[36:37], v[30:31]
	s_delay_alu instid0(VALU_DEP_2) | instskip(SKIP_1) | instid1(VALU_DEP_3)
	v_pk_fma_f32 v[38:39], v[4:5], v[8:9], v[34:35] op_sel:[0,0,1] op_sel_hi:[1,1,0]
	v_pk_fma_f32 v[4:5], v[4:5], v[8:9], v[34:35] op_sel:[0,0,1] op_sel_hi:[1,1,0] neg_lo:[0,0,1] neg_hi:[0,0,1]
	v_pk_fma_f32 v[8:9], v[6:7], v[30:31], v[36:37] op_sel:[0,0,1] op_sel_hi:[1,1,0]
	v_pk_fma_f32 v[6:7], v[6:7], v[30:31], v[36:37] op_sel:[0,0,1] op_sel_hi:[1,1,0] neg_lo:[0,0,1] neg_hi:[0,0,1]
	s_delay_alu instid0(VALU_DEP_4) | instskip(SKIP_3) | instid1(VALU_DEP_3)
	v_mov_b32_e32 v5, v39
	s_wait_dscnt 0x2
	v_pk_mul_f32 v[34:35], v[10:11], v[32:33] op_sel:[1,1] op_sel_hi:[1,0]
	v_mov_b32_e32 v7, v9
	v_pk_add_f32 v[0:1], v[0:1], v[4:5] neg_lo:[0,1] neg_hi:[0,1]
	s_delay_alu instid0(VALU_DEP_3)
	v_pk_fma_f32 v[4:5], v[10:11], v[32:33], v[34:35] op_sel_hi:[0,1,1]
	s_wait_dscnt 0x0
	v_and_b32_e32 v4, 0x7fffffff, v2
	v_and_b32_e32 v29, 0x7fffffff, v3
	v_pk_fma_f32 v[8:9], v[10:11], v[32:33], v[34:35] neg_lo:[0,0,1] neg_hi:[0,0,1]
	v_pk_add_f32 v[0:1], v[0:1], v[6:7] neg_lo:[0,1] neg_hi:[0,1]
	v_mov_b32_e32 v9, v5
	s_delay_alu instid0(VALU_DEP_4) | instskip(NEXT) | instid1(VALU_DEP_2)
	v_cmp_ngt_f32_e32 vcc_lo, v4, v29
                                        ; implicit-def: $vgpr4_vgpr5
	v_pk_add_f32 v[0:1], v[0:1], v[8:9] neg_lo:[0,1] neg_hi:[0,1]
	s_cbranch_vccz .LBB167_74
; %bb.73:                               ;   in Loop: Header=BB167_57 Depth=2
	v_div_scale_f32 v4, null, v3, v3, v2
	v_div_scale_f32 v7, vcc_lo, v2, v3, v2
	s_mov_b32 s30, 0
	v_rcp_f32_e32 v5, v4
	v_nop
	v_xor_b32_e32 v4, 0x80000000, v4
	s_delay_alu instid0(TRANS32_DEP_1) | instid1(VALU_DEP_1)
	v_fma_f32 v6, v4, v5, 1.0
	s_delay_alu instid0(VALU_DEP_1) | instskip(NEXT) | instid1(VALU_DEP_1)
	v_fmac_f32_e32 v5, v6, v5
	v_mul_f32_e32 v6, v7, v5
	s_delay_alu instid0(VALU_DEP_1) | instskip(NEXT) | instid1(VALU_DEP_1)
	v_fma_f32 v8, v4, v6, v7
	v_fmac_f32_e32 v6, v8, v5
	s_delay_alu instid0(VALU_DEP_1) | instskip(NEXT) | instid1(VALU_DEP_1)
	v_fmac_f32_e32 v7, v4, v6
	v_div_fmas_f32 v4, v7, v5, v6
	s_delay_alu instid0(VALU_DEP_1) | instskip(NEXT) | instid1(VALU_DEP_1)
	v_div_fixup_f32 v4, v4, v3, v2
	v_fma_f32 v5, v2, v4, v3
	s_delay_alu instid0(VALU_DEP_1) | instskip(NEXT) | instid1(VALU_DEP_1)
	v_div_scale_f32 v6, null, v5, v5, 1.0
	v_rcp_f32_e32 v7, v6
	v_nop
	v_xor_b32_e32 v6, 0x80000000, v6
	s_delay_alu instid0(TRANS32_DEP_1) | instid1(VALU_DEP_1)
	v_fma_f32 v8, v6, v7, 1.0
	s_delay_alu instid0(VALU_DEP_1) | instskip(SKIP_1) | instid1(VALU_DEP_1)
	v_fmac_f32_e32 v7, v8, v7
	v_div_scale_f32 v8, vcc_lo, 1.0, v5, 1.0
	v_mul_f32_e32 v9, v8, v7
	s_delay_alu instid0(VALU_DEP_1) | instskip(NEXT) | instid1(VALU_DEP_1)
	v_fma_f32 v10, v6, v9, v8
	v_fmac_f32_e32 v9, v10, v7
	s_delay_alu instid0(VALU_DEP_1) | instskip(NEXT) | instid1(VALU_DEP_1)
	v_dual_fmac_f32 v8, v6, v9 :: v_dual_mov_b32 v6, v1
	v_div_fmas_f32 v8, v8, v7, v9
	s_delay_alu instid0(VALU_DEP_2) | instskip(NEXT) | instid1(VALU_DEP_2)
	v_pk_fma_f32 v[6:7], v[4:5], v[0:1], v[6:7]
	v_div_fixup_f32 v7, v8, v5, 1.0
	s_delay_alu instid0(VALU_DEP_1) | instskip(NEXT) | instid1(VALU_DEP_1)
	v_dual_fma_f32 v5, v4, v1, -v0 :: v_dual_mov_b32 v4, v7
	v_pk_mul_f32 v[4:5], v[6:7], v[4:5]
.LBB167_74:                             ;   in Loop: Header=BB167_57 Depth=2
	s_and_not1_b32 vcc_lo, exec_lo, s30
	s_cbranch_vccnz .LBB167_76
; %bb.75:                               ;   in Loop: Header=BB167_57 Depth=2
	v_div_scale_f32 v4, null, v2, v2, v3
	v_div_scale_f32 v7, vcc_lo, v3, v2, v3
	s_delay_alu instid0(VALU_DEP_2)
	v_rcp_f32_e32 v5, v4
	v_nop
	v_xor_b32_e32 v4, 0x80000000, v4
	s_delay_alu instid0(TRANS32_DEP_1) | instid1(VALU_DEP_1)
	v_fma_f32 v6, v4, v5, 1.0
	s_delay_alu instid0(VALU_DEP_1) | instskip(NEXT) | instid1(VALU_DEP_1)
	v_fmac_f32_e32 v5, v6, v5
	v_mul_f32_e32 v6, v7, v5
	s_delay_alu instid0(VALU_DEP_1) | instskip(NEXT) | instid1(VALU_DEP_1)
	v_fma_f32 v8, v4, v6, v7
	v_fmac_f32_e32 v6, v8, v5
	s_delay_alu instid0(VALU_DEP_1) | instskip(NEXT) | instid1(VALU_DEP_1)
	v_fmac_f32_e32 v7, v4, v6
	v_div_fmas_f32 v4, v7, v5, v6
	s_delay_alu instid0(VALU_DEP_1) | instskip(NEXT) | instid1(VALU_DEP_1)
	v_div_fixup_f32 v4, v4, v2, v3
	v_fmac_f32_e32 v2, v3, v4
	s_delay_alu instid0(VALU_DEP_1) | instskip(SKIP_1) | instid1(VALU_DEP_2)
	v_div_scale_f32 v3, null, v2, v2, 1.0
	v_div_scale_f32 v7, vcc_lo, 1.0, v2, 1.0
	v_rcp_f32_e32 v5, v3
	v_nop
	v_xor_b32_e32 v3, 0x80000000, v3
	s_delay_alu instid0(TRANS32_DEP_1) | instid1(VALU_DEP_1)
	v_fma_f32 v6, v3, v5, 1.0
	s_delay_alu instid0(VALU_DEP_1) | instskip(NEXT) | instid1(VALU_DEP_1)
	v_fmac_f32_e32 v5, v6, v5
	v_mul_f32_e32 v6, v7, v5
	s_delay_alu instid0(VALU_DEP_1) | instskip(NEXT) | instid1(VALU_DEP_1)
	v_fma_f32 v8, v3, v6, v7
	v_fmac_f32_e32 v6, v8, v5
	s_delay_alu instid0(VALU_DEP_1) | instskip(NEXT) | instid1(VALU_DEP_1)
	v_fmac_f32_e32 v7, v3, v6
	v_div_fmas_f32 v3, v7, v5, v6
	v_pk_fma_f32 v[6:7], v[4:5], v[0:1], v[0:1] op_sel:[0,1,0] op_sel_hi:[0,0,1] neg_lo:[1,0,0] neg_hi:[1,0,0]
	v_pk_fma_f32 v[0:1], v[4:5], v[0:1], v[0:1] op_sel:[0,1,0] op_sel_hi:[1,0,1]
	s_delay_alu instid0(VALU_DEP_3) | instskip(NEXT) | instid1(VALU_DEP_3)
	v_div_fixup_f32 v2, v3, v2, 1.0
	v_mov_b32_e32 v1, v7
	s_delay_alu instid0(VALU_DEP_1)
	v_pk_mul_f32 v[4:5], v[0:1], v[2:3] op_sel_hi:[1,0]
.LBB167_76:                             ;   in Loop: Header=BB167_57 Depth=2
	s_add_co_i32 s30, s18, -4
	s_sub_co_i32 s3, s3, 32
	s_cmp_lt_i32 s18, 7
	ds_store_b64 v24, v[4:5]
	s_cbranch_scc1 .LBB167_78
; %bb.77:                               ;   in Loop: Header=BB167_57 Depth=2
	s_mov_b32 s18, s30
	s_branch .LBB167_57
.LBB167_78:                             ;   in Loop: Header=BB167_3 Depth=1
	s_cmp_lt_i32 s30, 0
	s_cbranch_scc1 .LBB167_87
; %bb.79:                               ;   in Loop: Header=BB167_3 Depth=1
	s_lshl_b32 s3, s30, 3
	s_delay_alu instid0(SALU_CYCLE_1)
	s_add_co_i32 s3, s17, s3
	s_branch .LBB167_81
.LBB167_80:                             ;   in Loop: Header=BB167_81 Depth=2
	s_add_co_i32 s18, s30, -1
	s_add_co_i32 s3, s3, -8
	s_cmp_lt_i32 s30, 1
	s_mov_b32 s30, s18
	ds_store_b64 v6, v[4:5]
	s_cbranch_scc1 .LBB167_87
.LBB167_81:                             ;   Parent Loop BB167_3 Depth=1
                                        ; =>  This Loop Header: Depth=2
                                        ;       Child Loop BB167_82 Depth 3
	s_mul_i32 s18, s30, 0xe0
	s_cmp_le_i32 s38, s30
	v_dual_add_nc_u32 v6, s18, v26 :: v_dual_mov_b32 v2, v13
	s_mov_b32 s31, s3
	s_mov_b32 s34, s38
	ds_load_b64 v[0:1], v6
	s_cbranch_scc1 .LBB167_83
.LBB167_82:                             ;   Parent Loop BB167_3 Depth=1
                                        ;     Parent Loop BB167_81 Depth=2
                                        ; =>    This Inner Loop Header: Depth=3
	v_mov_b32_e32 v3, s31
	s_add_co_i32 s34, s34, -1
	s_addk_co_i32 s31, 0xff20
	s_cmp_le_i32 s34, s30
	ds_load_b64 v[4:5], v2
	ds_load_b64 v[8:9], v3
	v_add_nc_u32_e32 v2, 0xffffff20, v2
	s_wait_dscnt 0x0
	v_pk_mul_f32 v[10:11], v[8:9], v[4:5] op_sel:[1,1] op_sel_hi:[0,1]
	s_delay_alu instid0(VALU_DEP_1) | instskip(SKIP_1) | instid1(VALU_DEP_2)
	v_pk_fma_f32 v[24:25], v[8:9], v[4:5], v[10:11] op_sel_hi:[1,0,1]
	v_pk_fma_f32 v[4:5], v[8:9], v[4:5], v[10:11] op_sel_hi:[1,0,1] neg_lo:[0,0,1] neg_hi:[0,0,1]
	v_mov_b32_e32 v5, v25
	s_delay_alu instid0(VALU_DEP_1)
	v_pk_add_f32 v[0:1], v[0:1], v[4:5] neg_lo:[0,1] neg_hi:[0,1]
	s_cbranch_scc0 .LBB167_82
.LBB167_83:                             ;   in Loop: Header=BB167_81 Depth=2
	s_lshl_b32 s31, s30, 3
	s_delay_alu instid0(SALU_CYCLE_1) | instskip(NEXT) | instid1(SALU_CYCLE_1)
	s_add_co_i32 s18, s31, s18
	v_mov_b32_e32 v2, s18
	s_mov_b32 s18, -1
	ds_load_b64 v[2:3], v2
	s_wait_dscnt 0x0
	v_and_b32_e32 v4, 0x7fffffff, v2
	v_and_b32_e32 v5, 0x7fffffff, v3
	s_delay_alu instid0(VALU_DEP_1)
	v_cmp_ngt_f32_e32 vcc_lo, v4, v5
                                        ; implicit-def: $vgpr4_vgpr5
	s_cbranch_vccz .LBB167_85
; %bb.84:                               ;   in Loop: Header=BB167_81 Depth=2
	v_div_scale_f32 v4, null, v3, v3, v2
	v_div_scale_f32 v8, vcc_lo, v2, v3, v2
	s_mov_b32 s18, 0
	v_rcp_f32_e32 v5, v4
	v_nop
	v_xor_b32_e32 v4, 0x80000000, v4
	s_delay_alu instid0(TRANS32_DEP_1) | instid1(VALU_DEP_1)
	v_fma_f32 v7, v4, v5, 1.0
	s_delay_alu instid0(VALU_DEP_1) | instskip(NEXT) | instid1(VALU_DEP_1)
	v_fmac_f32_e32 v5, v7, v5
	v_mul_f32_e32 v7, v8, v5
	s_delay_alu instid0(VALU_DEP_1) | instskip(NEXT) | instid1(VALU_DEP_1)
	v_fma_f32 v9, v4, v7, v8
	v_fmac_f32_e32 v7, v9, v5
	s_delay_alu instid0(VALU_DEP_1) | instskip(NEXT) | instid1(VALU_DEP_1)
	v_fmac_f32_e32 v8, v4, v7
	v_div_fmas_f32 v4, v8, v5, v7
	s_delay_alu instid0(VALU_DEP_1) | instskip(NEXT) | instid1(VALU_DEP_1)
	v_div_fixup_f32 v4, v4, v3, v2
	v_fma_f32 v7, v2, v4, v3
	s_delay_alu instid0(VALU_DEP_1) | instskip(SKIP_1) | instid1(VALU_DEP_2)
	v_div_scale_f32 v5, null, v7, v7, 1.0
	v_div_scale_f32 v10, vcc_lo, 1.0, v7, 1.0
	v_rcp_f32_e32 v8, v5
	v_nop
	v_xor_b32_e32 v5, 0x80000000, v5
	s_delay_alu instid0(TRANS32_DEP_1) | instid1(VALU_DEP_1)
	v_fma_f32 v9, v5, v8, 1.0
	s_delay_alu instid0(VALU_DEP_1) | instskip(NEXT) | instid1(VALU_DEP_1)
	v_fmac_f32_e32 v8, v9, v8
	v_mul_f32_e32 v9, v10, v8
	s_delay_alu instid0(VALU_DEP_1) | instskip(NEXT) | instid1(VALU_DEP_1)
	v_fma_f32 v11, v5, v9, v10
	v_fmac_f32_e32 v9, v11, v8
	s_delay_alu instid0(VALU_DEP_1) | instskip(NEXT) | instid1(VALU_DEP_1)
	v_fmac_f32_e32 v10, v5, v9
	v_div_fmas_f32 v10, v10, v8, v9
	v_pk_fma_f32 v[8:9], v[0:1], v[4:5], v[0:1] op_sel:[0,0,1] op_sel_hi:[1,0,0] neg_lo:[0,0,1] neg_hi:[0,0,1]
	v_pk_fma_f32 v[4:5], v[0:1], v[4:5], v[0:1] op_sel:[0,0,1] op_sel_hi:[1,0,0]
	s_delay_alu instid0(VALU_DEP_3) | instskip(NEXT) | instid1(VALU_DEP_3)
	v_div_fixup_f32 v8, v10, v7, 1.0
	v_mov_b32_e32 v5, v9
	s_delay_alu instid0(VALU_DEP_1)
	v_pk_mul_f32 v[4:5], v[4:5], v[8:9] op_sel_hi:[1,0]
.LBB167_85:                             ;   in Loop: Header=BB167_81 Depth=2
	s_and_not1_b32 vcc_lo, exec_lo, s18
	s_cbranch_vccnz .LBB167_80
; %bb.86:                               ;   in Loop: Header=BB167_81 Depth=2
	v_div_scale_f32 v4, null, v2, v2, v3
	v_div_scale_f32 v8, vcc_lo, v3, v2, v3
	s_delay_alu instid0(VALU_DEP_2)
	v_rcp_f32_e32 v5, v4
	v_nop
	v_xor_b32_e32 v4, 0x80000000, v4
	s_delay_alu instid0(TRANS32_DEP_1) | instid1(VALU_DEP_1)
	v_fma_f32 v7, v4, v5, 1.0
	s_delay_alu instid0(VALU_DEP_1) | instskip(NEXT) | instid1(VALU_DEP_1)
	v_fmac_f32_e32 v5, v7, v5
	v_mul_f32_e32 v7, v8, v5
	s_delay_alu instid0(VALU_DEP_1) | instskip(NEXT) | instid1(VALU_DEP_1)
	v_fma_f32 v9, v4, v7, v8
	v_fmac_f32_e32 v7, v9, v5
	s_delay_alu instid0(VALU_DEP_1) | instskip(NEXT) | instid1(VALU_DEP_1)
	v_fmac_f32_e32 v8, v4, v7
	v_div_fmas_f32 v4, v8, v5, v7
	s_delay_alu instid0(VALU_DEP_1) | instskip(NEXT) | instid1(VALU_DEP_1)
	v_div_fixup_f32 v4, v4, v2, v3
	v_fmac_f32_e32 v2, v3, v4
	s_delay_alu instid0(VALU_DEP_1) | instskip(SKIP_1) | instid1(VALU_DEP_2)
	v_div_scale_f32 v3, null, v2, v2, 1.0
	v_div_scale_f32 v8, vcc_lo, 1.0, v2, 1.0
	v_rcp_f32_e32 v5, v3
	v_nop
	v_xor_b32_e32 v3, 0x80000000, v3
	s_delay_alu instid0(TRANS32_DEP_1) | instid1(VALU_DEP_1)
	v_fma_f32 v7, v3, v5, 1.0
	s_delay_alu instid0(VALU_DEP_1) | instskip(NEXT) | instid1(VALU_DEP_1)
	v_fmac_f32_e32 v5, v7, v5
	v_mul_f32_e32 v7, v8, v5
	s_delay_alu instid0(VALU_DEP_1) | instskip(NEXT) | instid1(VALU_DEP_1)
	v_fma_f32 v9, v3, v7, v8
	v_fmac_f32_e32 v7, v9, v5
	s_delay_alu instid0(VALU_DEP_1) | instskip(NEXT) | instid1(VALU_DEP_1)
	v_fmac_f32_e32 v8, v3, v7
	v_div_fmas_f32 v3, v8, v5, v7
	v_pk_fma_f32 v[8:9], v[0:1], v[4:5], v[0:1] op_sel:[1,0,0] op_sel_hi:[0,0,1] neg_lo:[1,0,0] neg_hi:[1,0,0]
	v_pk_fma_f32 v[0:1], v[0:1], v[4:5], v[0:1] op_sel:[1,0,0] op_sel_hi:[0,0,1]
	s_delay_alu instid0(VALU_DEP_3) | instskip(NEXT) | instid1(VALU_DEP_3)
	v_div_fixup_f32 v2, v3, v2, 1.0
	v_mov_b32_e32 v1, v9
	s_delay_alu instid0(VALU_DEP_1)
	v_pk_mul_f32 v[4:5], v[0:1], v[2:3] op_sel_hi:[1,0]
	s_branch .LBB167_80
.LBB167_87:                             ;   in Loop: Header=BB167_3 Depth=1
	s_mov_b32 s3, 0
.LBB167_88:                             ;   in Loop: Header=BB167_3 Depth=1
	s_delay_alu instid0(SALU_CYCLE_1)
	s_and_not1_b32 vcc_lo, exec_lo, s3
	s_cbranch_vccnz .LBB167_119
; %bb.89:                               ;   in Loop: Header=BB167_3 Depth=1
	s_mov_b32 s30, s38
	s_and_not1_b32 vcc_lo, exec_lo, s42
	s_mov_b32 s3, s47
	s_mov_b32 s18, s38
	s_cbranch_vccnz .LBB167_110
.LBB167_90:                             ;   Parent Loop BB167_3 Depth=1
                                        ; =>  This Loop Header: Depth=2
                                        ;       Child Loop BB167_91 Depth 3
	s_mul_i32 s30, s18, 28
	s_cmp_le_i32 s38, s18
	v_lshl_add_u32 v30, s30, 3, v26
	s_mov_b32 s31, s3
	s_mov_b32 s34, s38
	s_delay_alu instid0(VALU_DEP_1)
	v_dual_mov_b32 v2, v13 :: v_dual_add_nc_u32 v29, 0xffffff20, v30
	v_add_nc_u32_e32 v25, 0xfffffe40, v30
	v_add_nc_u32_e32 v24, 0xfffffd60, v30
	ds_load_b64 v[0:1], v30
	ds_load_b64 v[10:11], v29
	;; [unrolled: 1-line block ×4, first 2 shown]
	s_cbranch_scc1 .LBB167_92
.LBB167_91:                             ;   Parent Loop BB167_3 Depth=1
                                        ;     Parent Loop BB167_90 Depth=2
                                        ; =>    This Inner Loop Header: Depth=3
	v_mov_b32_e32 v3, s31
	s_add_co_i32 s34, s34, -1
	s_add_co_i32 s31, s31, -8
	s_cmp_le_i32 s34, s18
	ds_load_b64 v[8:9], v2
	ds_load_2addr_b64 v[32:35], v3 offset1:28
	ds_load_2addr_b64 v[36:39], v3 offset0:56 offset1:84
	v_add_nc_u32_e32 v2, 0xffffff20, v2
	s_wait_dscnt 0x1
	v_pk_mul_f32 v[40:41], v[34:35], v[8:9] op_sel:[0,1]
	s_wait_dscnt 0x0
	v_dual_mul_f32 v3, v39, v9 :: v_dual_mul_f32 v31, v38, v9
	v_dual_mul_f32 v44, v37, v9 :: v_dual_mul_f32 v45, v37, v8
	v_pk_mul_f32 v[42:43], v[32:33], v[8:9] op_sel:[0,1]
	s_delay_alu instid0(VALU_DEP_3) | instskip(NEXT) | instid1(VALU_DEP_3)
	v_fma_f32 v3, v38, v8, -v3
	v_dual_fmac_f32 v31, v39, v8 :: v_dual_fma_f32 v44, v36, v8, -v44
	s_delay_alu instid0(VALU_DEP_4) | instskip(SKIP_4) | instid1(VALU_DEP_4)
	v_fmac_f32_e32 v45, v36, v9
	v_pk_fma_f32 v[36:37], v[34:35], v[8:9], v[40:41] op_sel:[0,0,1] op_sel_hi:[1,0,0]
	v_pk_fma_f32 v[38:39], v[32:33], v[8:9], v[42:43] op_sel:[0,0,1] op_sel_hi:[1,0,0]
	v_pk_fma_f32 v[34:35], v[34:35], v[8:9], v[40:41] op_sel:[0,0,1] op_sel_hi:[1,1,0] neg_lo:[0,0,1] neg_hi:[0,0,1]
	v_pk_fma_f32 v[8:9], v[32:33], v[8:9], v[42:43] op_sel:[0,0,1] op_sel_hi:[1,1,0] neg_lo:[0,0,1] neg_hi:[0,0,1]
	v_dual_sub_f32 v0, v0, v3 :: v_dual_mov_b32 v35, v37
	s_delay_alu instid0(VALU_DEP_4) | instskip(SKIP_1) | instid1(VALU_DEP_3)
	v_dual_mov_b32 v9, v39 :: v_dual_sub_f32 v1, v1, v31
	v_dual_sub_f32 v10, v10, v44 :: v_dual_sub_f32 v11, v11, v45
	v_pk_add_f32 v[6:7], v[6:7], v[34:35] neg_lo:[0,1] neg_hi:[0,1]
	s_delay_alu instid0(VALU_DEP_3)
	v_pk_add_f32 v[4:5], v[4:5], v[8:9] neg_lo:[0,1] neg_hi:[0,1]
	s_cbranch_scc0 .LBB167_91
.LBB167_92:                             ;   in Loop: Header=BB167_90 Depth=2
	s_mul_i32 s31, s18, 0xe8
	s_delay_alu instid0(SALU_CYCLE_1)
	v_mov_b32_e32 v2, s31
	s_mov_b32 s31, -1
	ds_load_b64 v[2:3], v2
	s_wait_dscnt 0x0
	v_and_b32_e32 v8, 0x7fffffff, v2
	v_and_b32_e32 v9, 0x7fffffff, v3
	s_delay_alu instid0(VALU_DEP_1)
	v_cmp_ngt_f32_e32 vcc_lo, v8, v9
                                        ; implicit-def: $vgpr9
	s_cbranch_vccz .LBB167_94
; %bb.93:                               ;   in Loop: Header=BB167_90 Depth=2
	v_div_scale_f32 v8, null, v3, v3, v2
	v_div_scale_f32 v32, vcc_lo, v2, v3, v2
	s_mov_b32 s31, 0
	v_rcp_f32_e32 v9, v8
	v_nop
	v_xor_b32_e32 v8, 0x80000000, v8
	s_delay_alu instid0(TRANS32_DEP_1) | instid1(VALU_DEP_1)
	v_fma_f32 v31, v8, v9, 1.0
	s_delay_alu instid0(VALU_DEP_1) | instskip(NEXT) | instid1(VALU_DEP_1)
	v_fmac_f32_e32 v9, v31, v9
	v_mul_f32_e32 v31, v32, v9
	s_delay_alu instid0(VALU_DEP_1) | instskip(NEXT) | instid1(VALU_DEP_1)
	v_fma_f32 v33, v8, v31, v32
	v_fmac_f32_e32 v31, v33, v9
	s_delay_alu instid0(VALU_DEP_1) | instskip(NEXT) | instid1(VALU_DEP_1)
	v_fmac_f32_e32 v32, v8, v31
	v_div_fmas_f32 v8, v32, v9, v31
	s_delay_alu instid0(VALU_DEP_1) | instskip(NEXT) | instid1(VALU_DEP_1)
	v_div_fixup_f32 v8, v8, v3, v2
	v_fma_f32 v9, v2, v8, v3
	s_delay_alu instid0(VALU_DEP_1) | instskip(SKIP_1) | instid1(VALU_DEP_2)
	v_div_scale_f32 v31, null, v9, v9, 1.0
	v_div_scale_f32 v34, vcc_lo, 1.0, v9, 1.0
	v_rcp_f32_e32 v32, v31
	v_nop
	v_xor_b32_e32 v31, 0x80000000, v31
	s_delay_alu instid0(TRANS32_DEP_1) | instid1(VALU_DEP_1)
	v_fma_f32 v33, v31, v32, 1.0
	s_delay_alu instid0(VALU_DEP_1) | instskip(NEXT) | instid1(VALU_DEP_1)
	v_fmac_f32_e32 v32, v33, v32
	v_mul_f32_e32 v33, v34, v32
	s_delay_alu instid0(VALU_DEP_1) | instskip(NEXT) | instid1(VALU_DEP_1)
	v_fma_f32 v35, v31, v33, v34
	v_fmac_f32_e32 v33, v35, v32
	s_delay_alu instid0(VALU_DEP_1) | instskip(NEXT) | instid1(VALU_DEP_1)
	v_fmac_f32_e32 v34, v31, v33
	v_div_fmas_f32 v31, v34, v32, v33
	v_fma_f32 v32, v0, v8, v1
	s_delay_alu instid0(VALU_DEP_2) | instskip(NEXT) | instid1(VALU_DEP_1)
	v_div_fixup_f32 v9, v31, v9, 1.0
	v_dual_fma_f32 v31, v1, v8, -v0 :: v_dual_mul_f32 v8, v32, v9
	s_delay_alu instid0(VALU_DEP_1)
	v_mul_f32_e32 v9, v31, v9
.LBB167_94:                             ;   in Loop: Header=BB167_90 Depth=2
	s_and_not1_b32 vcc_lo, exec_lo, s31
	s_cbranch_vccnz .LBB167_96
; %bb.95:                               ;   in Loop: Header=BB167_90 Depth=2
	v_div_scale_f32 v8, null, v2, v2, v3
	v_div_scale_f32 v32, vcc_lo, v3, v2, v3
	s_delay_alu instid0(VALU_DEP_2)
	v_rcp_f32_e32 v9, v8
	v_nop
	v_xor_b32_e32 v8, 0x80000000, v8
	s_delay_alu instid0(TRANS32_DEP_1) | instid1(VALU_DEP_1)
	v_fma_f32 v31, v8, v9, 1.0
	s_delay_alu instid0(VALU_DEP_1) | instskip(NEXT) | instid1(VALU_DEP_1)
	v_fmac_f32_e32 v9, v31, v9
	v_mul_f32_e32 v31, v32, v9
	s_delay_alu instid0(VALU_DEP_1) | instskip(NEXT) | instid1(VALU_DEP_1)
	v_fma_f32 v33, v8, v31, v32
	v_fmac_f32_e32 v31, v33, v9
	s_delay_alu instid0(VALU_DEP_1) | instskip(NEXT) | instid1(VALU_DEP_1)
	v_fmac_f32_e32 v32, v8, v31
	v_div_fmas_f32 v8, v32, v9, v31
	s_delay_alu instid0(VALU_DEP_1) | instskip(NEXT) | instid1(VALU_DEP_1)
	v_div_fixup_f32 v8, v8, v2, v3
	v_fmac_f32_e32 v2, v3, v8
	s_delay_alu instid0(VALU_DEP_1) | instskip(SKIP_1) | instid1(VALU_DEP_2)
	v_div_scale_f32 v3, null, v2, v2, 1.0
	v_div_scale_f32 v32, vcc_lo, 1.0, v2, 1.0
	v_rcp_f32_e32 v9, v3
	v_nop
	v_xor_b32_e32 v3, 0x80000000, v3
	s_delay_alu instid0(TRANS32_DEP_1) | instid1(VALU_DEP_1)
	v_fma_f32 v31, v3, v9, 1.0
	s_delay_alu instid0(VALU_DEP_1) | instskip(NEXT) | instid1(VALU_DEP_1)
	v_fmac_f32_e32 v9, v31, v9
	v_mul_f32_e32 v31, v32, v9
	s_delay_alu instid0(VALU_DEP_1) | instskip(NEXT) | instid1(VALU_DEP_1)
	v_fma_f32 v33, v3, v31, v32
	v_fmac_f32_e32 v31, v33, v9
	s_delay_alu instid0(VALU_DEP_1) | instskip(NEXT) | instid1(VALU_DEP_1)
	v_fmac_f32_e32 v32, v3, v31
	v_div_fmas_f32 v3, v32, v9, v31
	v_dual_fma_f32 v9, v1, v8, v0 :: v_dual_fma_f32 v0, -v0, v8, v1
	s_delay_alu instid0(VALU_DEP_2) | instskip(NEXT) | instid1(VALU_DEP_1)
	v_div_fixup_f32 v2, v3, v2, 1.0
	v_dual_mul_f32 v8, v9, v2 :: v_dual_mul_f32 v9, v0, v2
.LBB167_96:                             ;   in Loop: Header=BB167_90 Depth=2
	s_lshl_b32 s31, s30, 3
	s_lshl_b32 s30, s18, 3
	s_addk_co_i32 s31, 0xff20
	ds_store_b64 v30, v[8:9]
	s_add_co_i32 s34, s30, s31
	s_delay_alu instid0(SALU_CYCLE_1) | instskip(NEXT) | instid1(SALU_CYCLE_1)
	s_add_co_i32 s34, s34, -8
	v_mov_b32_e32 v0, s34
	s_mov_b32 s34, -1
	ds_load_2addr_b64 v[0:3], v0 offset1:1
	s_wait_dscnt 0x0
	v_dual_mul_f32 v31, v9, v3 :: v_dual_mul_f32 v3, v8, v3
	v_and_b32_e32 v32, 0x7fffffff, v0
	v_and_b32_e32 v33, 0x7fffffff, v1
	s_delay_alu instid0(VALU_DEP_3) | instskip(NEXT) | instid1(VALU_DEP_4)
	v_fma_f32 v31, v8, v2, -v31
	v_fmac_f32_e32 v3, v9, v2
	s_delay_alu instid0(VALU_DEP_3) | instskip(NEXT) | instid1(VALU_DEP_3)
	v_cmp_ngt_f32_e32 vcc_lo, v32, v33
	v_sub_f32_e32 v2, v10, v31
	s_delay_alu instid0(VALU_DEP_3)
	v_sub_f32_e32 v3, v11, v3
                                        ; implicit-def: $vgpr11
	s_cbranch_vccz .LBB167_98
; %bb.97:                               ;   in Loop: Header=BB167_90 Depth=2
	v_div_scale_f32 v10, null, v1, v1, v0
	v_div_scale_f32 v31, vcc_lo, v0, v1, v0
	s_mov_b32 s34, 0
	v_rcp_f32_e32 v11, v10
	v_nop
	v_xor_b32_e32 v10, 0x80000000, v10
	s_delay_alu instid0(TRANS32_DEP_1) | instid1(VALU_DEP_1)
	v_fma_f32 v30, v10, v11, 1.0
	s_delay_alu instid0(VALU_DEP_1) | instskip(NEXT) | instid1(VALU_DEP_1)
	v_fmac_f32_e32 v11, v30, v11
	v_mul_f32_e32 v30, v31, v11
	s_delay_alu instid0(VALU_DEP_1) | instskip(NEXT) | instid1(VALU_DEP_1)
	v_fma_f32 v32, v10, v30, v31
	v_fmac_f32_e32 v30, v32, v11
	s_delay_alu instid0(VALU_DEP_1) | instskip(NEXT) | instid1(VALU_DEP_1)
	v_fmac_f32_e32 v31, v10, v30
	v_div_fmas_f32 v10, v31, v11, v30
	s_delay_alu instid0(VALU_DEP_1) | instskip(NEXT) | instid1(VALU_DEP_1)
	v_div_fixup_f32 v10, v10, v1, v0
	v_fma_f32 v11, v0, v10, v1
	s_delay_alu instid0(VALU_DEP_1) | instskip(SKIP_1) | instid1(VALU_DEP_2)
	v_div_scale_f32 v30, null, v11, v11, 1.0
	v_div_scale_f32 v33, vcc_lo, 1.0, v11, 1.0
	v_rcp_f32_e32 v31, v30
	v_nop
	v_xor_b32_e32 v30, 0x80000000, v30
	s_delay_alu instid0(TRANS32_DEP_1) | instid1(VALU_DEP_1)
	v_fma_f32 v32, v30, v31, 1.0
	s_delay_alu instid0(VALU_DEP_1) | instskip(NEXT) | instid1(VALU_DEP_1)
	v_fmac_f32_e32 v31, v32, v31
	v_mul_f32_e32 v32, v33, v31
	s_delay_alu instid0(VALU_DEP_1) | instskip(NEXT) | instid1(VALU_DEP_1)
	v_fma_f32 v34, v30, v32, v33
	v_fmac_f32_e32 v32, v34, v31
	s_delay_alu instid0(VALU_DEP_1) | instskip(NEXT) | instid1(VALU_DEP_1)
	v_fmac_f32_e32 v33, v30, v32
	v_div_fmas_f32 v30, v33, v31, v32
	v_fma_f32 v31, v10, v2, v3
	s_delay_alu instid0(VALU_DEP_2) | instskip(SKIP_1) | instid1(VALU_DEP_1)
	v_div_fixup_f32 v11, v30, v11, 1.0
	v_fma_f32 v30, v10, v3, -v2
	v_dual_mul_f32 v10, v31, v11 :: v_dual_mul_f32 v11, v30, v11
.LBB167_98:                             ;   in Loop: Header=BB167_90 Depth=2
	s_and_not1_b32 vcc_lo, exec_lo, s34
	s_cbranch_vccnz .LBB167_100
; %bb.99:                               ;   in Loop: Header=BB167_90 Depth=2
	v_div_scale_f32 v10, null, v0, v0, v1
	v_div_scale_f32 v31, vcc_lo, v1, v0, v1
	s_delay_alu instid0(VALU_DEP_2)
	v_rcp_f32_e32 v11, v10
	v_nop
	v_xor_b32_e32 v10, 0x80000000, v10
	s_delay_alu instid0(TRANS32_DEP_1) | instid1(VALU_DEP_1)
	v_fma_f32 v30, v10, v11, 1.0
	s_delay_alu instid0(VALU_DEP_1) | instskip(NEXT) | instid1(VALU_DEP_1)
	v_fmac_f32_e32 v11, v30, v11
	v_mul_f32_e32 v30, v31, v11
	s_delay_alu instid0(VALU_DEP_1) | instskip(NEXT) | instid1(VALU_DEP_1)
	v_fma_f32 v32, v10, v30, v31
	v_fmac_f32_e32 v30, v32, v11
	s_delay_alu instid0(VALU_DEP_1) | instskip(NEXT) | instid1(VALU_DEP_1)
	v_fmac_f32_e32 v31, v10, v30
	v_div_fmas_f32 v10, v31, v11, v30
	s_delay_alu instid0(VALU_DEP_1) | instskip(NEXT) | instid1(VALU_DEP_1)
	v_div_fixup_f32 v10, v10, v0, v1
	v_fmac_f32_e32 v0, v1, v10
	s_delay_alu instid0(VALU_DEP_1) | instskip(SKIP_1) | instid1(VALU_DEP_2)
	v_div_scale_f32 v1, null, v0, v0, 1.0
	v_div_scale_f32 v31, vcc_lo, 1.0, v0, 1.0
	v_rcp_f32_e32 v11, v1
	v_nop
	v_xor_b32_e32 v1, 0x80000000, v1
	s_delay_alu instid0(TRANS32_DEP_1) | instid1(VALU_DEP_1)
	v_fma_f32 v30, v1, v11, 1.0
	s_delay_alu instid0(VALU_DEP_1) | instskip(NEXT) | instid1(VALU_DEP_1)
	v_fmac_f32_e32 v11, v30, v11
	v_mul_f32_e32 v30, v31, v11
	s_delay_alu instid0(VALU_DEP_1) | instskip(NEXT) | instid1(VALU_DEP_1)
	v_fma_f32 v32, v1, v30, v31
	v_fmac_f32_e32 v30, v32, v11
	s_delay_alu instid0(VALU_DEP_1) | instskip(NEXT) | instid1(VALU_DEP_1)
	v_fmac_f32_e32 v31, v1, v30
	v_div_fmas_f32 v1, v31, v11, v30
	v_fma_f32 v11, v10, v3, v2
	s_delay_alu instid0(VALU_DEP_2) | instskip(NEXT) | instid1(VALU_DEP_1)
	v_div_fixup_f32 v0, v1, v0, 1.0
	v_dual_fma_f32 v1, -v10, v2, v3 :: v_dual_mul_f32 v10, v11, v0
	s_delay_alu instid0(VALU_DEP_1)
	v_mul_f32_e32 v11, v1, v0
.LBB167_100:                            ;   in Loop: Header=BB167_90 Depth=2
	s_addk_co_i32 s31, 0xff20
	ds_store_b64 v29, v[10:11]
	s_add_co_i32 s30, s31, s30
	s_delay_alu instid0(SALU_CYCLE_1)
	v_dual_mov_b32 v32, v9 :: v_dual_mov_b32 v0, s30
	s_add_co_i32 s31, s30, -16
	v_mov_b32_e32 v34, v11
	ds_load_b64 v[30:31], v0
	v_mov_b32_e32 v0, s31
	s_mov_b32 s31, -1
	ds_load_2addr_b64 v[0:3], v0 offset1:1
	s_wait_dscnt 0x1
	v_pk_mul_f32 v[32:33], v[32:33], v[30:31] op_sel_hi:[0,1]
	s_delay_alu instid0(VALU_DEP_1) | instskip(SKIP_4) | instid1(VALU_DEP_3)
	v_pk_fma_f32 v[36:37], v[8:9], v[30:31], v[32:33] op_sel:[0,0,1] op_sel_hi:[0,1,0]
	s_wait_dscnt 0x0
	v_pk_mul_f32 v[34:35], v[34:35], v[2:3] op_sel_hi:[0,1]
	v_pk_fma_f32 v[30:31], v[8:9], v[30:31], v[32:33] op_sel:[0,0,1] op_sel_hi:[1,1,0] neg_lo:[0,0,1] neg_hi:[0,0,1]
	v_and_b32_e32 v36, 0x7fffffff, v1
	v_pk_fma_f32 v[32:33], v[10:11], v[2:3], v[34:35] op_sel:[0,0,1] op_sel_hi:[0,1,0]
	v_mov_b32_e32 v31, v37
	v_and_b32_e32 v32, 0x7fffffff, v0
	v_pk_fma_f32 v[2:3], v[10:11], v[2:3], v[34:35] op_sel:[0,0,1] op_sel_hi:[1,1,0] neg_lo:[0,0,1] neg_hi:[0,0,1]
	s_delay_alu instid0(VALU_DEP_4) | instskip(NEXT) | instid1(VALU_DEP_4)
	v_mov_b32_e32 v3, v33
	v_pk_add_f32 v[6:7], v[6:7], v[30:31] neg_lo:[0,1] neg_hi:[0,1]
	s_delay_alu instid0(VALU_DEP_4) | instskip(NEXT) | instid1(VALU_DEP_2)
	v_cmp_ngt_f32_e32 vcc_lo, v32, v36
	v_pk_add_f32 v[2:3], v[6:7], v[2:3] neg_lo:[0,1] neg_hi:[0,1]
                                        ; implicit-def: $vgpr6_vgpr7
	s_cbranch_vccz .LBB167_102
; %bb.101:                              ;   in Loop: Header=BB167_90 Depth=2
	v_div_scale_f32 v6, null, v1, v1, v0
	v_div_scale_f32 v30, vcc_lo, v0, v1, v0
	s_mov_b32 s31, 0
	v_rcp_f32_e32 v7, v6
	v_nop
	v_xor_b32_e32 v6, 0x80000000, v6
	s_delay_alu instid0(TRANS32_DEP_1) | instid1(VALU_DEP_1)
	v_fma_f32 v29, v6, v7, 1.0
	s_delay_alu instid0(VALU_DEP_1) | instskip(NEXT) | instid1(VALU_DEP_1)
	v_fmac_f32_e32 v7, v29, v7
	v_mul_f32_e32 v29, v30, v7
	s_delay_alu instid0(VALU_DEP_1) | instskip(NEXT) | instid1(VALU_DEP_1)
	v_fma_f32 v31, v6, v29, v30
	v_fmac_f32_e32 v29, v31, v7
	s_delay_alu instid0(VALU_DEP_1) | instskip(NEXT) | instid1(VALU_DEP_1)
	v_fmac_f32_e32 v30, v6, v29
	v_div_fmas_f32 v6, v30, v7, v29
	s_delay_alu instid0(VALU_DEP_1) | instskip(NEXT) | instid1(VALU_DEP_1)
	v_div_fixup_f32 v6, v6, v1, v0
	v_fma_f32 v7, v0, v6, v1
	s_delay_alu instid0(VALU_DEP_1) | instskip(SKIP_1) | instid1(VALU_DEP_2)
	v_div_scale_f32 v29, null, v7, v7, 1.0
	v_div_scale_f32 v32, vcc_lo, 1.0, v7, 1.0
	v_rcp_f32_e32 v31, v29
	v_nop
	v_xor_b32_e32 v29, 0x80000000, v29
	s_delay_alu instid0(TRANS32_DEP_1) | instid1(VALU_DEP_1)
	v_fma_f32 v30, v29, v31, 1.0
	s_delay_alu instid0(VALU_DEP_1) | instskip(NEXT) | instid1(VALU_DEP_1)
	v_fmac_f32_e32 v31, v30, v31
	v_mul_f32_e32 v33, v32, v31
	s_delay_alu instid0(VALU_DEP_1) | instskip(NEXT) | instid1(VALU_DEP_1)
	v_fma_f32 v30, v29, v33, v32
	v_dual_fmac_f32 v33, v30, v31 :: v_dual_mov_b32 v30, v3
	s_delay_alu instid0(VALU_DEP_1) | instskip(NEXT) | instid1(VALU_DEP_1)
	v_fmac_f32_e32 v32, v29, v33
	v_div_fmas_f32 v29, v32, v31, v33
	s_delay_alu instid0(VALU_DEP_3) | instskip(NEXT) | instid1(VALU_DEP_2)
	v_pk_fma_f32 v[30:31], v[6:7], v[2:3], v[30:31]
	v_div_fixup_f32 v31, v29, v7, 1.0
	s_delay_alu instid0(VALU_DEP_1) | instskip(NEXT) | instid1(VALU_DEP_1)
	v_dual_fma_f32 v7, v6, v3, -v2 :: v_dual_mov_b32 v6, v31
	v_pk_mul_f32 v[6:7], v[30:31], v[6:7]
.LBB167_102:                            ;   in Loop: Header=BB167_90 Depth=2
	s_and_not1_b32 vcc_lo, exec_lo, s31
	s_cbranch_vccnz .LBB167_104
; %bb.103:                              ;   in Loop: Header=BB167_90 Depth=2
	v_div_scale_f32 v6, null, v0, v0, v1
	v_div_scale_f32 v30, vcc_lo, v1, v0, v1
	s_delay_alu instid0(VALU_DEP_2)
	v_rcp_f32_e32 v7, v6
	v_nop
	v_xor_b32_e32 v6, 0x80000000, v6
	s_delay_alu instid0(TRANS32_DEP_1) | instid1(VALU_DEP_1)
	v_fma_f32 v29, v6, v7, 1.0
	s_delay_alu instid0(VALU_DEP_1) | instskip(NEXT) | instid1(VALU_DEP_1)
	v_fmac_f32_e32 v7, v29, v7
	v_mul_f32_e32 v29, v30, v7
	s_delay_alu instid0(VALU_DEP_1) | instskip(NEXT) | instid1(VALU_DEP_1)
	v_fma_f32 v31, v6, v29, v30
	v_fmac_f32_e32 v29, v31, v7
	s_delay_alu instid0(VALU_DEP_1) | instskip(NEXT) | instid1(VALU_DEP_1)
	v_fmac_f32_e32 v30, v6, v29
	v_div_fmas_f32 v6, v30, v7, v29
	s_delay_alu instid0(VALU_DEP_1) | instskip(NEXT) | instid1(VALU_DEP_1)
	v_div_fixup_f32 v6, v6, v0, v1
	v_fmac_f32_e32 v0, v1, v6
	s_delay_alu instid0(VALU_DEP_1) | instskip(SKIP_1) | instid1(VALU_DEP_2)
	v_div_scale_f32 v1, null, v0, v0, 1.0
	v_div_scale_f32 v30, vcc_lo, 1.0, v0, 1.0
	v_rcp_f32_e32 v7, v1
	v_nop
	v_xor_b32_e32 v1, 0x80000000, v1
	s_delay_alu instid0(TRANS32_DEP_1) | instid1(VALU_DEP_1)
	v_fma_f32 v29, v1, v7, 1.0
	s_delay_alu instid0(VALU_DEP_1) | instskip(NEXT) | instid1(VALU_DEP_1)
	v_fmac_f32_e32 v7, v29, v7
	v_mul_f32_e32 v29, v30, v7
	s_delay_alu instid0(VALU_DEP_1) | instskip(NEXT) | instid1(VALU_DEP_1)
	v_fma_f32 v31, v1, v29, v30
	v_fmac_f32_e32 v29, v31, v7
	s_delay_alu instid0(VALU_DEP_1) | instskip(NEXT) | instid1(VALU_DEP_1)
	v_fmac_f32_e32 v30, v1, v29
	v_div_fmas_f32 v1, v30, v7, v29
	v_pk_fma_f32 v[30:31], v[6:7], v[2:3], v[2:3] op_sel:[0,1,0] op_sel_hi:[0,0,1] neg_lo:[1,0,0] neg_hi:[1,0,0]
	v_pk_fma_f32 v[2:3], v[6:7], v[2:3], v[2:3] op_sel:[0,1,0] op_sel_hi:[1,0,1]
	s_delay_alu instid0(VALU_DEP_3) | instskip(NEXT) | instid1(VALU_DEP_3)
	v_div_fixup_f32 v0, v1, v0, 1.0
	v_mov_b32_e32 v3, v31
	s_delay_alu instid0(VALU_DEP_1)
	v_pk_mul_f32 v[6:7], v[2:3], v[0:1] op_sel_hi:[1,0]
.LBB167_104:                            ;   in Loop: Header=BB167_90 Depth=2
	s_add_co_i32 s31, s30, 0xffffff18
	s_addk_co_i32 s30, 0xff08
	s_delay_alu instid0(SALU_CYCLE_1)
	v_dual_mov_b32 v0, s31 :: v_dual_mov_b32 v1, s30
	v_dual_mov_b32 v34, v9 :: v_dual_mov_b32 v35, v9
	;; [unrolled: 1-line block ×3, first 2 shown]
	ds_load_2addr_b64 v[30:33], v0 offset1:1
	ds_load_2addr_b64 v[0:3], v1 offset1:1
	v_dual_mov_b32 v9, v8 :: v_dual_mov_b32 v11, v10
	s_mov_b32 s30, -1
	ds_store_b64 v25, v[6:7]
	s_wait_dscnt 0x2
	v_pk_mul_f32 v[34:35], v[34:35], v[32:33]
	v_pk_mul_f32 v[36:37], v[36:37], v[30:31]
	s_wait_dscnt 0x1
	v_dual_mov_b32 v38, v3 :: v_dual_mov_b32 v39, v2
	v_and_b32_e32 v29, 0x7fffffff, v1
	v_pk_fma_f32 v[40:41], v[8:9], v[32:33], v[34:35] op_sel:[0,0,1] op_sel_hi:[1,1,0]
	v_pk_fma_f32 v[8:9], v[8:9], v[32:33], v[34:35] op_sel:[0,0,1] op_sel_hi:[1,1,0] neg_lo:[0,0,1] neg_hi:[0,0,1]
	v_pk_fma_f32 v[32:33], v[10:11], v[30:31], v[36:37] op_sel:[0,0,1] op_sel_hi:[1,1,0]
	v_pk_mul_f32 v[34:35], v[6:7], v[38:39] op_sel:[1,0]
	v_pk_fma_f32 v[10:11], v[10:11], v[30:31], v[36:37] op_sel:[0,0,1] op_sel_hi:[1,1,0] neg_lo:[0,0,1] neg_hi:[0,0,1]
	s_delay_alu instid0(VALU_DEP_3) | instskip(NEXT) | instid1(VALU_DEP_1)
	v_dual_mov_b32 v9, v41 :: v_dual_mov_b32 v11, v33
	v_pk_add_f32 v[4:5], v[4:5], v[8:9] neg_lo:[0,1] neg_hi:[0,1]
	s_delay_alu instid0(VALU_DEP_4) | instskip(SKIP_2) | instid1(VALU_DEP_4)
	v_pk_fma_f32 v[8:9], v[6:7], v[2:3], v[34:35] op_sel_hi:[0,1,1]
	v_and_b32_e32 v8, 0x7fffffff, v0
	v_pk_fma_f32 v[2:3], v[6:7], v[2:3], v[34:35] neg_lo:[0,0,1] neg_hi:[0,0,1]
	v_pk_add_f32 v[4:5], v[4:5], v[10:11] neg_lo:[0,1] neg_hi:[0,1]
	s_delay_alu instid0(VALU_DEP_4) | instskip(NEXT) | instid1(VALU_DEP_4)
	v_mov_b32_e32 v3, v9
	v_cmp_ngt_f32_e32 vcc_lo, v8, v29
	s_delay_alu instid0(VALU_DEP_2)
	v_pk_add_f32 v[2:3], v[4:5], v[2:3] neg_lo:[0,1] neg_hi:[0,1]
                                        ; implicit-def: $vgpr4_vgpr5
	s_cbranch_vccz .LBB167_106
; %bb.105:                              ;   in Loop: Header=BB167_90 Depth=2
	v_div_scale_f32 v4, null, v1, v1, v0
	v_div_scale_f32 v7, vcc_lo, v0, v1, v0
	s_mov_b32 s30, 0
	v_rcp_f32_e32 v5, v4
	v_nop
	v_xor_b32_e32 v4, 0x80000000, v4
	s_delay_alu instid0(TRANS32_DEP_1) | instid1(VALU_DEP_1)
	v_fma_f32 v6, v4, v5, 1.0
	s_delay_alu instid0(VALU_DEP_1) | instskip(NEXT) | instid1(VALU_DEP_1)
	v_fmac_f32_e32 v5, v6, v5
	v_mul_f32_e32 v6, v7, v5
	s_delay_alu instid0(VALU_DEP_1) | instskip(NEXT) | instid1(VALU_DEP_1)
	v_fma_f32 v8, v4, v6, v7
	v_fmac_f32_e32 v6, v8, v5
	s_delay_alu instid0(VALU_DEP_1) | instskip(NEXT) | instid1(VALU_DEP_1)
	v_fmac_f32_e32 v7, v4, v6
	v_div_fmas_f32 v4, v7, v5, v6
	s_delay_alu instid0(VALU_DEP_1) | instskip(NEXT) | instid1(VALU_DEP_1)
	v_div_fixup_f32 v4, v4, v1, v0
	v_fma_f32 v5, v0, v4, v1
	s_delay_alu instid0(VALU_DEP_1) | instskip(NEXT) | instid1(VALU_DEP_1)
	v_div_scale_f32 v6, null, v5, v5, 1.0
	v_rcp_f32_e32 v7, v6
	v_nop
	v_xor_b32_e32 v6, 0x80000000, v6
	s_delay_alu instid0(TRANS32_DEP_1) | instid1(VALU_DEP_1)
	v_fma_f32 v8, v6, v7, 1.0
	s_delay_alu instid0(VALU_DEP_1) | instskip(SKIP_1) | instid1(VALU_DEP_1)
	v_fmac_f32_e32 v7, v8, v7
	v_div_scale_f32 v8, vcc_lo, 1.0, v5, 1.0
	v_mul_f32_e32 v9, v8, v7
	s_delay_alu instid0(VALU_DEP_1) | instskip(NEXT) | instid1(VALU_DEP_1)
	v_fma_f32 v10, v6, v9, v8
	v_fmac_f32_e32 v9, v10, v7
	s_delay_alu instid0(VALU_DEP_1) | instskip(NEXT) | instid1(VALU_DEP_1)
	v_dual_fmac_f32 v8, v6, v9 :: v_dual_mov_b32 v6, v3
	v_div_fmas_f32 v8, v8, v7, v9
	s_delay_alu instid0(VALU_DEP_2) | instskip(NEXT) | instid1(VALU_DEP_2)
	v_pk_fma_f32 v[6:7], v[4:5], v[2:3], v[6:7]
	v_div_fixup_f32 v7, v8, v5, 1.0
	s_delay_alu instid0(VALU_DEP_1) | instskip(NEXT) | instid1(VALU_DEP_1)
	v_dual_fma_f32 v5, v4, v3, -v2 :: v_dual_mov_b32 v4, v7
	v_pk_mul_f32 v[4:5], v[6:7], v[4:5]
.LBB167_106:                            ;   in Loop: Header=BB167_90 Depth=2
	s_and_not1_b32 vcc_lo, exec_lo, s30
	s_cbranch_vccnz .LBB167_108
; %bb.107:                              ;   in Loop: Header=BB167_90 Depth=2
	v_div_scale_f32 v4, null, v0, v0, v1
	v_div_scale_f32 v7, vcc_lo, v1, v0, v1
	s_delay_alu instid0(VALU_DEP_2)
	v_rcp_f32_e32 v5, v4
	v_nop
	v_xor_b32_e32 v4, 0x80000000, v4
	s_delay_alu instid0(TRANS32_DEP_1) | instid1(VALU_DEP_1)
	v_fma_f32 v6, v4, v5, 1.0
	s_delay_alu instid0(VALU_DEP_1) | instskip(NEXT) | instid1(VALU_DEP_1)
	v_fmac_f32_e32 v5, v6, v5
	v_mul_f32_e32 v6, v7, v5
	s_delay_alu instid0(VALU_DEP_1) | instskip(NEXT) | instid1(VALU_DEP_1)
	v_fma_f32 v8, v4, v6, v7
	v_fmac_f32_e32 v6, v8, v5
	s_delay_alu instid0(VALU_DEP_1) | instskip(NEXT) | instid1(VALU_DEP_1)
	v_fmac_f32_e32 v7, v4, v6
	v_div_fmas_f32 v4, v7, v5, v6
	s_delay_alu instid0(VALU_DEP_1) | instskip(NEXT) | instid1(VALU_DEP_1)
	v_div_fixup_f32 v4, v4, v0, v1
	v_fmac_f32_e32 v0, v1, v4
	s_delay_alu instid0(VALU_DEP_1) | instskip(SKIP_1) | instid1(VALU_DEP_2)
	v_div_scale_f32 v1, null, v0, v0, 1.0
	v_div_scale_f32 v7, vcc_lo, 1.0, v0, 1.0
	v_rcp_f32_e32 v5, v1
	v_nop
	v_xor_b32_e32 v1, 0x80000000, v1
	s_delay_alu instid0(TRANS32_DEP_1) | instid1(VALU_DEP_1)
	v_fma_f32 v6, v1, v5, 1.0
	s_delay_alu instid0(VALU_DEP_1) | instskip(NEXT) | instid1(VALU_DEP_1)
	v_fmac_f32_e32 v5, v6, v5
	v_mul_f32_e32 v6, v7, v5
	s_delay_alu instid0(VALU_DEP_1) | instskip(NEXT) | instid1(VALU_DEP_1)
	v_fma_f32 v8, v1, v6, v7
	v_fmac_f32_e32 v6, v8, v5
	s_delay_alu instid0(VALU_DEP_1) | instskip(NEXT) | instid1(VALU_DEP_1)
	v_fmac_f32_e32 v7, v1, v6
	v_div_fmas_f32 v1, v7, v5, v6
	v_pk_fma_f32 v[6:7], v[4:5], v[2:3], v[2:3] op_sel:[0,1,0] op_sel_hi:[0,0,1] neg_lo:[1,0,0] neg_hi:[1,0,0]
	v_pk_fma_f32 v[2:3], v[4:5], v[2:3], v[2:3] op_sel:[0,1,0] op_sel_hi:[1,0,1]
	s_delay_alu instid0(VALU_DEP_3) | instskip(NEXT) | instid1(VALU_DEP_3)
	v_div_fixup_f32 v0, v1, v0, 1.0
	v_mov_b32_e32 v3, v7
	s_delay_alu instid0(VALU_DEP_1)
	v_pk_mul_f32 v[4:5], v[2:3], v[0:1] op_sel_hi:[1,0]
.LBB167_108:                            ;   in Loop: Header=BB167_90 Depth=2
	s_add_co_i32 s30, s18, -4
	s_addk_co_i32 s3, 0xfc80
	s_cmp_lt_i32 s18, 7
	ds_store_b64 v24, v[4:5]
	s_cbranch_scc1 .LBB167_110
; %bb.109:                              ;   in Loop: Header=BB167_90 Depth=2
	s_mov_b32 s18, s30
	s_branch .LBB167_90
.LBB167_110:                            ;   in Loop: Header=BB167_3 Depth=1
	s_cmp_lt_i32 s30, 0
	s_cbranch_scc1 .LBB167_119
; %bb.111:                              ;   in Loop: Header=BB167_3 Depth=1
	s_mul_i32 s3, s30, 0xe0
	s_delay_alu instid0(SALU_CYCLE_1)
	s_add_co_i32 s3, s48, s3
	s_branch .LBB167_113
.LBB167_112:                            ;   in Loop: Header=BB167_113 Depth=2
	v_sub_co_u32 v0, s18, s30, 1
	s_and_b32 vcc_lo, exec_lo, s18
	s_addk_co_i32 s3, 0xff20
	ds_store_b64 v6, v[4:5]
	v_readfirstlane_b32 s30, v0
	s_cbranch_vccnz .LBB167_119
.LBB167_113:                            ;   Parent Loop BB167_3 Depth=1
                                        ; =>  This Loop Header: Depth=2
                                        ;       Child Loop BB167_114 Depth 3
	v_mad_u32 v6, 0xe0, s30, v26
	v_mov_b32_e32 v2, v13
	s_cmp_le_i32 s38, s30
	s_mov_b32 s18, s3
	s_mov_b32 s31, s38
	ds_load_b64 v[0:1], v6
	s_cbranch_scc1 .LBB167_115
.LBB167_114:                            ;   Parent Loop BB167_3 Depth=1
                                        ;     Parent Loop BB167_113 Depth=2
                                        ; =>    This Inner Loop Header: Depth=3
	v_mov_b32_e32 v3, s18
	s_add_co_i32 s31, s31, -1
	s_add_co_i32 s18, s18, -8
	s_cmp_le_u32 s31, s30
	ds_load_b64 v[4:5], v2
	ds_load_b64 v[8:9], v3
	v_add_nc_u32_e32 v2, 0xffffff20, v2
	s_wait_dscnt 0x0
	v_pk_mul_f32 v[10:11], v[8:9], v[4:5] op_sel:[1,1] op_sel_hi:[0,1]
	s_delay_alu instid0(VALU_DEP_1) | instskip(SKIP_1) | instid1(VALU_DEP_2)
	v_pk_fma_f32 v[24:25], v[8:9], v[4:5], v[10:11] op_sel_hi:[1,0,1]
	v_pk_fma_f32 v[4:5], v[8:9], v[4:5], v[10:11] op_sel_hi:[1,0,1] neg_lo:[0,0,1] neg_hi:[0,0,1]
	v_mov_b32_e32 v5, v25
	s_delay_alu instid0(VALU_DEP_1)
	v_pk_add_f32 v[0:1], v[0:1], v[4:5] neg_lo:[0,1] neg_hi:[0,1]
	s_cbranch_scc0 .LBB167_114
.LBB167_115:                            ;   in Loop: Header=BB167_113 Depth=2
	s_mul_i32 s18, s30, 0xe8
	s_delay_alu instid0(SALU_CYCLE_1)
	v_mov_b32_e32 v2, s18
	s_mov_b32 s18, -1
	ds_load_b64 v[2:3], v2
	s_wait_dscnt 0x0
	v_and_b32_e32 v4, 0x7fffffff, v2
	v_and_b32_e32 v5, 0x7fffffff, v3
	s_delay_alu instid0(VALU_DEP_1)
	v_cmp_ngt_f32_e32 vcc_lo, v4, v5
                                        ; implicit-def: $vgpr4_vgpr5
	s_cbranch_vccz .LBB167_117
; %bb.116:                              ;   in Loop: Header=BB167_113 Depth=2
	v_div_scale_f32 v4, null, v3, v3, v2
	v_div_scale_f32 v8, vcc_lo, v2, v3, v2
	s_mov_b32 s18, 0
	v_rcp_f32_e32 v5, v4
	v_nop
	v_xor_b32_e32 v4, 0x80000000, v4
	s_delay_alu instid0(TRANS32_DEP_1) | instid1(VALU_DEP_1)
	v_fma_f32 v7, v4, v5, 1.0
	s_delay_alu instid0(VALU_DEP_1) | instskip(NEXT) | instid1(VALU_DEP_1)
	v_fmac_f32_e32 v5, v7, v5
	v_mul_f32_e32 v7, v8, v5
	s_delay_alu instid0(VALU_DEP_1) | instskip(NEXT) | instid1(VALU_DEP_1)
	v_fma_f32 v9, v4, v7, v8
	v_fmac_f32_e32 v7, v9, v5
	s_delay_alu instid0(VALU_DEP_1) | instskip(NEXT) | instid1(VALU_DEP_1)
	v_fmac_f32_e32 v8, v4, v7
	v_div_fmas_f32 v4, v8, v5, v7
	s_delay_alu instid0(VALU_DEP_1) | instskip(NEXT) | instid1(VALU_DEP_1)
	v_div_fixup_f32 v4, v4, v3, v2
	v_fma_f32 v7, v2, v4, v3
	s_delay_alu instid0(VALU_DEP_1) | instskip(SKIP_1) | instid1(VALU_DEP_2)
	v_div_scale_f32 v5, null, v7, v7, 1.0
	v_div_scale_f32 v10, vcc_lo, 1.0, v7, 1.0
	v_rcp_f32_e32 v8, v5
	v_nop
	v_xor_b32_e32 v5, 0x80000000, v5
	s_delay_alu instid0(TRANS32_DEP_1) | instid1(VALU_DEP_1)
	v_fma_f32 v9, v5, v8, 1.0
	s_delay_alu instid0(VALU_DEP_1) | instskip(NEXT) | instid1(VALU_DEP_1)
	v_fmac_f32_e32 v8, v9, v8
	v_mul_f32_e32 v9, v10, v8
	s_delay_alu instid0(VALU_DEP_1) | instskip(NEXT) | instid1(VALU_DEP_1)
	v_fma_f32 v11, v5, v9, v10
	v_fmac_f32_e32 v9, v11, v8
	s_delay_alu instid0(VALU_DEP_1) | instskip(NEXT) | instid1(VALU_DEP_1)
	v_fmac_f32_e32 v10, v5, v9
	v_div_fmas_f32 v10, v10, v8, v9
	v_pk_fma_f32 v[8:9], v[0:1], v[4:5], v[0:1] op_sel:[0,0,1] op_sel_hi:[1,0,0] neg_lo:[0,0,1] neg_hi:[0,0,1]
	v_pk_fma_f32 v[4:5], v[0:1], v[4:5], v[0:1] op_sel:[0,0,1] op_sel_hi:[1,0,0]
	s_delay_alu instid0(VALU_DEP_3) | instskip(NEXT) | instid1(VALU_DEP_3)
	v_div_fixup_f32 v8, v10, v7, 1.0
	v_mov_b32_e32 v5, v9
	s_delay_alu instid0(VALU_DEP_1)
	v_pk_mul_f32 v[4:5], v[4:5], v[8:9] op_sel_hi:[1,0]
.LBB167_117:                            ;   in Loop: Header=BB167_113 Depth=2
	s_and_not1_b32 vcc_lo, exec_lo, s18
	s_cbranch_vccnz .LBB167_112
; %bb.118:                              ;   in Loop: Header=BB167_113 Depth=2
	v_div_scale_f32 v4, null, v2, v2, v3
	v_div_scale_f32 v8, vcc_lo, v3, v2, v3
	s_delay_alu instid0(VALU_DEP_2)
	v_rcp_f32_e32 v5, v4
	v_nop
	v_xor_b32_e32 v4, 0x80000000, v4
	s_delay_alu instid0(TRANS32_DEP_1) | instid1(VALU_DEP_1)
	v_fma_f32 v7, v4, v5, 1.0
	s_delay_alu instid0(VALU_DEP_1) | instskip(NEXT) | instid1(VALU_DEP_1)
	v_fmac_f32_e32 v5, v7, v5
	v_mul_f32_e32 v7, v8, v5
	s_delay_alu instid0(VALU_DEP_1) | instskip(NEXT) | instid1(VALU_DEP_1)
	v_fma_f32 v9, v4, v7, v8
	v_fmac_f32_e32 v7, v9, v5
	s_delay_alu instid0(VALU_DEP_1) | instskip(NEXT) | instid1(VALU_DEP_1)
	v_fmac_f32_e32 v8, v4, v7
	v_div_fmas_f32 v4, v8, v5, v7
	s_delay_alu instid0(VALU_DEP_1) | instskip(NEXT) | instid1(VALU_DEP_1)
	v_div_fixup_f32 v4, v4, v2, v3
	v_fmac_f32_e32 v2, v3, v4
	s_delay_alu instid0(VALU_DEP_1) | instskip(SKIP_1) | instid1(VALU_DEP_2)
	v_div_scale_f32 v3, null, v2, v2, 1.0
	v_div_scale_f32 v8, vcc_lo, 1.0, v2, 1.0
	v_rcp_f32_e32 v5, v3
	v_nop
	v_xor_b32_e32 v3, 0x80000000, v3
	s_delay_alu instid0(TRANS32_DEP_1) | instid1(VALU_DEP_1)
	v_fma_f32 v7, v3, v5, 1.0
	s_delay_alu instid0(VALU_DEP_1) | instskip(NEXT) | instid1(VALU_DEP_1)
	v_fmac_f32_e32 v5, v7, v5
	v_mul_f32_e32 v7, v8, v5
	s_delay_alu instid0(VALU_DEP_1) | instskip(NEXT) | instid1(VALU_DEP_1)
	v_fma_f32 v9, v3, v7, v8
	v_fmac_f32_e32 v7, v9, v5
	s_delay_alu instid0(VALU_DEP_1) | instskip(NEXT) | instid1(VALU_DEP_1)
	v_fmac_f32_e32 v8, v3, v7
	v_div_fmas_f32 v3, v8, v5, v7
	v_pk_fma_f32 v[8:9], v[0:1], v[4:5], v[0:1] op_sel:[1,0,0] op_sel_hi:[0,0,1] neg_lo:[1,0,0] neg_hi:[1,0,0]
	v_pk_fma_f32 v[0:1], v[0:1], v[4:5], v[0:1] op_sel:[1,0,0] op_sel_hi:[0,0,1]
	s_delay_alu instid0(VALU_DEP_3) | instskip(NEXT) | instid1(VALU_DEP_3)
	v_div_fixup_f32 v2, v3, v2, 1.0
	v_mov_b32_e32 v1, v9
	s_delay_alu instid0(VALU_DEP_1)
	v_pk_mul_f32 v[4:5], v[0:1], v[2:3] op_sel_hi:[1,0]
	s_branch .LBB167_112
.LBB167_119:                            ;   in Loop: Header=BB167_3 Depth=1
	s_mov_b32 s3, 0
.LBB167_120:                            ;   in Loop: Header=BB167_3 Depth=1
	s_delay_alu instid0(SALU_CYCLE_1)
	s_and_not1_b32 vcc_lo, exec_lo, s3
	s_cbranch_vccnz .LBB167_152
; %bb.121:                              ;   in Loop: Header=BB167_3 Depth=1
	s_and_not1_b32 vcc_lo, exec_lo, s42
	s_mov_b32 s30, 0
	s_cbranch_vccnz .LBB167_143
; %bb.122:                              ;   in Loop: Header=BB167_3 Depth=1
	s_mov_b32 s3, 0
	s_mov_b32 s18, 0
.LBB167_123:                            ;   Parent Loop BB167_3 Depth=1
                                        ; =>  This Loop Header: Depth=2
                                        ;       Child Loop BB167_124 Depth 3
	s_delay_alu instid0(SALU_CYCLE_1)
	s_mul_i32 s30, s18, 28
	v_mov_b32_e32 v8, v26
	v_lshl_add_u32 v29, s30, 3, v26
	s_cmp_eq_u32 s18, 0
	s_mov_b32 s31, s3
	s_mov_b32 s34, s18
	ds_load_2addr_b64 v[4:7], v29 offset1:28
	ds_load_2addr_b64 v[0:3], v29 offset0:56 offset1:84
	s_cbranch_scc1 .LBB167_125
.LBB167_124:                            ;   Parent Loop BB167_3 Depth=1
                                        ;     Parent Loop BB167_123 Depth=2
                                        ; =>    This Inner Loop Header: Depth=3
	v_mov_b32_e32 v9, s31
	s_add_co_i32 s34, s34, -1
	s_add_co_i32 s31, s31, 8
	s_cmp_eq_u32 s34, 0
	ds_load_b64 v[10:11], v8
	ds_load_2addr_b64 v[30:33], v9 offset0:56 offset1:84
	ds_load_2addr_b64 v[34:37], v9 offset1:28
	v_add_nc_u32_e32 v8, 0xe0, v8
	s_wait_dscnt 0x1
	v_pk_mul_f32 v[24:25], v[30:31], v[10:11] op_sel:[0,1]
	s_wait_dscnt 0x0
	v_dual_mul_f32 v9, v35, v11 :: v_dual_mul_f32 v40, v34, v11
	v_dual_mul_f32 v41, v37, v11 :: v_dual_mul_f32 v42, v37, v10
	v_pk_mul_f32 v[38:39], v[32:33], v[10:11] op_sel:[0,1]
	s_delay_alu instid0(VALU_DEP_3) | instskip(NEXT) | instid1(VALU_DEP_3)
	v_dual_fma_f32 v9, v34, v10, -v9 :: v_dual_fmac_f32 v40, v35, v10
	v_dual_fma_f32 v41, v36, v10, -v41 :: v_dual_fmac_f32 v42, v36, v11
	v_pk_fma_f32 v[34:35], v[30:31], v[10:11], v[24:25] op_sel:[0,0,1] op_sel_hi:[1,0,0]
	s_delay_alu instid0(VALU_DEP_4) | instskip(SKIP_2) | instid1(VALU_DEP_4)
	v_pk_fma_f32 v[36:37], v[32:33], v[10:11], v[38:39] op_sel:[0,0,1] op_sel_hi:[1,0,0]
	v_pk_fma_f32 v[24:25], v[30:31], v[10:11], v[24:25] op_sel:[0,0,1] op_sel_hi:[1,1,0] neg_lo:[0,0,1] neg_hi:[0,0,1]
	v_pk_fma_f32 v[10:11], v[32:33], v[10:11], v[38:39] op_sel:[0,0,1] op_sel_hi:[1,1,0] neg_lo:[0,0,1] neg_hi:[0,0,1]
	v_dual_sub_f32 v4, v4, v9 :: v_dual_mov_b32 v25, v35
	s_delay_alu instid0(VALU_DEP_4) | instskip(SKIP_1) | instid1(VALU_DEP_3)
	v_dual_mov_b32 v11, v37 :: v_dual_sub_f32 v6, v6, v41
	v_dual_sub_f32 v5, v5, v40 :: v_dual_sub_f32 v7, v7, v42
	v_pk_add_f32 v[0:1], v[0:1], v[24:25] neg_lo:[0,1] neg_hi:[0,1]
	s_delay_alu instid0(VALU_DEP_3)
	v_pk_add_f32 v[2:3], v[2:3], v[10:11] neg_lo:[0,1] neg_hi:[0,1]
	s_cbranch_scc0 .LBB167_124
.LBB167_125:                            ;   in Loop: Header=BB167_123 Depth=2
	s_mul_i32 s31, s18, 0xe8
                                        ; implicit-def: $vgpr25
	s_delay_alu instid0(SALU_CYCLE_1)
	v_mov_b32_e32 v8, s31
	s_mov_b32 s31, -1
	ds_load_b64 v[8:9], v8
	s_wait_dscnt 0x0
	v_and_b32_e32 v10, 0x7fffffff, v8
	v_and_b32_e32 v11, 0x7fffffff, v9
	s_delay_alu instid0(VALU_DEP_1)
	v_cmp_ngt_f32_e32 vcc_lo, v10, v11
	s_cbranch_vccz .LBB167_127
; %bb.126:                              ;   in Loop: Header=BB167_123 Depth=2
	v_div_scale_f32 v10, null, v9, v9, v8
	v_div_scale_f32 v25, vcc_lo, v8, v9, v8
	s_mov_b32 s31, 0
	v_rcp_f32_e32 v11, v10
	v_nop
	v_xor_b32_e32 v10, 0x80000000, v10
	s_delay_alu instid0(TRANS32_DEP_1) | instid1(VALU_DEP_1)
	v_fma_f32 v24, v10, v11, 1.0
	s_delay_alu instid0(VALU_DEP_1) | instskip(NEXT) | instid1(VALU_DEP_1)
	v_fmac_f32_e32 v11, v24, v11
	v_mul_f32_e32 v24, v25, v11
	s_delay_alu instid0(VALU_DEP_1) | instskip(NEXT) | instid1(VALU_DEP_1)
	v_fma_f32 v30, v10, v24, v25
	v_fmac_f32_e32 v24, v30, v11
	s_delay_alu instid0(VALU_DEP_1) | instskip(NEXT) | instid1(VALU_DEP_1)
	v_fmac_f32_e32 v25, v10, v24
	v_div_fmas_f32 v10, v25, v11, v24
	s_delay_alu instid0(VALU_DEP_1) | instskip(NEXT) | instid1(VALU_DEP_1)
	v_div_fixup_f32 v10, v10, v9, v8
	v_fma_f32 v11, v8, v10, v9
	s_delay_alu instid0(VALU_DEP_1) | instskip(SKIP_1) | instid1(VALU_DEP_2)
	v_div_scale_f32 v24, null, v11, v11, 1.0
	v_div_scale_f32 v31, vcc_lo, 1.0, v11, 1.0
	v_rcp_f32_e32 v25, v24
	v_nop
	v_xor_b32_e32 v24, 0x80000000, v24
	s_delay_alu instid0(TRANS32_DEP_1) | instid1(VALU_DEP_1)
	v_fma_f32 v30, v24, v25, 1.0
	s_delay_alu instid0(VALU_DEP_1) | instskip(NEXT) | instid1(VALU_DEP_1)
	v_fmac_f32_e32 v25, v30, v25
	v_mul_f32_e32 v30, v31, v25
	s_delay_alu instid0(VALU_DEP_1) | instskip(NEXT) | instid1(VALU_DEP_1)
	v_fma_f32 v32, v24, v30, v31
	v_fmac_f32_e32 v30, v32, v25
	s_delay_alu instid0(VALU_DEP_1) | instskip(NEXT) | instid1(VALU_DEP_1)
	v_fmac_f32_e32 v31, v24, v30
	v_div_fmas_f32 v24, v31, v25, v30
	v_dual_fma_f32 v25, v4, v10, v5 :: v_dual_fma_f32 v10, v5, v10, -v4
	s_delay_alu instid0(VALU_DEP_2) | instskip(NEXT) | instid1(VALU_DEP_1)
	v_div_fixup_f32 v11, v24, v11, 1.0
	v_dual_mul_f32 v24, v25, v11 :: v_dual_mul_f32 v25, v10, v11
.LBB167_127:                            ;   in Loop: Header=BB167_123 Depth=2
	s_and_not1_b32 vcc_lo, exec_lo, s31
	s_cbranch_vccnz .LBB167_129
; %bb.128:                              ;   in Loop: Header=BB167_123 Depth=2
	v_div_scale_f32 v10, null, v8, v8, v9
	v_div_scale_f32 v25, vcc_lo, v9, v8, v9
	s_delay_alu instid0(VALU_DEP_2)
	v_rcp_f32_e32 v11, v10
	v_nop
	v_xor_b32_e32 v10, 0x80000000, v10
	s_delay_alu instid0(TRANS32_DEP_1) | instid1(VALU_DEP_1)
	v_fma_f32 v24, v10, v11, 1.0
	s_delay_alu instid0(VALU_DEP_1) | instskip(NEXT) | instid1(VALU_DEP_1)
	v_fmac_f32_e32 v11, v24, v11
	v_mul_f32_e32 v24, v25, v11
	s_delay_alu instid0(VALU_DEP_1) | instskip(NEXT) | instid1(VALU_DEP_1)
	v_fma_f32 v30, v10, v24, v25
	v_fmac_f32_e32 v24, v30, v11
	s_delay_alu instid0(VALU_DEP_1) | instskip(NEXT) | instid1(VALU_DEP_1)
	v_fmac_f32_e32 v25, v10, v24
	v_div_fmas_f32 v10, v25, v11, v24
	s_delay_alu instid0(VALU_DEP_1) | instskip(NEXT) | instid1(VALU_DEP_1)
	v_div_fixup_f32 v10, v10, v8, v9
	v_fmac_f32_e32 v8, v9, v10
	s_delay_alu instid0(VALU_DEP_1) | instskip(SKIP_1) | instid1(VALU_DEP_2)
	v_div_scale_f32 v9, null, v8, v8, 1.0
	v_div_scale_f32 v25, vcc_lo, 1.0, v8, 1.0
	v_rcp_f32_e32 v11, v9
	v_nop
	v_xor_b32_e32 v9, 0x80000000, v9
	s_delay_alu instid0(TRANS32_DEP_1) | instid1(VALU_DEP_1)
	v_fma_f32 v24, v9, v11, 1.0
	s_delay_alu instid0(VALU_DEP_1) | instskip(NEXT) | instid1(VALU_DEP_1)
	v_fmac_f32_e32 v11, v24, v11
	v_mul_f32_e32 v24, v25, v11
	s_delay_alu instid0(VALU_DEP_1) | instskip(NEXT) | instid1(VALU_DEP_1)
	v_fma_f32 v30, v9, v24, v25
	v_fmac_f32_e32 v24, v30, v11
	s_delay_alu instid0(VALU_DEP_1) | instskip(NEXT) | instid1(VALU_DEP_1)
	v_fmac_f32_e32 v25, v9, v24
	v_div_fmas_f32 v9, v25, v11, v24
	v_dual_fma_f32 v11, v5, v10, v4 :: v_dual_fma_f32 v4, -v4, v10, v5
	s_delay_alu instid0(VALU_DEP_2) | instskip(NEXT) | instid1(VALU_DEP_1)
	v_div_fixup_f32 v8, v9, v8, 1.0
	v_dual_mul_f32 v24, v11, v8 :: v_dual_mul_f32 v25, v4, v8
.LBB167_129:                            ;   in Loop: Header=BB167_123 Depth=2
	s_lshl_b32 s31, s30, 3
	s_lshl_b32 s30, s18, 3
	s_addk_co_i32 s31, 0xe0
	ds_store_b64 v29, v[24:25]
	s_add_co_i32 s34, s31, s30
	s_delay_alu instid0(SALU_CYCLE_1)
	v_mov_b32_e32 v4, s34
	s_mov_b32 s34, -1
	ds_load_b128 v[8:11], v4
	s_wait_dscnt 0x0
	v_dual_mul_f32 v5, v24, v9 :: v_dual_mul_f32 v4, v25, v9
	v_and_b32_e32 v9, 0x7fffffff, v10
	v_and_b32_e32 v30, 0x7fffffff, v11
	s_delay_alu instid0(VALU_DEP_3) | instskip(NEXT) | instid1(VALU_DEP_2)
	v_dual_fmac_f32 v5, v25, v8 :: v_dual_fma_f32 v4, v24, v8, -v4
	v_cmp_ngt_f32_e32 vcc_lo, v9, v30
                                        ; implicit-def: $vgpr9
	s_delay_alu instid0(VALU_DEP_2)
	v_dual_sub_f32 v5, v7, v5 :: v_dual_sub_f32 v4, v6, v4
	s_cbranch_vccz .LBB167_131
; %bb.130:                              ;   in Loop: Header=BB167_123 Depth=2
	v_div_scale_f32 v6, null, v11, v11, v10
	v_div_scale_f32 v9, vcc_lo, v10, v11, v10
	s_mov_b32 s34, 0
	v_rcp_f32_e32 v7, v6
	v_nop
	v_xor_b32_e32 v6, 0x80000000, v6
	s_delay_alu instid0(TRANS32_DEP_1) | instid1(VALU_DEP_1)
	v_fma_f32 v8, v6, v7, 1.0
	s_delay_alu instid0(VALU_DEP_1) | instskip(NEXT) | instid1(VALU_DEP_1)
	v_fmac_f32_e32 v7, v8, v7
	v_mul_f32_e32 v8, v9, v7
	s_delay_alu instid0(VALU_DEP_1) | instskip(NEXT) | instid1(VALU_DEP_1)
	v_fma_f32 v30, v6, v8, v9
	v_fmac_f32_e32 v8, v30, v7
	s_delay_alu instid0(VALU_DEP_1) | instskip(NEXT) | instid1(VALU_DEP_1)
	v_fmac_f32_e32 v9, v6, v8
	v_div_fmas_f32 v6, v9, v7, v8
	s_delay_alu instid0(VALU_DEP_1) | instskip(NEXT) | instid1(VALU_DEP_1)
	v_div_fixup_f32 v6, v6, v11, v10
	v_fma_f32 v7, v10, v6, v11
	s_delay_alu instid0(VALU_DEP_1) | instskip(SKIP_1) | instid1(VALU_DEP_2)
	v_div_scale_f32 v8, null, v7, v7, 1.0
	v_div_scale_f32 v31, vcc_lo, 1.0, v7, 1.0
	v_rcp_f32_e32 v9, v8
	v_nop
	v_xor_b32_e32 v8, 0x80000000, v8
	s_delay_alu instid0(TRANS32_DEP_1) | instid1(VALU_DEP_1)
	v_fma_f32 v30, v8, v9, 1.0
	s_delay_alu instid0(VALU_DEP_1) | instskip(NEXT) | instid1(VALU_DEP_1)
	v_fmac_f32_e32 v9, v30, v9
	v_mul_f32_e32 v30, v31, v9
	s_delay_alu instid0(VALU_DEP_1) | instskip(NEXT) | instid1(VALU_DEP_1)
	v_fma_f32 v32, v8, v30, v31
	v_fmac_f32_e32 v30, v32, v9
	s_delay_alu instid0(VALU_DEP_1) | instskip(NEXT) | instid1(VALU_DEP_1)
	v_fmac_f32_e32 v31, v8, v30
	v_div_fmas_f32 v8, v31, v9, v30
	v_dual_fma_f32 v9, v6, v4, v5 :: v_dual_fma_f32 v6, v6, v5, -v4
	s_delay_alu instid0(VALU_DEP_2) | instskip(NEXT) | instid1(VALU_DEP_1)
	v_div_fixup_f32 v7, v8, v7, 1.0
	v_dual_mul_f32 v8, v9, v7 :: v_dual_mul_f32 v9, v6, v7
.LBB167_131:                            ;   in Loop: Header=BB167_123 Depth=2
	s_and_not1_b32 vcc_lo, exec_lo, s34
	s_cbranch_vccnz .LBB167_133
; %bb.132:                              ;   in Loop: Header=BB167_123 Depth=2
	v_div_scale_f32 v6, null, v10, v10, v11
	v_div_scale_f32 v9, vcc_lo, v11, v10, v11
	s_delay_alu instid0(VALU_DEP_2)
	v_rcp_f32_e32 v7, v6
	v_nop
	v_xor_b32_e32 v6, 0x80000000, v6
	s_delay_alu instid0(TRANS32_DEP_1) | instid1(VALU_DEP_1)
	v_fma_f32 v8, v6, v7, 1.0
	s_delay_alu instid0(VALU_DEP_1) | instskip(NEXT) | instid1(VALU_DEP_1)
	v_fmac_f32_e32 v7, v8, v7
	v_mul_f32_e32 v8, v9, v7
	s_delay_alu instid0(VALU_DEP_1) | instskip(NEXT) | instid1(VALU_DEP_1)
	v_fma_f32 v30, v6, v8, v9
	v_fmac_f32_e32 v8, v30, v7
	s_delay_alu instid0(VALU_DEP_1) | instskip(NEXT) | instid1(VALU_DEP_1)
	v_fmac_f32_e32 v9, v6, v8
	v_div_fmas_f32 v6, v9, v7, v8
	s_delay_alu instid0(VALU_DEP_1) | instskip(NEXT) | instid1(VALU_DEP_1)
	v_div_fixup_f32 v6, v6, v10, v11
	v_fmac_f32_e32 v10, v11, v6
	s_delay_alu instid0(VALU_DEP_1) | instskip(SKIP_1) | instid1(VALU_DEP_2)
	v_div_scale_f32 v7, null, v10, v10, 1.0
	v_div_scale_f32 v11, vcc_lo, 1.0, v10, 1.0
	v_rcp_f32_e32 v8, v7
	v_nop
	v_xor_b32_e32 v7, 0x80000000, v7
	s_delay_alu instid0(TRANS32_DEP_1) | instid1(VALU_DEP_1)
	v_fma_f32 v9, v7, v8, 1.0
	s_delay_alu instid0(VALU_DEP_1) | instskip(NEXT) | instid1(VALU_DEP_1)
	v_fmac_f32_e32 v8, v9, v8
	v_mul_f32_e32 v9, v11, v8
	s_delay_alu instid0(VALU_DEP_1) | instskip(NEXT) | instid1(VALU_DEP_1)
	v_fma_f32 v30, v7, v9, v11
	v_fmac_f32_e32 v9, v30, v8
	s_delay_alu instid0(VALU_DEP_1) | instskip(NEXT) | instid1(VALU_DEP_1)
	v_fmac_f32_e32 v11, v7, v9
	v_div_fmas_f32 v7, v11, v8, v9
	v_dual_fma_f32 v8, v6, v5, v4 :: v_dual_fma_f32 v4, -v6, v4, v5
	s_delay_alu instid0(VALU_DEP_2) | instskip(NEXT) | instid1(VALU_DEP_1)
	v_div_fixup_f32 v7, v7, v10, 1.0
	v_mul_f32_e32 v8, v8, v7
	s_delay_alu instid0(VALU_DEP_3)
	v_mul_f32_e32 v9, v4, v7
.LBB167_133:                            ;   in Loop: Header=BB167_123 Depth=2
	s_addk_co_i32 s31, 0xe0
	v_mov_b32_e32 v6, v25
	s_add_co_i32 s30, s31, s30
	s_mov_b32 s31, -1
	v_mov_b32_e32 v4, s30
	ds_load_b128 v[30:33], v4
	ds_load_b64 v[4:5], v4 offset:16
	ds_store_b64 v29, v[8:9] offset:224
	s_wait_dscnt 0x2
	v_pk_mul_f32 v[6:7], v[6:7], v[30:31] op_sel_hi:[0,1]
	s_delay_alu instid0(VALU_DEP_1)
	v_pk_fma_f32 v[34:35], v[24:25], v[30:31], v[6:7] op_sel:[0,0,1] op_sel_hi:[0,1,0]
	v_mov_b32_e32 v10, v9
	v_pk_fma_f32 v[6:7], v[24:25], v[30:31], v[6:7] op_sel:[0,0,1] op_sel_hi:[1,1,0] neg_lo:[0,0,1] neg_hi:[0,0,1]
	s_wait_dscnt 0x1
	v_and_b32_e32 v34, 0x7fffffff, v5
	v_mov_b32_e32 v7, v35
	v_pk_mul_f32 v[10:11], v[10:11], v[32:33] op_sel_hi:[0,1]
	s_delay_alu instid0(VALU_DEP_2) | instskip(NEXT) | instid1(VALU_DEP_2)
	v_pk_add_f32 v[0:1], v[0:1], v[6:7] neg_lo:[0,1] neg_hi:[0,1]
	v_pk_fma_f32 v[30:31], v[8:9], v[32:33], v[10:11] op_sel:[0,0,1] op_sel_hi:[0,1,0]
	v_and_b32_e32 v30, 0x7fffffff, v4
	v_pk_fma_f32 v[10:11], v[8:9], v[32:33], v[10:11] op_sel:[0,0,1] op_sel_hi:[1,1,0] neg_lo:[0,0,1] neg_hi:[0,0,1]
	s_delay_alu instid0(VALU_DEP_3) | instskip(NEXT) | instid1(VALU_DEP_3)
	v_mov_b32_e32 v11, v31
	v_cmp_ngt_f32_e32 vcc_lo, v30, v34
	s_delay_alu instid0(VALU_DEP_2)
	v_pk_add_f32 v[0:1], v[0:1], v[10:11] neg_lo:[0,1] neg_hi:[0,1]
                                        ; implicit-def: $vgpr10_vgpr11
	s_cbranch_vccz .LBB167_135
; %bb.134:                              ;   in Loop: Header=BB167_123 Depth=2
	v_div_scale_f32 v6, null, v5, v5, v4
	v_div_scale_f32 v11, vcc_lo, v4, v5, v4
	s_mov_b32 s31, 0
	v_rcp_f32_e32 v7, v6
	v_nop
	v_xor_b32_e32 v6, 0x80000000, v6
	s_delay_alu instid0(TRANS32_DEP_1) | instid1(VALU_DEP_1)
	v_fma_f32 v10, v6, v7, 1.0
	s_delay_alu instid0(VALU_DEP_1) | instskip(NEXT) | instid1(VALU_DEP_1)
	v_fmac_f32_e32 v7, v10, v7
	v_mul_f32_e32 v10, v11, v7
	s_delay_alu instid0(VALU_DEP_1) | instskip(NEXT) | instid1(VALU_DEP_1)
	v_fma_f32 v30, v6, v10, v11
	v_fmac_f32_e32 v10, v30, v7
	s_delay_alu instid0(VALU_DEP_1) | instskip(NEXT) | instid1(VALU_DEP_1)
	v_fmac_f32_e32 v11, v6, v10
	v_div_fmas_f32 v6, v11, v7, v10
	s_delay_alu instid0(VALU_DEP_1) | instskip(NEXT) | instid1(VALU_DEP_1)
	v_div_fixup_f32 v6, v6, v5, v4
	v_fma_f32 v7, v4, v6, v5
	s_delay_alu instid0(VALU_DEP_1) | instskip(NEXT) | instid1(VALU_DEP_1)
	v_div_scale_f32 v10, null, v7, v7, 1.0
	v_rcp_f32_e32 v11, v10
	v_nop
	v_xor_b32_e32 v10, 0x80000000, v10
	s_delay_alu instid0(TRANS32_DEP_1) | instid1(VALU_DEP_1)
	v_fma_f32 v30, v10, v11, 1.0
	s_delay_alu instid0(VALU_DEP_1) | instskip(SKIP_1) | instid1(VALU_DEP_1)
	v_fmac_f32_e32 v11, v30, v11
	v_div_scale_f32 v30, vcc_lo, 1.0, v7, 1.0
	v_mul_f32_e32 v31, v30, v11
	s_delay_alu instid0(VALU_DEP_1) | instskip(NEXT) | instid1(VALU_DEP_1)
	v_fma_f32 v32, v10, v31, v30
	v_fmac_f32_e32 v31, v32, v11
	s_delay_alu instid0(VALU_DEP_1) | instskip(NEXT) | instid1(VALU_DEP_1)
	v_dual_fmac_f32 v30, v10, v31 :: v_dual_mov_b32 v10, v1
	v_div_fmas_f32 v30, v30, v11, v31
	s_delay_alu instid0(VALU_DEP_2) | instskip(NEXT) | instid1(VALU_DEP_2)
	v_pk_fma_f32 v[10:11], v[6:7], v[0:1], v[10:11]
	v_div_fixup_f32 v11, v30, v7, 1.0
	s_delay_alu instid0(VALU_DEP_1) | instskip(NEXT) | instid1(VALU_DEP_1)
	v_dual_fma_f32 v7, v6, v1, -v0 :: v_dual_mov_b32 v6, v11
	v_pk_mul_f32 v[10:11], v[10:11], v[6:7]
.LBB167_135:                            ;   in Loop: Header=BB167_123 Depth=2
	s_and_not1_b32 vcc_lo, exec_lo, s31
	s_cbranch_vccnz .LBB167_137
; %bb.136:                              ;   in Loop: Header=BB167_123 Depth=2
	v_div_scale_f32 v6, null, v4, v4, v5
	v_div_scale_f32 v11, vcc_lo, v5, v4, v5
	s_delay_alu instid0(VALU_DEP_2)
	v_rcp_f32_e32 v7, v6
	v_nop
	v_xor_b32_e32 v6, 0x80000000, v6
	s_delay_alu instid0(TRANS32_DEP_1) | instid1(VALU_DEP_1)
	v_fma_f32 v10, v6, v7, 1.0
	s_delay_alu instid0(VALU_DEP_1) | instskip(NEXT) | instid1(VALU_DEP_1)
	v_fmac_f32_e32 v7, v10, v7
	v_mul_f32_e32 v10, v11, v7
	s_delay_alu instid0(VALU_DEP_1) | instskip(NEXT) | instid1(VALU_DEP_1)
	v_fma_f32 v30, v6, v10, v11
	v_fmac_f32_e32 v10, v30, v7
	s_delay_alu instid0(VALU_DEP_1) | instskip(NEXT) | instid1(VALU_DEP_1)
	v_fmac_f32_e32 v11, v6, v10
	v_div_fmas_f32 v6, v11, v7, v10
	s_delay_alu instid0(VALU_DEP_1) | instskip(NEXT) | instid1(VALU_DEP_1)
	v_div_fixup_f32 v6, v6, v4, v5
	v_fmac_f32_e32 v4, v5, v6
	s_delay_alu instid0(VALU_DEP_1) | instskip(SKIP_1) | instid1(VALU_DEP_2)
	v_div_scale_f32 v5, null, v4, v4, 1.0
	v_div_scale_f32 v11, vcc_lo, 1.0, v4, 1.0
	v_rcp_f32_e32 v7, v5
	v_nop
	v_xor_b32_e32 v5, 0x80000000, v5
	s_delay_alu instid0(TRANS32_DEP_1) | instid1(VALU_DEP_1)
	v_fma_f32 v10, v5, v7, 1.0
	s_delay_alu instid0(VALU_DEP_1) | instskip(NEXT) | instid1(VALU_DEP_1)
	v_fmac_f32_e32 v7, v10, v7
	v_mul_f32_e32 v10, v11, v7
	s_delay_alu instid0(VALU_DEP_1) | instskip(NEXT) | instid1(VALU_DEP_1)
	v_fma_f32 v30, v5, v10, v11
	v_fmac_f32_e32 v10, v30, v7
	s_delay_alu instid0(VALU_DEP_1) | instskip(NEXT) | instid1(VALU_DEP_1)
	v_fmac_f32_e32 v11, v5, v10
	v_div_fmas_f32 v5, v11, v7, v10
	v_pk_fma_f32 v[10:11], v[6:7], v[0:1], v[0:1] op_sel:[0,1,0] op_sel_hi:[0,0,1] neg_lo:[1,0,0] neg_hi:[1,0,0]
	v_pk_fma_f32 v[0:1], v[6:7], v[0:1], v[0:1] op_sel:[0,1,0] op_sel_hi:[1,0,1]
	s_delay_alu instid0(VALU_DEP_3) | instskip(NEXT) | instid1(VALU_DEP_3)
	v_div_fixup_f32 v4, v5, v4, 1.0
	v_mov_b32_e32 v1, v11
	s_delay_alu instid0(VALU_DEP_1)
	v_pk_mul_f32 v[10:11], v[0:1], v[4:5] op_sel_hi:[1,0]
.LBB167_137:                            ;   in Loop: Header=BB167_123 Depth=2
	v_dual_mov_b32 v0, s30 :: v_dual_mov_b32 v1, v25
	v_dual_mov_b32 v34, v9 :: v_dual_mov_b32 v35, v9
	s_mov_b32 s30, -1
	ds_load_b128 v[30:33], v0 offset:224
	ds_load_b128 v[4:7], v0 offset:240
	v_dual_mov_b32 v0, v25 :: v_dual_mov_b32 v25, v24
	ds_store_b64 v29, v[10:11] offset:448
	s_wait_dscnt 0x2
	v_pk_mul_f32 v[0:1], v[0:1], v[30:31]
	v_pk_mul_f32 v[34:35], v[34:35], v[32:33]
	s_delay_alu instid0(VALU_DEP_2)
	v_pk_fma_f32 v[36:37], v[24:25], v[30:31], v[0:1] op_sel:[0,0,1] op_sel_hi:[1,1,0]
	v_mov_b32_e32 v9, v8
	v_pk_fma_f32 v[0:1], v[24:25], v[30:31], v[0:1] op_sel:[0,0,1] op_sel_hi:[1,1,0] neg_lo:[0,0,1] neg_hi:[0,0,1]
	s_wait_dscnt 0x1
	v_pk_mul_f32 v[30:31], v[10:11], v[4:5] op_sel:[1,1] op_sel_hi:[1,0]
	v_mov_b32_e32 v1, v37
	v_pk_fma_f32 v[24:25], v[8:9], v[32:33], v[34:35] op_sel:[0,0,1] op_sel_hi:[1,1,0]
	v_pk_fma_f32 v[8:9], v[8:9], v[32:33], v[34:35] op_sel:[0,0,1] op_sel_hi:[1,1,0] neg_lo:[0,0,1] neg_hi:[0,0,1]
	v_and_b32_e32 v24, 0x7fffffff, v7
	s_delay_alu instid0(VALU_DEP_4) | instskip(SKIP_4) | instid1(VALU_DEP_4)
	v_pk_add_f32 v[0:1], v[2:3], v[0:1] neg_lo:[0,1] neg_hi:[0,1]
	v_pk_fma_f32 v[2:3], v[10:11], v[4:5], v[30:31] op_sel_hi:[0,1,1]
	v_mov_b32_e32 v9, v25
	v_and_b32_e32 v2, 0x7fffffff, v6
	v_pk_fma_f32 v[4:5], v[10:11], v[4:5], v[30:31] neg_lo:[0,0,1] neg_hi:[0,0,1]
	v_mov_b32_e32 v5, v3
	s_delay_alu instid0(VALU_DEP_4) | instskip(NEXT) | instid1(VALU_DEP_4)
	v_pk_add_f32 v[0:1], v[0:1], v[8:9] neg_lo:[0,1] neg_hi:[0,1]
	v_cmp_ngt_f32_e32 vcc_lo, v2, v24
                                        ; implicit-def: $vgpr2_vgpr3
	s_delay_alu instid0(VALU_DEP_2)
	v_pk_add_f32 v[0:1], v[0:1], v[4:5] neg_lo:[0,1] neg_hi:[0,1]
	s_cbranch_vccz .LBB167_139
; %bb.138:                              ;   in Loop: Header=BB167_123 Depth=2
	v_div_scale_f32 v2, null, v7, v7, v6
	v_div_scale_f32 v5, vcc_lo, v6, v7, v6
	s_mov_b32 s30, 0
	v_rcp_f32_e32 v3, v2
	v_nop
	v_xor_b32_e32 v2, 0x80000000, v2
	s_delay_alu instid0(TRANS32_DEP_1) | instid1(VALU_DEP_1)
	v_fma_f32 v4, v2, v3, 1.0
	s_delay_alu instid0(VALU_DEP_1) | instskip(NEXT) | instid1(VALU_DEP_1)
	v_fmac_f32_e32 v3, v4, v3
	v_mul_f32_e32 v4, v5, v3
	s_delay_alu instid0(VALU_DEP_1) | instskip(NEXT) | instid1(VALU_DEP_1)
	v_fma_f32 v8, v2, v4, v5
	v_fmac_f32_e32 v4, v8, v3
	s_delay_alu instid0(VALU_DEP_1) | instskip(NEXT) | instid1(VALU_DEP_1)
	v_fmac_f32_e32 v5, v2, v4
	v_div_fmas_f32 v2, v5, v3, v4
	s_delay_alu instid0(VALU_DEP_1) | instskip(NEXT) | instid1(VALU_DEP_1)
	v_div_fixup_f32 v2, v2, v7, v6
	v_fma_f32 v3, v6, v2, v7
	s_delay_alu instid0(VALU_DEP_1) | instskip(NEXT) | instid1(VALU_DEP_1)
	v_div_scale_f32 v4, null, v3, v3, 1.0
	v_rcp_f32_e32 v5, v4
	v_nop
	v_xor_b32_e32 v4, 0x80000000, v4
	s_delay_alu instid0(TRANS32_DEP_1) | instid1(VALU_DEP_1)
	v_fma_f32 v8, v4, v5, 1.0
	s_delay_alu instid0(VALU_DEP_1) | instskip(SKIP_1) | instid1(VALU_DEP_1)
	v_fmac_f32_e32 v5, v8, v5
	v_div_scale_f32 v8, vcc_lo, 1.0, v3, 1.0
	v_mul_f32_e32 v9, v8, v5
	s_delay_alu instid0(VALU_DEP_1) | instskip(NEXT) | instid1(VALU_DEP_1)
	v_fma_f32 v10, v4, v9, v8
	v_fmac_f32_e32 v9, v10, v5
	s_delay_alu instid0(VALU_DEP_1) | instskip(NEXT) | instid1(VALU_DEP_1)
	v_dual_fmac_f32 v8, v4, v9 :: v_dual_mov_b32 v4, v1
	v_div_fmas_f32 v8, v8, v5, v9
	s_delay_alu instid0(VALU_DEP_2) | instskip(NEXT) | instid1(VALU_DEP_2)
	v_pk_fma_f32 v[4:5], v[2:3], v[0:1], v[4:5]
	v_div_fixup_f32 v5, v8, v3, 1.0
	s_delay_alu instid0(VALU_DEP_1) | instskip(NEXT) | instid1(VALU_DEP_1)
	v_dual_fma_f32 v3, v2, v1, -v0 :: v_dual_mov_b32 v2, v5
	v_pk_mul_f32 v[2:3], v[4:5], v[2:3]
.LBB167_139:                            ;   in Loop: Header=BB167_123 Depth=2
	s_and_not1_b32 vcc_lo, exec_lo, s30
	s_cbranch_vccnz .LBB167_141
; %bb.140:                              ;   in Loop: Header=BB167_123 Depth=2
	v_div_scale_f32 v2, null, v6, v6, v7
	v_div_scale_f32 v5, vcc_lo, v7, v6, v7
	s_delay_alu instid0(VALU_DEP_2)
	v_rcp_f32_e32 v3, v2
	v_nop
	v_xor_b32_e32 v2, 0x80000000, v2
	s_delay_alu instid0(TRANS32_DEP_1) | instid1(VALU_DEP_1)
	v_fma_f32 v4, v2, v3, 1.0
	s_delay_alu instid0(VALU_DEP_1) | instskip(NEXT) | instid1(VALU_DEP_1)
	v_fmac_f32_e32 v3, v4, v3
	v_mul_f32_e32 v4, v5, v3
	s_delay_alu instid0(VALU_DEP_1) | instskip(NEXT) | instid1(VALU_DEP_1)
	v_fma_f32 v8, v2, v4, v5
	v_fmac_f32_e32 v4, v8, v3
	s_delay_alu instid0(VALU_DEP_1) | instskip(NEXT) | instid1(VALU_DEP_1)
	v_fmac_f32_e32 v5, v2, v4
	v_div_fmas_f32 v2, v5, v3, v4
	s_delay_alu instid0(VALU_DEP_1) | instskip(NEXT) | instid1(VALU_DEP_1)
	v_div_fixup_f32 v2, v2, v6, v7
	v_fmac_f32_e32 v6, v7, v2
	s_delay_alu instid0(VALU_DEP_1) | instskip(SKIP_1) | instid1(VALU_DEP_2)
	v_div_scale_f32 v3, null, v6, v6, 1.0
	v_div_scale_f32 v7, vcc_lo, 1.0, v6, 1.0
	v_rcp_f32_e32 v4, v3
	v_nop
	v_xor_b32_e32 v3, 0x80000000, v3
	s_delay_alu instid0(TRANS32_DEP_1) | instid1(VALU_DEP_1)
	v_fma_f32 v5, v3, v4, 1.0
	s_delay_alu instid0(VALU_DEP_1) | instskip(NEXT) | instid1(VALU_DEP_1)
	v_fmac_f32_e32 v4, v5, v4
	v_mul_f32_e32 v5, v7, v4
	s_delay_alu instid0(VALU_DEP_1) | instskip(NEXT) | instid1(VALU_DEP_1)
	v_fma_f32 v8, v3, v5, v7
	v_fmac_f32_e32 v5, v8, v4
	s_delay_alu instid0(VALU_DEP_1) | instskip(NEXT) | instid1(VALU_DEP_1)
	v_fmac_f32_e32 v7, v3, v5
	v_div_fmas_f32 v3, v7, v4, v5
	s_delay_alu instid0(VALU_DEP_1) | instskip(SKIP_2) | instid1(VALU_DEP_3)
	v_pk_fma_f32 v[4:5], v[2:3], v[0:1], v[0:1] op_sel:[0,1,0] op_sel_hi:[0,0,1] neg_lo:[1,0,0] neg_hi:[1,0,0]
	v_pk_fma_f32 v[0:1], v[2:3], v[0:1], v[0:1] op_sel:[0,1,0] op_sel_hi:[1,0,1]
	v_div_fixup_f32 v2, v3, v6, 1.0
	v_mov_b32_e32 v1, v5
	s_delay_alu instid0(VALU_DEP_1)
	v_pk_mul_f32 v[2:3], v[0:1], v[2:3] op_sel_hi:[1,0]
.LBB167_141:                            ;   in Loop: Header=BB167_123 Depth=2
	s_add_co_i32 s30, s18, 4
	s_add_co_i32 s18, s18, 7
	s_addk_co_i32 s3, 0x380
	s_cmp_ge_i32 s18, s37
	ds_store_b64 v29, v[2:3] offset:672
	s_cbranch_scc1 .LBB167_143
; %bb.142:                              ;   in Loop: Header=BB167_123 Depth=2
	s_mov_b32 s18, s30
	s_branch .LBB167_123
.LBB167_143:                            ;   in Loop: Header=BB167_3 Depth=1
	s_cmp_ge_i32 s30, s37
	s_cbranch_scc1 .LBB167_152
; %bb.144:                              ;   in Loop: Header=BB167_3 Depth=1
	s_mul_i32 s3, s30, 0xe0
	s_branch .LBB167_146
.LBB167_145:                            ;   in Loop: Header=BB167_146 Depth=2
	s_add_co_i32 s30, s30, 1
	s_addk_co_i32 s3, 0xe0
	s_cmp_ge_i32 s30, s37
	ds_store_b64 v6, v[4:5]
	s_cbranch_scc1 .LBB167_152
.LBB167_146:                            ;   Parent Loop BB167_3 Depth=1
                                        ; =>  This Loop Header: Depth=2
                                        ;       Child Loop BB167_147 Depth 3
	v_mad_u32 v6, 0xe0, s30, v26
	v_mov_b32_e32 v2, v26
	s_cmp_eq_u32 s30, 0
	s_mov_b32 s18, s3
	s_mov_b32 s31, s30
	ds_load_b64 v[0:1], v6
	s_cbranch_scc1 .LBB167_148
.LBB167_147:                            ;   Parent Loop BB167_3 Depth=1
                                        ;     Parent Loop BB167_146 Depth=2
                                        ; =>    This Inner Loop Header: Depth=3
	v_mov_b32_e32 v3, s18
	s_add_co_i32 s31, s31, -1
	s_add_co_i32 s18, s18, 8
	s_cmp_eq_u32 s31, 0
	ds_load_b64 v[4:5], v2
	ds_load_b64 v[8:9], v3
	v_add_nc_u32_e32 v2, 0xe0, v2
	s_wait_dscnt 0x0
	v_pk_mul_f32 v[10:11], v[8:9], v[4:5] op_sel:[1,1] op_sel_hi:[0,1]
	s_delay_alu instid0(VALU_DEP_1) | instskip(SKIP_1) | instid1(VALU_DEP_2)
	v_pk_fma_f32 v[24:25], v[8:9], v[4:5], v[10:11] op_sel_hi:[1,0,1]
	v_pk_fma_f32 v[4:5], v[8:9], v[4:5], v[10:11] op_sel_hi:[1,0,1] neg_lo:[0,0,1] neg_hi:[0,0,1]
	v_mov_b32_e32 v5, v25
	s_delay_alu instid0(VALU_DEP_1)
	v_pk_add_f32 v[0:1], v[0:1], v[4:5] neg_lo:[0,1] neg_hi:[0,1]
	s_cbranch_scc0 .LBB167_147
.LBB167_148:                            ;   in Loop: Header=BB167_146 Depth=2
	s_mul_i32 s18, s30, 0xe8
	s_delay_alu instid0(SALU_CYCLE_1)
	v_mov_b32_e32 v2, s18
	s_mov_b32 s18, -1
	ds_load_b64 v[2:3], v2
	s_wait_dscnt 0x0
	v_and_b32_e32 v4, 0x7fffffff, v2
	v_and_b32_e32 v5, 0x7fffffff, v3
	s_delay_alu instid0(VALU_DEP_1)
	v_cmp_ngt_f32_e32 vcc_lo, v4, v5
                                        ; implicit-def: $vgpr4_vgpr5
	s_cbranch_vccz .LBB167_150
; %bb.149:                              ;   in Loop: Header=BB167_146 Depth=2
	v_div_scale_f32 v4, null, v3, v3, v2
	v_div_scale_f32 v8, vcc_lo, v2, v3, v2
	s_mov_b32 s18, 0
	v_rcp_f32_e32 v5, v4
	v_nop
	v_xor_b32_e32 v4, 0x80000000, v4
	s_delay_alu instid0(TRANS32_DEP_1) | instid1(VALU_DEP_1)
	v_fma_f32 v7, v4, v5, 1.0
	s_delay_alu instid0(VALU_DEP_1) | instskip(NEXT) | instid1(VALU_DEP_1)
	v_fmac_f32_e32 v5, v7, v5
	v_mul_f32_e32 v7, v8, v5
	s_delay_alu instid0(VALU_DEP_1) | instskip(NEXT) | instid1(VALU_DEP_1)
	v_fma_f32 v9, v4, v7, v8
	v_fmac_f32_e32 v7, v9, v5
	s_delay_alu instid0(VALU_DEP_1) | instskip(NEXT) | instid1(VALU_DEP_1)
	v_fmac_f32_e32 v8, v4, v7
	v_div_fmas_f32 v4, v8, v5, v7
	s_delay_alu instid0(VALU_DEP_1) | instskip(NEXT) | instid1(VALU_DEP_1)
	v_div_fixup_f32 v4, v4, v3, v2
	v_fma_f32 v7, v2, v4, v3
	s_delay_alu instid0(VALU_DEP_1) | instskip(SKIP_1) | instid1(VALU_DEP_2)
	v_div_scale_f32 v5, null, v7, v7, 1.0
	v_div_scale_f32 v10, vcc_lo, 1.0, v7, 1.0
	v_rcp_f32_e32 v8, v5
	v_nop
	v_xor_b32_e32 v5, 0x80000000, v5
	s_delay_alu instid0(TRANS32_DEP_1) | instid1(VALU_DEP_1)
	v_fma_f32 v9, v5, v8, 1.0
	s_delay_alu instid0(VALU_DEP_1) | instskip(NEXT) | instid1(VALU_DEP_1)
	v_fmac_f32_e32 v8, v9, v8
	v_mul_f32_e32 v9, v10, v8
	s_delay_alu instid0(VALU_DEP_1) | instskip(NEXT) | instid1(VALU_DEP_1)
	v_fma_f32 v11, v5, v9, v10
	v_fmac_f32_e32 v9, v11, v8
	s_delay_alu instid0(VALU_DEP_1) | instskip(NEXT) | instid1(VALU_DEP_1)
	v_fmac_f32_e32 v10, v5, v9
	v_div_fmas_f32 v10, v10, v8, v9
	v_pk_fma_f32 v[8:9], v[0:1], v[4:5], v[0:1] op_sel:[0,0,1] op_sel_hi:[1,0,0] neg_lo:[0,0,1] neg_hi:[0,0,1]
	v_pk_fma_f32 v[4:5], v[0:1], v[4:5], v[0:1] op_sel:[0,0,1] op_sel_hi:[1,0,0]
	s_delay_alu instid0(VALU_DEP_3) | instskip(NEXT) | instid1(VALU_DEP_3)
	v_div_fixup_f32 v8, v10, v7, 1.0
	v_mov_b32_e32 v5, v9
	s_delay_alu instid0(VALU_DEP_1)
	v_pk_mul_f32 v[4:5], v[4:5], v[8:9] op_sel_hi:[1,0]
.LBB167_150:                            ;   in Loop: Header=BB167_146 Depth=2
	s_and_not1_b32 vcc_lo, exec_lo, s18
	s_cbranch_vccnz .LBB167_145
; %bb.151:                              ;   in Loop: Header=BB167_146 Depth=2
	v_div_scale_f32 v4, null, v2, v2, v3
	v_div_scale_f32 v8, vcc_lo, v3, v2, v3
	s_delay_alu instid0(VALU_DEP_2)
	v_rcp_f32_e32 v5, v4
	v_nop
	v_xor_b32_e32 v4, 0x80000000, v4
	s_delay_alu instid0(TRANS32_DEP_1) | instid1(VALU_DEP_1)
	v_fma_f32 v7, v4, v5, 1.0
	s_delay_alu instid0(VALU_DEP_1) | instskip(NEXT) | instid1(VALU_DEP_1)
	v_fmac_f32_e32 v5, v7, v5
	v_mul_f32_e32 v7, v8, v5
	s_delay_alu instid0(VALU_DEP_1) | instskip(NEXT) | instid1(VALU_DEP_1)
	v_fma_f32 v9, v4, v7, v8
	v_fmac_f32_e32 v7, v9, v5
	s_delay_alu instid0(VALU_DEP_1) | instskip(NEXT) | instid1(VALU_DEP_1)
	v_fmac_f32_e32 v8, v4, v7
	v_div_fmas_f32 v4, v8, v5, v7
	s_delay_alu instid0(VALU_DEP_1) | instskip(NEXT) | instid1(VALU_DEP_1)
	v_div_fixup_f32 v4, v4, v2, v3
	v_fmac_f32_e32 v2, v3, v4
	s_delay_alu instid0(VALU_DEP_1) | instskip(SKIP_1) | instid1(VALU_DEP_2)
	v_div_scale_f32 v3, null, v2, v2, 1.0
	v_div_scale_f32 v8, vcc_lo, 1.0, v2, 1.0
	v_rcp_f32_e32 v5, v3
	v_nop
	v_xor_b32_e32 v3, 0x80000000, v3
	s_delay_alu instid0(TRANS32_DEP_1) | instid1(VALU_DEP_1)
	v_fma_f32 v7, v3, v5, 1.0
	s_delay_alu instid0(VALU_DEP_1) | instskip(NEXT) | instid1(VALU_DEP_1)
	v_fmac_f32_e32 v5, v7, v5
	v_mul_f32_e32 v7, v8, v5
	s_delay_alu instid0(VALU_DEP_1) | instskip(NEXT) | instid1(VALU_DEP_1)
	v_fma_f32 v9, v3, v7, v8
	v_fmac_f32_e32 v7, v9, v5
	s_delay_alu instid0(VALU_DEP_1) | instskip(NEXT) | instid1(VALU_DEP_1)
	v_fmac_f32_e32 v8, v3, v7
	v_div_fmas_f32 v3, v8, v5, v7
	v_pk_fma_f32 v[8:9], v[0:1], v[4:5], v[0:1] op_sel:[1,0,0] op_sel_hi:[0,0,1] neg_lo:[1,0,0] neg_hi:[1,0,0]
	v_pk_fma_f32 v[0:1], v[0:1], v[4:5], v[0:1] op_sel:[1,0,0] op_sel_hi:[0,0,1]
	s_delay_alu instid0(VALU_DEP_3) | instskip(NEXT) | instid1(VALU_DEP_3)
	v_div_fixup_f32 v2, v3, v2, 1.0
	v_mov_b32_e32 v1, v9
	s_delay_alu instid0(VALU_DEP_1)
	v_pk_mul_f32 v[4:5], v[0:1], v[2:3] op_sel_hi:[1,0]
	s_branch .LBB167_145
.LBB167_152:                            ;   in Loop: Header=BB167_3 Depth=1
	s_and_saveexec_b32 s3, s43
	s_cbranch_execz .LBB167_2
; %bb.153:                              ;   in Loop: Header=BB167_3 Depth=1
	v_add_nc_u64_e32 v[0:1], s[28:29], v[16:17]
	v_mov_b32_e32 v2, v26
	s_mov_b32 s18, s16
.LBB167_154:                            ;   Parent Loop BB167_3 Depth=1
                                        ; =>  This Inner Loop Header: Depth=2
	ds_load_b64 v[4:5], v2
	v_add_nc_u32_e32 v2, 0xe0, v2
	s_add_co_i32 s18, s18, -1
	s_delay_alu instid0(SALU_CYCLE_1)
	s_cmp_lg_u32 s18, 0
	s_wait_dscnt 0x0
	global_store_b64 v[0:1], v[4:5], off
	s_wait_xcnt 0x0
	v_add_nc_u64_e32 v[0:1], s[10:11], v[0:1]
	s_cbranch_scc1 .LBB167_154
	s_branch .LBB167_2
.LBB167_155:
	s_endpgm
	.section	.rodata,"a",@progbits
	.p2align	6, 0x0
	.amdhsa_kernel _ZL31rocblas_trsm_small_right_deviceI19rocblas_complex_numIfES1_PKS1_PS1_Li28EEv13rocblas_fill_18rocblas_operation_17rocblas_diagonal_iiT0_T1_lilT2_lili
		.amdhsa_group_segment_fixed_size 12544
		.amdhsa_private_segment_fixed_size 0
		.amdhsa_kernarg_size 360
		.amdhsa_user_sgpr_count 2
		.amdhsa_user_sgpr_dispatch_ptr 0
		.amdhsa_user_sgpr_queue_ptr 0
		.amdhsa_user_sgpr_kernarg_segment_ptr 1
		.amdhsa_user_sgpr_dispatch_id 0
		.amdhsa_user_sgpr_kernarg_preload_length 0
		.amdhsa_user_sgpr_kernarg_preload_offset 0
		.amdhsa_user_sgpr_private_segment_size 0
		.amdhsa_wavefront_size32 1
		.amdhsa_uses_dynamic_stack 0
		.amdhsa_enable_private_segment 0
		.amdhsa_system_sgpr_workgroup_id_x 1
		.amdhsa_system_sgpr_workgroup_id_y 0
		.amdhsa_system_sgpr_workgroup_id_z 1
		.amdhsa_system_sgpr_workgroup_info 0
		.amdhsa_system_vgpr_workitem_id 0
		.amdhsa_next_free_vgpr 129
		.amdhsa_next_free_sgpr 53
		.amdhsa_named_barrier_count 0
		.amdhsa_reserve_vcc 1
		.amdhsa_float_round_mode_32 0
		.amdhsa_float_round_mode_16_64 0
		.amdhsa_float_denorm_mode_32 3
		.amdhsa_float_denorm_mode_16_64 3
		.amdhsa_fp16_overflow 0
		.amdhsa_memory_ordered 1
		.amdhsa_forward_progress 1
		.amdhsa_inst_pref_size 126
		.amdhsa_round_robin_scheduling 0
		.amdhsa_exception_fp_ieee_invalid_op 0
		.amdhsa_exception_fp_denorm_src 0
		.amdhsa_exception_fp_ieee_div_zero 0
		.amdhsa_exception_fp_ieee_overflow 0
		.amdhsa_exception_fp_ieee_underflow 0
		.amdhsa_exception_fp_ieee_inexact 0
		.amdhsa_exception_int_div_zero 0
	.end_amdhsa_kernel
	.section	.text._ZL31rocblas_trsm_small_right_deviceI19rocblas_complex_numIfES1_PKS1_PS1_Li28EEv13rocblas_fill_18rocblas_operation_17rocblas_diagonal_iiT0_T1_lilT2_lili,"axG",@progbits,_ZL31rocblas_trsm_small_right_deviceI19rocblas_complex_numIfES1_PKS1_PS1_Li28EEv13rocblas_fill_18rocblas_operation_17rocblas_diagonal_iiT0_T1_lilT2_lili,comdat
.Lfunc_end167:
	.size	_ZL31rocblas_trsm_small_right_deviceI19rocblas_complex_numIfES1_PKS1_PS1_Li28EEv13rocblas_fill_18rocblas_operation_17rocblas_diagonal_iiT0_T1_lilT2_lili, .Lfunc_end167-_ZL31rocblas_trsm_small_right_deviceI19rocblas_complex_numIfES1_PKS1_PS1_Li28EEv13rocblas_fill_18rocblas_operation_17rocblas_diagonal_iiT0_T1_lilT2_lili
                                        ; -- End function
	.set _ZL31rocblas_trsm_small_right_deviceI19rocblas_complex_numIfES1_PKS1_PS1_Li28EEv13rocblas_fill_18rocblas_operation_17rocblas_diagonal_iiT0_T1_lilT2_lili.num_vgpr, 46
	.set _ZL31rocblas_trsm_small_right_deviceI19rocblas_complex_numIfES1_PKS1_PS1_Li28EEv13rocblas_fill_18rocblas_operation_17rocblas_diagonal_iiT0_T1_lilT2_lili.num_agpr, 0
	.set _ZL31rocblas_trsm_small_right_deviceI19rocblas_complex_numIfES1_PKS1_PS1_Li28EEv13rocblas_fill_18rocblas_operation_17rocblas_diagonal_iiT0_T1_lilT2_lili.numbered_sgpr, 53
	.set _ZL31rocblas_trsm_small_right_deviceI19rocblas_complex_numIfES1_PKS1_PS1_Li28EEv13rocblas_fill_18rocblas_operation_17rocblas_diagonal_iiT0_T1_lilT2_lili.num_named_barrier, 0
	.set _ZL31rocblas_trsm_small_right_deviceI19rocblas_complex_numIfES1_PKS1_PS1_Li28EEv13rocblas_fill_18rocblas_operation_17rocblas_diagonal_iiT0_T1_lilT2_lili.private_seg_size, 0
	.set _ZL31rocblas_trsm_small_right_deviceI19rocblas_complex_numIfES1_PKS1_PS1_Li28EEv13rocblas_fill_18rocblas_operation_17rocblas_diagonal_iiT0_T1_lilT2_lili.uses_vcc, 1
	.set _ZL31rocblas_trsm_small_right_deviceI19rocblas_complex_numIfES1_PKS1_PS1_Li28EEv13rocblas_fill_18rocblas_operation_17rocblas_diagonal_iiT0_T1_lilT2_lili.uses_flat_scratch, 0
	.set _ZL31rocblas_trsm_small_right_deviceI19rocblas_complex_numIfES1_PKS1_PS1_Li28EEv13rocblas_fill_18rocblas_operation_17rocblas_diagonal_iiT0_T1_lilT2_lili.has_dyn_sized_stack, 0
	.set _ZL31rocblas_trsm_small_right_deviceI19rocblas_complex_numIfES1_PKS1_PS1_Li28EEv13rocblas_fill_18rocblas_operation_17rocblas_diagonal_iiT0_T1_lilT2_lili.has_recursion, 0
	.set _ZL31rocblas_trsm_small_right_deviceI19rocblas_complex_numIfES1_PKS1_PS1_Li28EEv13rocblas_fill_18rocblas_operation_17rocblas_diagonal_iiT0_T1_lilT2_lili.has_indirect_call, 0
	.section	.AMDGPU.csdata,"",@progbits
; Kernel info:
; codeLenInByte = 16096
; TotalNumSgprs: 55
; NumVgprs: 46
; ScratchSize: 0
; MemoryBound: 0
; FloatMode: 240
; IeeeMode: 1
; LDSByteSize: 12544 bytes/workgroup (compile time only)
; SGPRBlocks: 0
; VGPRBlocks: 8
; NumSGPRsForWavesPerEU: 55
; NumVGPRsForWavesPerEU: 129
; NamedBarCnt: 0
; Occupancy: 7
; WaveLimiterHint : 0
; COMPUTE_PGM_RSRC2:SCRATCH_EN: 0
; COMPUTE_PGM_RSRC2:USER_SGPR: 2
; COMPUTE_PGM_RSRC2:TRAP_HANDLER: 0
; COMPUTE_PGM_RSRC2:TGID_X_EN: 1
; COMPUTE_PGM_RSRC2:TGID_Y_EN: 0
; COMPUTE_PGM_RSRC2:TGID_Z_EN: 1
; COMPUTE_PGM_RSRC2:TIDIG_COMP_CNT: 0
	.section	.text._ZL38rocblas_trsm_small_left_device_sharedBILi32ELi32ELb0E19rocblas_complex_numIfES1_PKS1_PS1_Ev13rocblas_fill_18rocblas_operation_17rocblas_diagonal_iiT3_T4_lilT5_lili,"axG",@progbits,_ZL38rocblas_trsm_small_left_device_sharedBILi32ELi32ELb0E19rocblas_complex_numIfES1_PKS1_PS1_Ev13rocblas_fill_18rocblas_operation_17rocblas_diagonal_iiT3_T4_lilT5_lili,comdat
	.globl	_ZL38rocblas_trsm_small_left_device_sharedBILi32ELi32ELb0E19rocblas_complex_numIfES1_PKS1_PS1_Ev13rocblas_fill_18rocblas_operation_17rocblas_diagonal_iiT3_T4_lilT5_lili ; -- Begin function _ZL38rocblas_trsm_small_left_device_sharedBILi32ELi32ELb0E19rocblas_complex_numIfES1_PKS1_PS1_Ev13rocblas_fill_18rocblas_operation_17rocblas_diagonal_iiT3_T4_lilT5_lili
	.p2align	8
	.type	_ZL38rocblas_trsm_small_left_device_sharedBILi32ELi32ELb0E19rocblas_complex_numIfES1_PKS1_PS1_Ev13rocblas_fill_18rocblas_operation_17rocblas_diagonal_iiT3_T4_lilT5_lili,@function
_ZL38rocblas_trsm_small_left_device_sharedBILi32ELi32ELb0E19rocblas_complex_numIfES1_PKS1_PS1_Ev13rocblas_fill_18rocblas_operation_17rocblas_diagonal_iiT3_T4_lilT5_lili: ; @_ZL38rocblas_trsm_small_left_device_sharedBILi32ELi32ELb0E19rocblas_complex_numIfES1_PKS1_PS1_Ev13rocblas_fill_18rocblas_operation_17rocblas_diagonal_iiT3_T4_lilT5_lili
; %bb.0:
	s_load_b32 s30, s[0:1], 0x60
	s_bfe_u32 s2, ttmp6, 0x40014
	s_lshr_b32 s4, ttmp7, 16
	s_add_co_i32 s2, s2, 1
	s_bfe_u32 s5, ttmp6, 0x40008
	s_mul_i32 s2, s4, s2
	s_getreg_b32 s3, hwreg(HW_REG_IB_STS2, 6, 4)
	s_add_co_i32 s5, s5, s2
	s_cmp_eq_u32 s3, 0
	s_mov_b32 s15, 0
	s_cselect_b32 s2, s4, s5
	s_wait_kmcnt 0x0
	s_cmp_ge_u32 s2, s30
	s_cbranch_scc1 .LBB168_86
; %bb.1:
	s_clause 0x4
	s_load_b32 s20, s[0:1], 0x30
	s_load_b96 s[12:14], s[0:1], 0x48
	s_load_b128 s[8:11], s[0:1], 0x4
	s_load_b32 s4, s[0:1], 0x68
	s_load_b64 s[16:17], s[0:1], 0x14
	v_dual_mov_b32 v1, 0 :: v_dual_lshlrev_b32 v2, 3, v0
	v_mov_b64_e32 v[8:9], 0xbf80000000000000
	v_mov_b64_e32 v[12:13], 0x3f800000
	s_load_b128 s[24:27], s[0:1], 0x20
	s_delay_alu instid0(VALU_DEP_3) | instskip(SKIP_1) | instid1(VALU_DEP_1)
	v_or_b32_e32 v22, 0x2000, v2
	v_dual_lshlrev_b32 v11, 8, v0 :: v_dual_mov_b32 v3, v1
	v_add_nc_u32_e32 v23, v2, v11
	s_wait_kmcnt 0x0
	s_ashr_i32 s21, s20, 31
	s_ashr_i32 s19, s14, 31
	s_cmp_lg_u32 s8, 0x71
	s_mov_b32 s18, s14
	s_cselect_b32 s31, -1, 0
	s_bfe_u32 s5, ttmp6, 0x4000c
	s_min_i32 s33, s10, 32
	s_add_co_i32 s5, s5, 1
	s_and_b32 s6, ttmp6, 15
	s_mul_i32 s5, ttmp9, s5
	s_lshl_b64 s[12:13], s[12:13], 3
	s_add_co_i32 s4, s4, -1
	s_add_co_i32 s34, s33, -1
	s_add_co_i32 s6, s6, s5
	s_cmp_eq_u32 s3, 0
	v_mul_u64_e32 v[6:7], s[18:19], v[0:1]
	s_cselect_b32 s3, ttmp9, s6
	s_delay_alu instid0(SALU_CYCLE_1) | instskip(NEXT) | instid1(SALU_CYCLE_1)
	s_lshl_b32 s22, s3, 5
	s_sub_co_i32 s5, s11, s22
	s_cmp_ge_u32 s3, s4
	s_mov_b32 s11, s17
	s_cselect_b32 s3, s5, 32
	s_ashr_i32 s23, s22, 31
	v_cmp_gt_i32_e32 vcc_lo, s3, v0
	s_mul_u64 s[4:5], s[18:19], s[22:23]
	s_delay_alu instid0(SALU_CYCLE_1)
	s_lshl_b64 s[28:29], s[4:5], 3
	s_load_b128 s[4:7], s[0:1], 0x38
	s_cmp_lg_u32 s9, 0x84
	s_cselect_b32 s35, -1, 0
	s_cmp_gt_i32 s10, 0
	s_cselect_b32 s3, -1, 0
	s_cmp_lg_u32 s8, 0x6f
	s_cselect_b32 s36, -1, 0
	s_and_b32 s37, vcc_lo, s3
	s_cmp_gt_i32 s10, 1
	s_mov_b32 s10, s17
	s_cselect_b32 s38, -1, 0
	s_and_b32 s39, s33, 62
	s_delay_alu instid0(SALU_CYCLE_1)
	s_cmp_lg_u32 s33, s39
	s_cselect_b32 s40, -1, 0
	s_lshl_b64 s[8:9], s[22:23], 3
	s_wait_kmcnt 0x0
	s_add_nc_u64 s[22:23], s[6:7], s[12:13]
	v_or_b32_e32 v10, s8, v2
	s_load_b64 s[6:7], s[0:1], 0x58
	s_wait_xcnt 0x0
	s_lshl_b64 s[0:1], s[26:27], 3
	s_lshl_b32 s41, s33, 8
	s_add_nc_u64 s[0:1], s[24:25], s[0:1]
	v_mad_nc_u64_u32 v[4:5], v10, s14, s[22:23]
	s_mov_b32 s8, s16
	s_mov_b32 s12, s17
	;; [unrolled: 1-line block ×3, first 2 shown]
	s_lshl_b64 s[4:5], s[4:5], 3
	s_lshl_b64 s[20:21], s[20:21], 3
	s_addk_co_i32 s41, 0xff00
	s_get_pc_i64 s[24:25]
	s_add_nc_u64 s[24:25], s[24:25], __const._ZL38rocblas_trsm_small_left_device_sharedBILi32ELi32ELb0E19rocblas_complex_numIfES1_PKS1_PS1_Ev13rocblas_fill_18rocblas_operation_17rocblas_diagonal_iiT3_T4_lilT5_lili.step_sizes@rel64+4
	s_delay_alu instid0(VALU_DEP_1) | instskip(SKIP_1) | instid1(VALU_DEP_1)
	v_mad_u32 v5, s9, s14, v5
	s_mov_b32 s9, s16
	v_mad_u32 v5, v10, s19, v5
	v_add_nc_u64_e32 v[10:11], s[0:1], v[2:3]
	v_cmp_gt_i32_e64 s0, s33, v0
	s_add_nc_u64 s[18:19], s[22:23], s[28:29]
	s_wait_kmcnt 0x0
	s_lshl_b64 s[22:23], s[6:7], 3
	s_or_b32 s1, 0, 8
	v_add_nc_u64_e32 v[0:1], 4, v[10:11]
	v_add_nc_u64_e32 v[10:11], 4, v[4:5]
	s_branch .LBB168_3
.LBB168_2:                              ;   in Loop: Header=BB168_3 Depth=1
	s_or_b32 exec_lo, exec_lo, s3
	s_add_co_i32 s2, s2, 0x10000
	s_delay_alu instid0(SALU_CYCLE_1)
	s_cmp_lt_u32 s2, s30
	s_cbranch_scc0 .LBB168_86
.LBB168_3:                              ; =>This Loop Header: Depth=1
                                        ;     Child Loop BB168_6 Depth 2
                                        ;     Child Loop BB168_21 Depth 2
	;; [unrolled: 1-line block ×4, first 2 shown]
                                        ;       Child Loop BB168_32 Depth 3
                                        ;         Child Loop BB168_33 Depth 4
                                        ;         Child Loop BB168_37 Depth 4
                                        ;           Child Loop BB168_39 Depth 5
                                        ;           Child Loop BB168_45 Depth 5
                                        ;         Child Loop BB168_48 Depth 4
                                        ;           Child Loop BB168_50 Depth 5
                                        ;     Child Loop BB168_58 Depth 2
                                        ;       Child Loop BB168_61 Depth 3
                                        ;         Child Loop BB168_62 Depth 4
                                        ;         Child Loop BB168_66 Depth 4
                                        ;           Child Loop BB168_68 Depth 5
                                        ;           Child Loop BB168_74 Depth 5
                                        ;         Child Loop BB168_77 Depth 4
                                        ;           Child Loop BB168_79 Depth 5
                                        ;     Child Loop BB168_85 Depth 2
	s_mov_b32 s3, s15
	s_and_saveexec_b32 s14, s0
	s_cbranch_execz .LBB168_18
; %bb.4:                                ;   in Loop: Header=BB168_3 Depth=1
	s_delay_alu instid0(VALU_DEP_2) | instskip(SKIP_2) | instid1(VALU_DEP_2)
	v_mad_nc_u64_u32 v[14:15], s4, s2, v[0:1]
	v_mov_b32_e32 v3, v2
	s_mov_b32 s26, s33
	v_mad_u32 v15, s5, s2, v15
	s_branch .LBB168_6
.LBB168_5:                              ;   in Loop: Header=BB168_6 Depth=2
	global_load_b32 v16, v[14:15], off offset:-4
	s_wait_xcnt 0x0
	v_add_nc_u64_e32 v[14:15], s[20:21], v[14:15]
	s_add_co_i32 s26, s26, -1
	s_delay_alu instid0(SALU_CYCLE_1)
	s_cmp_eq_u32 s26, 0
	s_wait_loadcnt 0x0
	ds_store_b64 v3, v[16:17]
	v_add_nc_u32_e32 v3, 0x100, v3
	s_cbranch_scc1 .LBB168_10
.LBB168_6:                              ;   Parent Loop BB168_3 Depth=1
                                        ; =>  This Inner Loop Header: Depth=2
	s_and_b32 vcc_lo, exec_lo, s31
	s_mov_b32 s27, -1
                                        ; implicit-def: $vgpr17
	s_cbranch_vccz .LBB168_8
; %bb.7:                                ;   in Loop: Header=BB168_6 Depth=2
	global_load_b32 v17, v[14:15], off
	s_mov_b32 s27, 0
.LBB168_8:                              ;   in Loop: Header=BB168_6 Depth=2
	s_delay_alu instid0(SALU_CYCLE_1)
	s_and_not1_b32 vcc_lo, exec_lo, s27
	s_cbranch_vccnz .LBB168_5
; %bb.9:                                ;   in Loop: Header=BB168_6 Depth=2
	global_load_b32 v16, v[14:15], off
	s_wait_loadcnt 0x0
	v_xor_b32_e32 v17, 0x80000000, v16
	s_branch .LBB168_5
.LBB168_10:                             ;   in Loop: Header=BB168_3 Depth=1
	s_and_b32 vcc_lo, exec_lo, s35
	s_mov_b32 s26, -1
	s_cbranch_vccz .LBB168_16
; %bb.11:                               ;   in Loop: Header=BB168_3 Depth=1
	ds_load_b64 v[14:15], v23
                                        ; implicit-def: $vgpr16_vgpr17
	s_wait_dscnt 0x0
	v_cmp_ngt_f32_e64 s26, |v14|, |v15|
	s_and_saveexec_b32 s27, s26
	s_delay_alu instid0(SALU_CYCLE_1)
	s_xor_b32 s26, exec_lo, s27
	s_cbranch_execz .LBB168_13
; %bb.12:                               ;   in Loop: Header=BB168_3 Depth=1
	v_div_scale_f32 v3, null, v15, v15, v14
	v_div_scale_f32 v18, vcc_lo, v14, v15, v14
	s_delay_alu instid0(VALU_DEP_2) | instskip(SKIP_1) | instid1(TRANS32_DEP_1)
	v_rcp_f32_e32 v16, v3
	v_nop
	v_fma_f32 v17, -v3, v16, 1.0
	s_delay_alu instid0(VALU_DEP_1) | instskip(NEXT) | instid1(VALU_DEP_1)
	v_fmac_f32_e32 v16, v17, v16
	v_mul_f32_e32 v17, v18, v16
	s_delay_alu instid0(VALU_DEP_1) | instskip(NEXT) | instid1(VALU_DEP_1)
	v_fma_f32 v19, -v3, v17, v18
	v_fmac_f32_e32 v17, v19, v16
	s_delay_alu instid0(VALU_DEP_1) | instskip(NEXT) | instid1(VALU_DEP_1)
	v_fma_f32 v3, -v3, v17, v18
	v_div_fmas_f32 v3, v3, v16, v17
	s_delay_alu instid0(VALU_DEP_1) | instskip(NEXT) | instid1(VALU_DEP_1)
	v_div_fixup_f32 v16, v3, v15, v14
	v_fmac_f32_e32 v15, v14, v16
	s_delay_alu instid0(VALU_DEP_1) | instskip(SKIP_1) | instid1(VALU_DEP_2)
	v_div_scale_f32 v3, null, v15, v15, 1.0
	v_div_scale_f32 v18, vcc_lo, 1.0, v15, 1.0
	v_rcp_f32_e32 v14, v3
	v_nop
	s_delay_alu instid0(TRANS32_DEP_1) | instskip(NEXT) | instid1(VALU_DEP_1)
	v_fma_f32 v17, -v3, v14, 1.0
	v_fmac_f32_e32 v14, v17, v14
	s_delay_alu instid0(VALU_DEP_1) | instskip(NEXT) | instid1(VALU_DEP_1)
	v_mul_f32_e32 v17, v18, v14
	v_fma_f32 v19, -v3, v17, v18
	s_delay_alu instid0(VALU_DEP_1) | instskip(NEXT) | instid1(VALU_DEP_1)
	v_fmac_f32_e32 v17, v19, v14
	v_fma_f32 v3, -v3, v17, v18
	s_delay_alu instid0(VALU_DEP_1) | instskip(SKIP_1) | instid1(VALU_DEP_2)
	v_div_fmas_f32 v3, v3, v14, v17
	v_mul_f32_e32 v17, 0, v16
	v_div_fixup_f32 v14, v3, v15, 1.0
	s_delay_alu instid0(VALU_DEP_2) | instskip(NEXT) | instid1(VALU_DEP_1)
	v_pk_add_f32 v[16:17], v[16:17], v[8:9]
	v_pk_mul_f32 v[16:17], v[16:17], v[14:15] op_sel_hi:[1,0]
                                        ; implicit-def: $vgpr14_vgpr15
.LBB168_13:                             ;   in Loop: Header=BB168_3 Depth=1
	s_and_not1_saveexec_b32 s26, s26
	s_cbranch_execz .LBB168_15
; %bb.14:                               ;   in Loop: Header=BB168_3 Depth=1
	v_div_scale_f32 v3, null, v14, v14, v15
	v_div_scale_f32 v18, vcc_lo, v15, v14, v15
	s_delay_alu instid0(VALU_DEP_2) | instskip(SKIP_1) | instid1(TRANS32_DEP_1)
	v_rcp_f32_e32 v16, v3
	v_nop
	v_fma_f32 v17, -v3, v16, 1.0
	s_delay_alu instid0(VALU_DEP_1) | instskip(NEXT) | instid1(VALU_DEP_1)
	v_fmac_f32_e32 v16, v17, v16
	v_mul_f32_e32 v17, v18, v16
	s_delay_alu instid0(VALU_DEP_1) | instskip(NEXT) | instid1(VALU_DEP_1)
	v_fma_f32 v19, -v3, v17, v18
	v_fmac_f32_e32 v17, v19, v16
	s_delay_alu instid0(VALU_DEP_1) | instskip(NEXT) | instid1(VALU_DEP_1)
	v_fma_f32 v3, -v3, v17, v18
	v_div_fmas_f32 v3, v3, v16, v17
	s_delay_alu instid0(VALU_DEP_1) | instskip(NEXT) | instid1(VALU_DEP_1)
	v_div_fixup_f32 v3, v3, v14, v15
	v_fmac_f32_e32 v14, v15, v3
	s_delay_alu instid0(VALU_DEP_1) | instskip(SKIP_1) | instid1(VALU_DEP_2)
	v_div_scale_f32 v15, null, v14, v14, 1.0
	v_div_scale_f32 v18, vcc_lo, 1.0, v14, 1.0
	v_rcp_f32_e32 v16, v15
	v_nop
	s_delay_alu instid0(TRANS32_DEP_1) | instskip(NEXT) | instid1(VALU_DEP_1)
	v_fma_f32 v17, -v15, v16, 1.0
	v_fmac_f32_e32 v16, v17, v16
	s_delay_alu instid0(VALU_DEP_1) | instskip(NEXT) | instid1(VALU_DEP_1)
	v_mul_f32_e32 v17, v18, v16
	v_fma_f32 v19, -v15, v17, v18
	s_delay_alu instid0(VALU_DEP_1) | instskip(NEXT) | instid1(VALU_DEP_1)
	v_fmac_f32_e32 v17, v19, v16
	v_dual_fma_f32 v15, -v15, v17, v18 :: v_dual_mul_f32 v18, 0, v3
	s_delay_alu instid0(VALU_DEP_1) | instskip(NEXT) | instid1(VALU_DEP_2)
	v_div_fmas_f32 v15, v15, v16, v17
	v_dual_add_f32 v16, 1.0, v18 :: v_dual_sub_f32 v17, 0, v3
	s_delay_alu instid0(VALU_DEP_2) | instskip(NEXT) | instid1(VALU_DEP_1)
	v_div_fixup_f32 v14, v15, v14, 1.0
	v_pk_mul_f32 v[16:17], v[16:17], v[14:15] op_sel_hi:[1,0]
.LBB168_15:                             ;   in Loop: Header=BB168_3 Depth=1
	s_or_b32 exec_lo, exec_lo, s26
	s_mov_b32 s26, 0
	ds_store_b64 v23, v[16:17]
.LBB168_16:                             ;   in Loop: Header=BB168_3 Depth=1
	s_and_b32 vcc_lo, exec_lo, s26
	s_cbranch_vccz .LBB168_18
; %bb.17:                               ;   in Loop: Header=BB168_3 Depth=1
	ds_store_b64 v23, v[12:13]
.LBB168_18:                             ;   in Loop: Header=BB168_3 Depth=1
	s_or_b32 exec_lo, exec_lo, s14
	s_mul_u64 s[26:27], s[22:23], s[2:3]
	s_and_saveexec_b32 s42, s37
	s_cbranch_execz .LBB168_26
; %bb.19:                               ;   in Loop: Header=BB168_3 Depth=1
	s_and_not1_b32 vcc_lo, exec_lo, s38
	s_cbranch_vccnz .LBB168_23
; %bb.20:                               ;   in Loop: Header=BB168_3 Depth=1
	s_mul_u64 s[28:29], s[6:7], s[2:3]
	s_mov_b32 s14, 0
	s_lshl_b64 s[28:29], s[28:29], 3
	s_mov_b32 s3, s39
	s_add_nc_u64 s[28:29], s[18:19], s[28:29]
	s_delay_alu instid0(SALU_CYCLE_1)
	v_lshl_add_u64 v[14:15], v[6:7], 3, s[28:29]
	s_mov_b32 s28, 1
.LBB168_21:                             ;   Parent Loop BB168_3 Depth=1
                                        ; =>  This Inner Loop Header: Depth=2
	s_mov_b32 s29, s15
	s_delay_alu instid0(VALU_DEP_1)
	v_lshl_add_u64 v[16:17], s[14:15], 3, v[14:15]
	v_lshl_add_u64 v[18:19], s[28:29], 3, v[14:15]
	v_lshl_add_u32 v3, s14, 8, v22
	v_lshl_add_u32 v28, s28, 8, v22
	s_add_co_i32 s3, s3, -2
	s_clause 0x1
	global_load_b64 v[20:21], v[16:17], off
	global_load_b64 v[24:25], v[18:19], off
	s_wait_xcnt 0x1
	v_mov_b64_e32 v[16:17], s[10:11]
	s_wait_xcnt 0x0
	v_mov_b64_e32 v[18:19], s[8:9]
	s_add_co_i32 s14, s14, 2
	s_add_co_i32 s28, s28, 2
	s_mov_b32 s29, s39
	s_mov_b32 s43, s40
	s_cmp_lg_u32 s3, 0
	s_wait_loadcnt 0x0
	v_dual_mov_b32 v26, v20 :: v_dual_mov_b32 v27, v24
	v_mov_b32_e32 v24, v21
	s_delay_alu instid0(VALU_DEP_1) | instskip(SKIP_1) | instid1(VALU_DEP_2)
	v_pk_mul_f32 v[20:21], v[16:17], v[24:25]
	v_pk_mul_f32 v[24:25], v[18:19], v[24:25]
	v_pk_fma_f32 v[18:19], v[18:19], v[26:27], v[20:21] neg_lo:[0,0,1] neg_hi:[0,0,1]
	s_delay_alu instid0(VALU_DEP_2)
	v_pk_fma_f32 v[16:17], v[16:17], v[26:27], v[24:25]
	ds_store_b32 v3, v18
	ds_store_b32 v28, v19
	ds_store_b32 v3, v16 offset:4
	ds_store_b32 v28, v17 offset:4
	s_cbranch_scc1 .LBB168_21
; %bb.22:                               ;   in Loop: Header=BB168_3 Depth=1
	s_and_b32 vcc_lo, exec_lo, s43
	s_cbranch_vccnz .LBB168_24
	s_branch .LBB168_26
.LBB168_23:                             ;   in Loop: Header=BB168_3 Depth=1
	s_mov_b32 s29, 0
	s_cbranch_execz .LBB168_26
.LBB168_24:                             ;   in Loop: Header=BB168_3 Depth=1
	s_lshl_b32 s14, s29, 3
	v_lshl_add_u32 v3, s29, 8, v22
	s_add_nc_u64 s[44:45], s[26:27], s[14:15]
	s_sub_co_i32 s3, s33, s29
	v_add_nc_u64_e32 v[14:15], s[44:45], v[10:11]
.LBB168_25:                             ;   Parent Loop BB168_3 Depth=1
                                        ; =>  This Inner Loop Header: Depth=2
	global_load_b64 v[16:17], v[14:15], off offset:-4
	v_mov_b64_e32 v[18:19], s[12:13]
	v_mov_b64_e32 v[20:21], s[16:17]
	s_wait_xcnt 0x0
	v_add_nc_u64_e32 v[14:15], 8, v[14:15]
	s_add_co_i32 s3, s3, -1
	s_delay_alu instid0(SALU_CYCLE_1) | instskip(SKIP_2) | instid1(VALU_DEP_1)
	s_cmp_lg_u32 s3, 0
	s_wait_loadcnt 0x0
	v_pk_mul_f32 v[18:19], v[18:19], v[16:17] op_sel:[0,1]
	v_pk_fma_f32 v[24:25], v[20:21], v[16:17], v[18:19] op_sel_hi:[1,0,1]
	v_pk_fma_f32 v[16:17], v[20:21], v[16:17], v[18:19] neg_lo:[0,0,1] neg_hi:[0,0,1]
	s_delay_alu instid0(VALU_DEP_2)
	v_mov_b32_e32 v17, v25
	ds_store_b64 v3, v[16:17]
	v_add_nc_u32_e32 v3, 0x100, v3
	s_cbranch_scc1 .LBB168_25
.LBB168_26:                             ;   in Loop: Header=BB168_3 Depth=1
	s_or_b32 exec_lo, exec_lo, s42
	s_delay_alu instid0(SALU_CYCLE_1)
	s_and_not1_b32 vcc_lo, exec_lo, s36
	s_mov_b32 s3, -1
	s_wait_dscnt 0x0
	; wave barrier
	s_cbranch_vccnz .LBB168_55
; %bb.27:                               ;   in Loop: Header=BB168_3 Depth=1
	s_mov_b32 s14, 0
	s_mov_b32 s3, 0
	s_branch .LBB168_29
.LBB168_28:                             ;   in Loop: Header=BB168_29 Depth=2
	s_cmp_lt_i32 s3, s33
	s_cselect_b32 s28, -1, 0
	s_add_co_i32 s29, s14, 1
	s_cmp_lt_u32 s14, 2
	s_wait_xcnt 0x0
	s_cselect_b32 s14, -1, 0
	s_delay_alu instid0(SALU_CYCLE_1) | instskip(NEXT) | instid1(SALU_CYCLE_1)
	s_and_b32 s14, s28, s14
	s_and_b32 vcc_lo, exec_lo, s14
	s_mov_b32 s14, s29
	s_cbranch_vccz .LBB168_54
.LBB168_29:                             ;   Parent Loop BB168_3 Depth=1
                                        ; =>  This Loop Header: Depth=2
                                        ;       Child Loop BB168_32 Depth 3
                                        ;         Child Loop BB168_33 Depth 4
                                        ;         Child Loop BB168_37 Depth 4
                                        ;           Child Loop BB168_39 Depth 5
                                        ;           Child Loop BB168_45 Depth 5
                                        ;         Child Loop BB168_48 Depth 4
                                        ;           Child Loop BB168_50 Depth 5
	s_load_b32 s28, s[24:25], s14 offset:0x0 scale_offset
	s_wait_kmcnt 0x0
	s_add_co_i32 s29, s28, -1
	s_delay_alu instid0(SALU_CYCLE_1) | instskip(NEXT) | instid1(SALU_CYCLE_1)
	s_add_co_i32 s42, s29, s3
	s_cmp_ge_i32 s42, s33
	s_cbranch_scc1 .LBB168_28
; %bb.30:                               ;   in Loop: Header=BB168_29 Depth=2
	s_max_i32 s42, s28, 1
	s_cmp_lg_u32 s14, 2
	v_lshl_add_u32 v3, s3, 8, v22
	s_cselect_b32 s43, -1, 0
	s_and_b32 s44, s42, 0x7ffffffe
	s_mul_i32 s47, s3, 0x108
	s_cmp_lg_u32 s42, s44
	s_mul_i32 s48, s28, 0x108
	s_cselect_b32 s45, -1, 0
	s_lshl_b32 s46, s28, 8
	s_branch .LBB168_32
.LBB168_31:                             ;   in Loop: Header=BB168_32 Depth=3
	s_add_co_i32 s3, s3, s28
	v_add_nc_u32_e32 v3, s46, v3
	s_add_co_i32 s49, s29, s3
	s_add_co_i32 s47, s47, s48
	s_cmp_ge_i32 s49, s33
	s_cbranch_scc1 .LBB168_28
.LBB168_32:                             ;   Parent Loop BB168_3 Depth=1
                                        ;     Parent Loop BB168_29 Depth=2
                                        ; =>    This Loop Header: Depth=3
                                        ;         Child Loop BB168_33 Depth 4
                                        ;         Child Loop BB168_37 Depth 4
                                        ;           Child Loop BB168_39 Depth 5
                                        ;           Child Loop BB168_45 Depth 5
                                        ;         Child Loop BB168_48 Depth 4
                                        ;           Child Loop BB168_50 Depth 5
	s_wait_xcnt 0x0
	v_mov_b32_e32 v14, v3
	s_mov_b32 s49, 0
	s_mov_b32 s50, s42
.LBB168_33:                             ;   Parent Loop BB168_3 Depth=1
                                        ;     Parent Loop BB168_29 Depth=2
                                        ;       Parent Loop BB168_32 Depth=3
                                        ; =>      This Inner Loop Header: Depth=4
	ds_load_b64 v[16:17], v14
	v_add_nc_u32_e32 v14, 0x100, v14
	s_add_co_i32 s50, s50, -1
	s_wait_dscnt 0x0
	scratch_store_b64 off, v[16:17], s49
	s_wait_xcnt 0x0
	s_add_co_i32 s49, s49, 8
	s_cmp_eq_u32 s50, 0
	s_cbranch_scc0 .LBB168_33
; %bb.34:                               ;   in Loop: Header=BB168_32 Depth=3
	s_cmp_lt_i32 s3, 1
	s_cbranch_scc1 .LBB168_46
; %bb.35:                               ;   in Loop: Header=BB168_32 Depth=3
	s_mov_b32 s49, s3
	s_mov_b32 s50, 0
	;; [unrolled: 1-line block ×3, first 2 shown]
	s_branch .LBB168_37
.LBB168_36:                             ;   in Loop: Header=BB168_37 Depth=4
	s_add_co_i32 s51, s51, 1
	s_add_co_i32 s50, s50, 8
	s_cmp_eq_u32 s51, s3
	s_cbranch_scc1 .LBB168_46
.LBB168_37:                             ;   Parent Loop BB168_3 Depth=1
                                        ;     Parent Loop BB168_29 Depth=2
                                        ;       Parent Loop BB168_32 Depth=3
                                        ; =>      This Loop Header: Depth=4
                                        ;           Child Loop BB168_39 Depth 5
                                        ;           Child Loop BB168_45 Depth 5
	v_lshl_add_u32 v14, s51, 8, v22
	s_and_b32 vcc_lo, exec_lo, s43
	ds_load_b64 v[14:15], v14
	s_cbranch_vccz .LBB168_41
; %bb.38:                               ;   in Loop: Header=BB168_37 Depth=4
	s_wait_dscnt 0x0
	v_dual_mov_b32 v18, v14 :: v_dual_mov_b32 v19, v14
	v_dual_mov_b32 v16, v15 :: v_dual_mov_b32 v20, v15
	v_mov_b32_e32 v21, v15
	s_lshl_b32 s52, s51, 3
	s_mov_b32 s53, 1
	s_mov_b32 s54, 0
	;; [unrolled: 1-line block ×4, first 2 shown]
.LBB168_39:                             ;   Parent Loop BB168_3 Depth=1
                                        ;     Parent Loop BB168_29 Depth=2
                                        ;       Parent Loop BB168_32 Depth=3
                                        ;         Parent Loop BB168_37 Depth=4
                                        ; =>        This Inner Loop Header: Depth=5
	scratch_load_b128 v[24:27], off, s56 offset:-8
	s_add_co_i32 s57, s53, s49
	s_add_co_i32 s58, s54, s3
	s_lshl_b32 s57, s57, 8
	s_lshl_b32 s58, s58, 8
	s_add_co_i32 s57, s52, s57
	s_add_co_i32 s58, s52, s58
	s_delay_alu instid0(SALU_CYCLE_1)
	v_dual_mov_b32 v17, s57 :: v_dual_mov_b32 v30, s58
	s_add_co_i32 s55, s55, -2
	s_add_co_i32 s54, s54, 2
	ds_load_b64 v[28:29], v17
	ds_load_b64 v[30:31], v30
	s_add_co_i32 s53, s53, 2
	s_wait_dscnt 0x0
	v_dual_mov_b32 v33, v28 :: v_dual_mov_b32 v28, v31
	v_mov_b32_e32 v32, v30
	s_delay_alu instid0(VALU_DEP_2) | instskip(SKIP_1) | instid1(VALU_DEP_2)
	v_pk_mul_f32 v[30:31], v[28:29], v[20:21]
	v_pk_mul_f32 v[28:29], v[28:29], v[18:19]
	v_pk_fma_f32 v[30:31], v[32:33], v[18:19], v[30:31] neg_lo:[0,0,1] neg_hi:[0,0,1]
	s_delay_alu instid0(VALU_DEP_2) | instskip(SKIP_3) | instid1(VALU_DEP_2)
	v_pk_fma_f32 v[28:29], v[32:33], v[20:21], v[28:29]
	s_wait_loadcnt 0x0
	v_dual_mov_b32 v32, v24 :: v_dual_mov_b32 v33, v26
	v_mov_b32_e32 v26, v25
	v_pk_add_f32 v[30:31], v[32:33], v[30:31] neg_lo:[0,1] neg_hi:[0,1]
	s_delay_alu instid0(VALU_DEP_2) | instskip(NEXT) | instid1(VALU_DEP_1)
	v_pk_add_f32 v[26:27], v[26:27], v[28:29] neg_lo:[0,1] neg_hi:[0,1]
	v_dual_mov_b32 v24, v30 :: v_dual_mov_b32 v25, v26
	s_delay_alu instid0(VALU_DEP_3)
	v_mov_b32_e32 v26, v31
	scratch_store_b128 off, v[24:27], s56 offset:-8
	s_wait_xcnt 0x0
	s_add_co_i32 s56, s56, 16
	s_cmp_lg_u32 s55, 0
	s_cbranch_scc1 .LBB168_39
; %bb.40:                               ;   in Loop: Header=BB168_37 Depth=4
	s_mov_b32 s52, s45
	s_mov_b32 s53, s44
	s_branch .LBB168_43
.LBB168_41:                             ;   in Loop: Header=BB168_37 Depth=4
	s_wait_dscnt 0x0
	v_mov_b32_e32 v16, v15
	s_mov_b32 s52, 0
	s_mov_b32 s53, s44
	s_cbranch_execz .LBB168_43
; %bb.42:                               ;   in Loop: Header=BB168_37 Depth=4
	s_mov_b32 s52, -1
	s_mov_b32 s53, 0
.LBB168_43:                             ;   in Loop: Header=BB168_37 Depth=4
	s_and_not1_b32 vcc_lo, exec_lo, s52
	s_cbranch_vccnz .LBB168_36
; %bb.44:                               ;   in Loop: Header=BB168_37 Depth=4
	s_add_co_i32 s54, s3, s53
	v_dual_mov_b32 v17, v15 :: v_dual_mov_b32 v15, v14
	s_lshl_b32 s54, s54, 8
	s_lshl_b32 s55, s53, 3
	s_sub_co_i32 s52, s42, s53
	s_add_co_i32 s53, s50, s54
	s_mov_b32 s54, s55
.LBB168_45:                             ;   Parent Loop BB168_3 Depth=1
                                        ;     Parent Loop BB168_29 Depth=2
                                        ;       Parent Loop BB168_32 Depth=3
                                        ;         Parent Loop BB168_37 Depth=4
                                        ; =>        This Inner Loop Header: Depth=5
	scratch_load_b64 v[18:19], off, s54
	v_mov_b32_e32 v20, s53
	s_add_co_i32 s52, s52, -1
	s_addk_co_i32 s53, 0x100
	ds_load_b64 v[20:21], v20
	s_wait_dscnt 0x0
	v_pk_mul_f32 v[24:25], v[20:21], v[16:17] op_sel:[1,0] op_sel_hi:[0,1]
	s_delay_alu instid0(VALU_DEP_1) | instskip(SKIP_1) | instid1(VALU_DEP_2)
	v_pk_fma_f32 v[26:27], v[20:21], v[14:15], v[24:25]
	v_pk_fma_f32 v[20:21], v[20:21], v[14:15], v[24:25] neg_lo:[0,0,1] neg_hi:[0,0,1]
	v_mov_b32_e32 v21, v27
	s_wait_loadcnt 0x0
	s_delay_alu instid0(VALU_DEP_1)
	v_pk_add_f32 v[18:19], v[18:19], v[20:21] neg_lo:[0,1] neg_hi:[0,1]
	scratch_store_b64 off, v[18:19], s54
	s_wait_xcnt 0x0
	s_add_co_i32 s54, s54, 8
	s_cmp_eq_u32 s52, 0
	s_cbranch_scc0 .LBB168_45
	s_branch .LBB168_36
.LBB168_46:                             ;   in Loop: Header=BB168_32 Depth=3
	s_lshl_b32 s49, s3, 8
	s_mov_b32 s50, 0
	s_mov_b32 s51, s47
	s_branch .LBB168_48
.LBB168_47:                             ;   in Loop: Header=BB168_48 Depth=4
	s_wait_xcnt 0x0
	s_mulk_i32 s53, 0x108
	s_addk_co_i32 s51, 0x100
	v_mov_b32_e32 v15, s53
	s_lshl_b32 s53, s50, 3
	s_add_co_i32 s50, s50, 1
	s_delay_alu instid0(SALU_CYCLE_1) | instskip(SKIP_3) | instid1(VALU_DEP_1)
	s_cmp_eq_u32 s50, s42
	ds_load_b64 v[18:19], v15
	s_wait_dscnt 0x0
	v_pk_mul_f32 v[16:17], v[18:19], v[16:17] op_sel:[1,0] op_sel_hi:[0,0]
	v_pk_fma_f32 v[20:21], v[18:19], v[14:15], v[16:17] op_sel_hi:[1,0,1]
	v_add_nc_u32_e32 v20, s52, v22
	v_pk_fma_f32 v[14:15], v[18:19], v[14:15], v[16:17] neg_lo:[0,0,1] neg_hi:[0,0,1]
	s_delay_alu instid0(VALU_DEP_3)
	v_mov_b32_e32 v15, v21
	scratch_store_b64 off, v[14:15], s53
	ds_store_b64 v20, v[14:15]
	s_cbranch_scc1 .LBB168_31
.LBB168_48:                             ;   Parent Loop BB168_3 Depth=1
                                        ;     Parent Loop BB168_29 Depth=2
                                        ;       Parent Loop BB168_32 Depth=3
                                        ; =>      This Loop Header: Depth=4
                                        ;           Child Loop BB168_50 Depth 5
	s_cmp_lg_u32 s50, 0
	s_cbranch_scc0 .LBB168_52
; %bb.49:                               ;   in Loop: Header=BB168_48 Depth=4
	s_lshl_b32 s52, s50, 3
	s_wait_xcnt 0x0
	s_mov_b32 s53, 0
	scratch_load_b64 v[14:15], off, s52
	s_mov_b32 s54, s51
	s_mov_b32 s55, s50
.LBB168_50:                             ;   Parent Loop BB168_3 Depth=1
                                        ;     Parent Loop BB168_29 Depth=2
                                        ;       Parent Loop BB168_32 Depth=3
                                        ;         Parent Loop BB168_48 Depth=4
                                        ; =>        This Inner Loop Header: Depth=5
	scratch_load_b64 v[16:17], off, s53
	v_mov_b32_e32 v18, s54
	s_add_co_i32 s55, s55, -1
	s_wait_xcnt 0x0
	s_add_co_i32 s53, s53, 8
	s_add_co_i32 s54, s54, 8
	s_cmp_eq_u32 s55, 0
	ds_load_b64 v[18:19], v18
	s_wait_loadcnt_dscnt 0x0
	v_pk_mul_f32 v[20:21], v[18:19], v[16:17] op_sel:[1,1] op_sel_hi:[0,1]
	s_delay_alu instid0(VALU_DEP_1) | instskip(SKIP_1) | instid1(VALU_DEP_2)
	v_pk_fma_f32 v[24:25], v[18:19], v[16:17], v[20:21] op_sel_hi:[1,0,1]
	v_pk_fma_f32 v[16:17], v[18:19], v[16:17], v[20:21] neg_lo:[0,0,1] neg_hi:[0,0,1]
	v_mov_b32_e32 v17, v25
	s_delay_alu instid0(VALU_DEP_1)
	v_pk_add_f32 v[14:15], v[14:15], v[16:17] neg_lo:[0,1] neg_hi:[0,1]
	scratch_store_b64 off, v[14:15], s52
	s_cbranch_scc0 .LBB168_50
; %bb.51:                               ;   in Loop: Header=BB168_48 Depth=4
	v_mov_b32_e32 v16, v15
	s_add_co_i32 s53, s50, s3
	s_wait_xcnt 0x0
	s_lshl_b32 s52, s53, 8
	s_branch .LBB168_47
.LBB168_52:                             ;   in Loop: Header=BB168_48 Depth=4
                                        ; implicit-def: $vgpr14
                                        ; implicit-def: $vgpr16
                                        ; implicit-def: $sgpr53
                                        ; implicit-def: $sgpr52
	s_cbranch_execz .LBB168_47
; %bb.53:                               ;   in Loop: Header=BB168_48 Depth=4
	scratch_load_b64 v[14:15], off, off
	s_mov_b32 s52, s49
	s_mov_b32 s53, s3
	s_wait_loadcnt 0x0
	v_mov_b32_e32 v16, v15
	s_branch .LBB168_47
.LBB168_54:                             ;   in Loop: Header=BB168_3 Depth=1
	s_mov_b32 s3, 0
.LBB168_55:                             ;   in Loop: Header=BB168_3 Depth=1
	s_delay_alu instid0(SALU_CYCLE_1)
	s_and_b32 vcc_lo, exec_lo, s3
	s_cbranch_vccz .LBB168_83
; %bb.56:                               ;   in Loop: Header=BB168_3 Depth=1
	s_mov_b32 s14, 0
	s_mov_b32 s3, s34
	s_branch .LBB168_58
.LBB168_57:                             ;   in Loop: Header=BB168_58 Depth=2
	s_cmp_gt_i32 s3, -1
	s_cselect_b32 s28, -1, 0
	s_add_co_i32 s29, s14, 1
	s_cmp_lt_u32 s14, 2
	s_wait_xcnt 0x0
	s_cselect_b32 s14, -1, 0
	s_delay_alu instid0(SALU_CYCLE_1) | instskip(NEXT) | instid1(SALU_CYCLE_1)
	s_and_b32 s14, s28, s14
	s_and_not1_b32 vcc_lo, exec_lo, s14
	s_mov_b32 s14, s29
	s_cbranch_vccnz .LBB168_83
.LBB168_58:                             ;   Parent Loop BB168_3 Depth=1
                                        ; =>  This Loop Header: Depth=2
                                        ;       Child Loop BB168_61 Depth 3
                                        ;         Child Loop BB168_62 Depth 4
                                        ;         Child Loop BB168_66 Depth 4
                                        ;           Child Loop BB168_68 Depth 5
                                        ;           Child Loop BB168_74 Depth 5
                                        ;         Child Loop BB168_77 Depth 4
                                        ;           Child Loop BB168_79 Depth 5
	s_load_b32 s28, s[24:25], s14 offset:0x0 scale_offset
	s_wait_kmcnt 0x0
	s_add_co_i32 s29, s28, -1
	s_delay_alu instid0(SALU_CYCLE_1)
	s_cmp_lt_i32 s3, s29
	s_cbranch_scc1 .LBB168_57
; %bb.59:                               ;   in Loop: Header=BB168_58 Depth=2
	s_max_i32 s42, s28, 1
	s_cmp_lg_u32 s14, 2
	v_lshl_add_u32 v3, s3, 8, v22
	s_cselect_b32 s43, -1, 0
	s_and_b32 s44, s42, 0x7ffffffe
	s_mul_i32 s49, s3, 0x108
	s_cmp_lg_u32 s42, s44
	s_mul_i32 s50, s28, 0xfffffef8
	s_cselect_b32 s45, -1, 0
	s_lshl_b32 s46, s28, 8
	s_lshl_b32 s47, s3, 3
	;; [unrolled: 1-line block ×3, first 2 shown]
	s_sub_co_i32 s46, 0, s46
	s_add_co_i32 s47, s41, s47
	s_sub_co_i32 s48, 0, s48
	s_branch .LBB168_61
.LBB168_60:                             ;   in Loop: Header=BB168_61 Depth=3
	v_add_nc_u32_e32 v3, s46, v3
	s_sub_co_i32 s3, s3, s28
	s_add_co_i32 s47, s47, s48
	s_add_co_i32 s49, s49, s50
	s_cmp_lt_i32 s3, s29
	s_cbranch_scc1 .LBB168_57
.LBB168_61:                             ;   Parent Loop BB168_3 Depth=1
                                        ;     Parent Loop BB168_58 Depth=2
                                        ; =>    This Loop Header: Depth=3
                                        ;         Child Loop BB168_62 Depth 4
                                        ;         Child Loop BB168_66 Depth 4
                                        ;           Child Loop BB168_68 Depth 5
                                        ;           Child Loop BB168_74 Depth 5
                                        ;         Child Loop BB168_77 Depth 4
                                        ;           Child Loop BB168_79 Depth 5
	s_wait_xcnt 0x0
	v_mov_b32_e32 v14, v3
	s_mov_b32 s51, 0
	s_mov_b32 s52, s42
.LBB168_62:                             ;   Parent Loop BB168_3 Depth=1
                                        ;     Parent Loop BB168_58 Depth=2
                                        ;       Parent Loop BB168_61 Depth=3
                                        ; =>      This Inner Loop Header: Depth=4
	ds_load_b64 v[16:17], v14
	v_add_nc_u32_e32 v14, 0xffffff00, v14
	s_add_co_i32 s52, s52, -1
	s_wait_dscnt 0x0
	scratch_store_b64 off, v[16:17], s51
	s_wait_xcnt 0x0
	s_add_co_i32 s51, s51, 8
	s_cmp_eq_u32 s52, 0
	s_cbranch_scc0 .LBB168_62
; %bb.63:                               ;   in Loop: Header=BB168_61 Depth=3
	s_cmp_le_i32 s34, s3
	s_cbranch_scc1 .LBB168_75
; %bb.64:                               ;   in Loop: Header=BB168_61 Depth=3
	s_mov_b32 s51, s3
	s_mov_b32 s52, s47
	;; [unrolled: 1-line block ×3, first 2 shown]
	s_branch .LBB168_66
.LBB168_65:                             ;   in Loop: Header=BB168_66 Depth=4
	s_add_co_i32 s53, s53, -1
	s_addk_co_i32 s52, 0xff00
	s_cmp_le_i32 s53, s3
	s_cbranch_scc1 .LBB168_75
.LBB168_66:                             ;   Parent Loop BB168_3 Depth=1
                                        ;     Parent Loop BB168_58 Depth=2
                                        ;       Parent Loop BB168_61 Depth=3
                                        ; =>      This Loop Header: Depth=4
                                        ;           Child Loop BB168_68 Depth 5
                                        ;           Child Loop BB168_74 Depth 5
	v_lshl_add_u32 v14, s53, 8, v22
	s_and_b32 vcc_lo, exec_lo, s43
	ds_load_b64 v[14:15], v14
	s_cbranch_vccz .LBB168_70
; %bb.67:                               ;   in Loop: Header=BB168_66 Depth=4
	s_wait_dscnt 0x0
	v_dual_mov_b32 v18, v14 :: v_dual_mov_b32 v19, v14
	v_dual_mov_b32 v16, v15 :: v_dual_mov_b32 v20, v15
	v_mov_b32_e32 v21, v15
	s_lshl_b32 s54, s53, 5
	s_mov_b32 s55, 1
	s_lshl_b32 s54, s54, 3
	s_mov_b32 s56, 0
	s_mov_b32 s57, s44
	;; [unrolled: 1-line block ×3, first 2 shown]
.LBB168_68:                             ;   Parent Loop BB168_3 Depth=1
                                        ;     Parent Loop BB168_58 Depth=2
                                        ;       Parent Loop BB168_61 Depth=3
                                        ;         Parent Loop BB168_66 Depth=4
                                        ; =>        This Inner Loop Header: Depth=5
	scratch_load_b128 v[24:27], off, s58 offset:-8
	s_sub_co_i32 s59, s51, s55
	s_sub_co_i32 s60, s3, s56
	s_lshl_b32 s59, s59, 3
	s_lshl_b32 s60, s60, 3
	s_add_co_i32 s59, s54, s59
	s_add_co_i32 s60, s54, s60
	s_delay_alu instid0(SALU_CYCLE_1)
	v_dual_mov_b32 v17, s59 :: v_dual_mov_b32 v30, s60
	s_add_co_i32 s57, s57, -2
	s_add_co_i32 s56, s56, 2
	ds_load_b64 v[28:29], v17
	ds_load_b64 v[30:31], v30
	s_add_co_i32 s55, s55, 2
	s_wait_dscnt 0x0
	v_dual_mov_b32 v33, v28 :: v_dual_mov_b32 v28, v31
	v_mov_b32_e32 v32, v30
	s_delay_alu instid0(VALU_DEP_2) | instskip(SKIP_1) | instid1(VALU_DEP_2)
	v_pk_mul_f32 v[30:31], v[28:29], v[20:21]
	v_pk_mul_f32 v[28:29], v[28:29], v[18:19]
	v_pk_fma_f32 v[30:31], v[32:33], v[18:19], v[30:31] neg_lo:[0,0,1] neg_hi:[0,0,1]
	s_delay_alu instid0(VALU_DEP_2) | instskip(SKIP_3) | instid1(VALU_DEP_2)
	v_pk_fma_f32 v[28:29], v[32:33], v[20:21], v[28:29]
	s_wait_loadcnt 0x0
	v_dual_mov_b32 v32, v24 :: v_dual_mov_b32 v33, v26
	v_mov_b32_e32 v26, v25
	v_pk_add_f32 v[30:31], v[32:33], v[30:31] neg_lo:[0,1] neg_hi:[0,1]
	s_delay_alu instid0(VALU_DEP_2) | instskip(NEXT) | instid1(VALU_DEP_1)
	v_pk_add_f32 v[26:27], v[26:27], v[28:29] neg_lo:[0,1] neg_hi:[0,1]
	v_dual_mov_b32 v24, v30 :: v_dual_mov_b32 v25, v26
	s_delay_alu instid0(VALU_DEP_3)
	v_mov_b32_e32 v26, v31
	scratch_store_b128 off, v[24:27], s58 offset:-8
	s_wait_xcnt 0x0
	s_add_co_i32 s58, s58, 16
	s_cmp_lg_u32 s57, 0
	s_cbranch_scc1 .LBB168_68
; %bb.69:                               ;   in Loop: Header=BB168_66 Depth=4
	s_mov_b32 s54, s45
	s_mov_b32 s55, s44
	s_branch .LBB168_72
.LBB168_70:                             ;   in Loop: Header=BB168_66 Depth=4
	s_wait_dscnt 0x0
	v_mov_b32_e32 v16, v15
	s_mov_b32 s54, 0
	s_mov_b32 s55, s44
	s_cbranch_execz .LBB168_72
; %bb.71:                               ;   in Loop: Header=BB168_66 Depth=4
	s_mov_b32 s54, -1
	s_mov_b32 s55, 0
.LBB168_72:                             ;   in Loop: Header=BB168_66 Depth=4
	s_and_not1_b32 vcc_lo, exec_lo, s54
	s_cbranch_vccnz .LBB168_65
; %bb.73:                               ;   in Loop: Header=BB168_66 Depth=4
	v_dual_mov_b32 v17, v15 :: v_dual_mov_b32 v15, v14
	s_lshl_b32 s56, s55, 3
	s_sub_co_i32 s54, s42, s55
	s_sub_co_i32 s55, s52, s56
.LBB168_74:                             ;   Parent Loop BB168_3 Depth=1
                                        ;     Parent Loop BB168_58 Depth=2
                                        ;       Parent Loop BB168_61 Depth=3
                                        ;         Parent Loop BB168_66 Depth=4
                                        ; =>        This Inner Loop Header: Depth=5
	scratch_load_b64 v[18:19], off, s56
	v_mov_b32_e32 v20, s55
	s_add_co_i32 s54, s54, -1
	s_add_co_i32 s55, s55, -8
	ds_load_b64 v[20:21], v20
	s_wait_dscnt 0x0
	v_pk_mul_f32 v[24:25], v[20:21], v[16:17] op_sel:[1,0] op_sel_hi:[0,1]
	s_delay_alu instid0(VALU_DEP_1) | instskip(SKIP_1) | instid1(VALU_DEP_2)
	v_pk_fma_f32 v[26:27], v[20:21], v[14:15], v[24:25]
	v_pk_fma_f32 v[20:21], v[20:21], v[14:15], v[24:25] neg_lo:[0,0,1] neg_hi:[0,0,1]
	v_mov_b32_e32 v21, v27
	s_wait_loadcnt 0x0
	s_delay_alu instid0(VALU_DEP_1)
	v_pk_add_f32 v[18:19], v[18:19], v[20:21] neg_lo:[0,1] neg_hi:[0,1]
	scratch_store_b64 off, v[18:19], s56
	s_wait_xcnt 0x0
	s_add_co_i32 s56, s56, 8
	s_cmp_eq_u32 s54, 0
	s_cbranch_scc0 .LBB168_74
	s_branch .LBB168_65
.LBB168_75:                             ;   in Loop: Header=BB168_61 Depth=3
	s_mov_b32 s51, 0
	s_mov_b32 s52, s49
	s_branch .LBB168_77
.LBB168_76:                             ;   in Loop: Header=BB168_77 Depth=4
	s_mul_i32 s54, s53, 0x108
	s_add_co_i32 s52, s52, -8
	v_mov_b32_e32 v15, s54
	s_lshl_b32 s54, s51, 3
	s_add_co_i32 s51, s51, 1
	s_delay_alu instid0(SALU_CYCLE_1) | instskip(SKIP_3) | instid1(VALU_DEP_1)
	s_cmp_eq_u32 s51, s42
	ds_load_b64 v[18:19], v15
	s_wait_dscnt 0x0
	v_pk_mul_f32 v[16:17], v[18:19], v[16:17] op_sel:[1,0] op_sel_hi:[0,0]
	v_pk_fma_f32 v[20:21], v[18:19], v[14:15], v[16:17] op_sel_hi:[1,0,1]
	v_pk_fma_f32 v[14:15], v[18:19], v[14:15], v[16:17] neg_lo:[0,0,1] neg_hi:[0,0,1]
	v_lshl_add_u32 v20, s53, 8, v22
	s_delay_alu instid0(VALU_DEP_3)
	v_mov_b32_e32 v15, v21
	scratch_store_b64 off, v[14:15], s54
	ds_store_b64 v20, v[14:15]
	s_cbranch_scc1 .LBB168_60
.LBB168_77:                             ;   Parent Loop BB168_3 Depth=1
                                        ;     Parent Loop BB168_58 Depth=2
                                        ;       Parent Loop BB168_61 Depth=3
                                        ; =>      This Loop Header: Depth=4
                                        ;           Child Loop BB168_79 Depth 5
	s_cmp_lg_u32 s51, 0
	s_cbranch_scc0 .LBB168_81
; %bb.78:                               ;   in Loop: Header=BB168_77 Depth=4
	s_lshl_b32 s53, s51, 3
	s_wait_xcnt 0x0
	s_mov_b32 s54, 0
	scratch_load_b64 v[14:15], off, s53
	s_mov_b32 s55, s52
	s_mov_b32 s56, s51
.LBB168_79:                             ;   Parent Loop BB168_3 Depth=1
                                        ;     Parent Loop BB168_58 Depth=2
                                        ;       Parent Loop BB168_61 Depth=3
                                        ;         Parent Loop BB168_77 Depth=4
                                        ; =>        This Inner Loop Header: Depth=5
	scratch_load_b64 v[16:17], off, s54
	v_mov_b32_e32 v18, s55
	s_add_co_i32 s56, s56, -1
	s_addk_co_i32 s55, 0xff00
	s_wait_xcnt 0x0
	s_add_co_i32 s54, s54, 8
	s_cmp_eq_u32 s56, 0
	ds_load_b64 v[18:19], v18
	s_wait_loadcnt_dscnt 0x0
	v_pk_mul_f32 v[20:21], v[18:19], v[16:17] op_sel:[1,1] op_sel_hi:[0,1]
	s_delay_alu instid0(VALU_DEP_1) | instskip(SKIP_1) | instid1(VALU_DEP_2)
	v_pk_fma_f32 v[24:25], v[18:19], v[16:17], v[20:21] op_sel_hi:[1,0,1]
	v_pk_fma_f32 v[16:17], v[18:19], v[16:17], v[20:21] neg_lo:[0,0,1] neg_hi:[0,0,1]
	v_mov_b32_e32 v17, v25
	s_delay_alu instid0(VALU_DEP_1)
	v_pk_add_f32 v[14:15], v[14:15], v[16:17] neg_lo:[0,1] neg_hi:[0,1]
	scratch_store_b64 off, v[14:15], s53
	s_cbranch_scc0 .LBB168_79
; %bb.80:                               ;   in Loop: Header=BB168_77 Depth=4
	v_mov_b32_e32 v16, v15
	s_wait_xcnt 0x0
	s_sub_co_i32 s53, s3, s51
	s_branch .LBB168_76
.LBB168_81:                             ;   in Loop: Header=BB168_77 Depth=4
	s_wait_xcnt 0x0
                                        ; implicit-def: $vgpr14
                                        ; implicit-def: $vgpr16
                                        ; implicit-def: $sgpr53
	s_cbranch_execz .LBB168_76
; %bb.82:                               ;   in Loop: Header=BB168_77 Depth=4
	scratch_load_b64 v[14:15], off, off
	s_mov_b32 s53, s3
	s_wait_loadcnt 0x0
	v_mov_b32_e32 v16, v15
	s_branch .LBB168_76
.LBB168_83:                             ;   in Loop: Header=BB168_3 Depth=1
	; wave barrier
	s_wait_storecnt_dscnt 0x0
	s_wait_xcnt 0x0
	s_and_saveexec_b32 s3, s37
	s_cbranch_execz .LBB168_2
; %bb.84:                               ;   in Loop: Header=BB168_3 Depth=1
	v_add_nc_u64_e32 v[14:15], s[26:27], v[4:5]
	v_mov_b32_e32 v3, v22
	s_mov_b32 s14, s33
.LBB168_85:                             ;   Parent Loop BB168_3 Depth=1
                                        ; =>  This Inner Loop Header: Depth=2
	ds_load_b64 v[16:17], v3
	v_add_nc_u32_e32 v3, 0x100, v3
	s_add_co_i32 s14, s14, -1
	s_delay_alu instid0(SALU_CYCLE_1)
	s_cmp_lg_u32 s14, 0
	s_wait_dscnt 0x0
	global_store_b64 v[14:15], v[16:17], off
	s_wait_xcnt 0x0
	v_add_nc_u64_e32 v[14:15], 8, v[14:15]
	s_cbranch_scc1 .LBB168_85
	s_branch .LBB168_2
.LBB168_86:
	s_endpgm
	.section	.rodata,"a",@progbits
	.p2align	6, 0x0
	.amdhsa_kernel _ZL38rocblas_trsm_small_left_device_sharedBILi32ELi32ELb0E19rocblas_complex_numIfES1_PKS1_PS1_Ev13rocblas_fill_18rocblas_operation_17rocblas_diagonal_iiT3_T4_lilT5_lili
		.amdhsa_group_segment_fixed_size 16384
		.amdhsa_private_segment_fixed_size 272
		.amdhsa_kernarg_size 360
		.amdhsa_user_sgpr_count 2
		.amdhsa_user_sgpr_dispatch_ptr 0
		.amdhsa_user_sgpr_queue_ptr 0
		.amdhsa_user_sgpr_kernarg_segment_ptr 1
		.amdhsa_user_sgpr_dispatch_id 0
		.amdhsa_user_sgpr_kernarg_preload_length 0
		.amdhsa_user_sgpr_kernarg_preload_offset 0
		.amdhsa_user_sgpr_private_segment_size 0
		.amdhsa_wavefront_size32 1
		.amdhsa_uses_dynamic_stack 0
		.amdhsa_enable_private_segment 1
		.amdhsa_system_sgpr_workgroup_id_x 1
		.amdhsa_system_sgpr_workgroup_id_y 0
		.amdhsa_system_sgpr_workgroup_id_z 1
		.amdhsa_system_sgpr_workgroup_info 0
		.amdhsa_system_vgpr_workitem_id 0
		.amdhsa_next_free_vgpr 161
		.amdhsa_next_free_sgpr 61
		.amdhsa_named_barrier_count 0
		.amdhsa_reserve_vcc 1
		.amdhsa_float_round_mode_32 0
		.amdhsa_float_round_mode_16_64 0
		.amdhsa_float_denorm_mode_32 3
		.amdhsa_float_denorm_mode_16_64 3
		.amdhsa_fp16_overflow 0
		.amdhsa_memory_ordered 1
		.amdhsa_forward_progress 1
		.amdhsa_inst_pref_size 31
		.amdhsa_round_robin_scheduling 0
		.amdhsa_exception_fp_ieee_invalid_op 0
		.amdhsa_exception_fp_denorm_src 0
		.amdhsa_exception_fp_ieee_div_zero 0
		.amdhsa_exception_fp_ieee_overflow 0
		.amdhsa_exception_fp_ieee_underflow 0
		.amdhsa_exception_fp_ieee_inexact 0
		.amdhsa_exception_int_div_zero 0
	.end_amdhsa_kernel
	.section	.text._ZL38rocblas_trsm_small_left_device_sharedBILi32ELi32ELb0E19rocblas_complex_numIfES1_PKS1_PS1_Ev13rocblas_fill_18rocblas_operation_17rocblas_diagonal_iiT3_T4_lilT5_lili,"axG",@progbits,_ZL38rocblas_trsm_small_left_device_sharedBILi32ELi32ELb0E19rocblas_complex_numIfES1_PKS1_PS1_Ev13rocblas_fill_18rocblas_operation_17rocblas_diagonal_iiT3_T4_lilT5_lili,comdat
.Lfunc_end168:
	.size	_ZL38rocblas_trsm_small_left_device_sharedBILi32ELi32ELb0E19rocblas_complex_numIfES1_PKS1_PS1_Ev13rocblas_fill_18rocblas_operation_17rocblas_diagonal_iiT3_T4_lilT5_lili, .Lfunc_end168-_ZL38rocblas_trsm_small_left_device_sharedBILi32ELi32ELb0E19rocblas_complex_numIfES1_PKS1_PS1_Ev13rocblas_fill_18rocblas_operation_17rocblas_diagonal_iiT3_T4_lilT5_lili
                                        ; -- End function
	.set _ZL38rocblas_trsm_small_left_device_sharedBILi32ELi32ELb0E19rocblas_complex_numIfES1_PKS1_PS1_Ev13rocblas_fill_18rocblas_operation_17rocblas_diagonal_iiT3_T4_lilT5_lili.num_vgpr, 34
	.set _ZL38rocblas_trsm_small_left_device_sharedBILi32ELi32ELb0E19rocblas_complex_numIfES1_PKS1_PS1_Ev13rocblas_fill_18rocblas_operation_17rocblas_diagonal_iiT3_T4_lilT5_lili.num_agpr, 0
	.set _ZL38rocblas_trsm_small_left_device_sharedBILi32ELi32ELb0E19rocblas_complex_numIfES1_PKS1_PS1_Ev13rocblas_fill_18rocblas_operation_17rocblas_diagonal_iiT3_T4_lilT5_lili.numbered_sgpr, 61
	.set _ZL38rocblas_trsm_small_left_device_sharedBILi32ELi32ELb0E19rocblas_complex_numIfES1_PKS1_PS1_Ev13rocblas_fill_18rocblas_operation_17rocblas_diagonal_iiT3_T4_lilT5_lili.num_named_barrier, 0
	.set _ZL38rocblas_trsm_small_left_device_sharedBILi32ELi32ELb0E19rocblas_complex_numIfES1_PKS1_PS1_Ev13rocblas_fill_18rocblas_operation_17rocblas_diagonal_iiT3_T4_lilT5_lili.private_seg_size, 272
	.set _ZL38rocblas_trsm_small_left_device_sharedBILi32ELi32ELb0E19rocblas_complex_numIfES1_PKS1_PS1_Ev13rocblas_fill_18rocblas_operation_17rocblas_diagonal_iiT3_T4_lilT5_lili.uses_vcc, 1
	.set _ZL38rocblas_trsm_small_left_device_sharedBILi32ELi32ELb0E19rocblas_complex_numIfES1_PKS1_PS1_Ev13rocblas_fill_18rocblas_operation_17rocblas_diagonal_iiT3_T4_lilT5_lili.uses_flat_scratch, 0
	.set _ZL38rocblas_trsm_small_left_device_sharedBILi32ELi32ELb0E19rocblas_complex_numIfES1_PKS1_PS1_Ev13rocblas_fill_18rocblas_operation_17rocblas_diagonal_iiT3_T4_lilT5_lili.has_dyn_sized_stack, 0
	.set _ZL38rocblas_trsm_small_left_device_sharedBILi32ELi32ELb0E19rocblas_complex_numIfES1_PKS1_PS1_Ev13rocblas_fill_18rocblas_operation_17rocblas_diagonal_iiT3_T4_lilT5_lili.has_recursion, 0
	.set _ZL38rocblas_trsm_small_left_device_sharedBILi32ELi32ELb0E19rocblas_complex_numIfES1_PKS1_PS1_Ev13rocblas_fill_18rocblas_operation_17rocblas_diagonal_iiT3_T4_lilT5_lili.has_indirect_call, 0
	.section	.AMDGPU.csdata,"",@progbits
; Kernel info:
; codeLenInByte = 3956
; TotalNumSgprs: 63
; NumVgprs: 34
; ScratchSize: 272
; MemoryBound: 0
; FloatMode: 240
; IeeeMode: 1
; LDSByteSize: 16384 bytes/workgroup (compile time only)
; SGPRBlocks: 0
; VGPRBlocks: 10
; NumSGPRsForWavesPerEU: 63
; NumVGPRsForWavesPerEU: 161
; NamedBarCnt: 0
; Occupancy: 5
; WaveLimiterHint : 0
; COMPUTE_PGM_RSRC2:SCRATCH_EN: 1
; COMPUTE_PGM_RSRC2:USER_SGPR: 2
; COMPUTE_PGM_RSRC2:TRAP_HANDLER: 0
; COMPUTE_PGM_RSRC2:TGID_X_EN: 1
; COMPUTE_PGM_RSRC2:TGID_Y_EN: 0
; COMPUTE_PGM_RSRC2:TGID_Z_EN: 1
; COMPUTE_PGM_RSRC2:TIDIG_COMP_CNT: 0
	.section	.text._ZL30rocblas_trsm_small_left_deviceILi32ELi32ELb0E19rocblas_complex_numIfES1_PKS1_PS1_Ev13rocblas_fill_18rocblas_operation_17rocblas_diagonal_iiT3_T4_lilT5_lili,"axG",@progbits,_ZL30rocblas_trsm_small_left_deviceILi32ELi32ELb0E19rocblas_complex_numIfES1_PKS1_PS1_Ev13rocblas_fill_18rocblas_operation_17rocblas_diagonal_iiT3_T4_lilT5_lili,comdat
	.globl	_ZL30rocblas_trsm_small_left_deviceILi32ELi32ELb0E19rocblas_complex_numIfES1_PKS1_PS1_Ev13rocblas_fill_18rocblas_operation_17rocblas_diagonal_iiT3_T4_lilT5_lili ; -- Begin function _ZL30rocblas_trsm_small_left_deviceILi32ELi32ELb0E19rocblas_complex_numIfES1_PKS1_PS1_Ev13rocblas_fill_18rocblas_operation_17rocblas_diagonal_iiT3_T4_lilT5_lili
	.p2align	8
	.type	_ZL30rocblas_trsm_small_left_deviceILi32ELi32ELb0E19rocblas_complex_numIfES1_PKS1_PS1_Ev13rocblas_fill_18rocblas_operation_17rocblas_diagonal_iiT3_T4_lilT5_lili,@function
_ZL30rocblas_trsm_small_left_deviceILi32ELi32ELb0E19rocblas_complex_numIfES1_PKS1_PS1_Ev13rocblas_fill_18rocblas_operation_17rocblas_diagonal_iiT3_T4_lilT5_lili: ; @_ZL30rocblas_trsm_small_left_deviceILi32ELi32ELb0E19rocblas_complex_numIfES1_PKS1_PS1_Ev13rocblas_fill_18rocblas_operation_17rocblas_diagonal_iiT3_T4_lilT5_lili
; %bb.0:
	s_load_b32 s33, s[0:1], 0x60
	s_bfe_u32 s2, ttmp6, 0x40014
	s_lshr_b32 s4, ttmp7, 16
	s_add_co_i32 s2, s2, 1
	s_bfe_u32 s5, ttmp6, 0x40008
	s_mul_i32 s2, s4, s2
	s_getreg_b32 s3, hwreg(HW_REG_IB_STS2, 6, 4)
	s_add_co_i32 s5, s5, s2
	s_cmp_eq_u32 s3, 0
	s_mov_b32 s17, 0
	s_cselect_b32 s2, s4, s5
	s_wait_kmcnt 0x0
	s_cmp_ge_u32 s2, s33
	s_cbranch_scc1 .LBB169_88
; %bb.1:
	s_clause 0x5
	s_load_b32 s28, s[0:1], 0x30
	s_load_b96 s[8:10], s[0:1], 0x48
	s_load_b128 s[4:7], s[0:1], 0x4
	s_load_b32 s12, s[0:1], 0x68
	s_load_b64 s[18:19], s[0:1], 0x14
	s_load_b64 s[20:21], s[0:1], 0x58
	v_mov_b64_e32 v[4:5], 0xbf80000000000000
	v_mov_b64_e32 v[10:11], 0x3f800000
	s_mov_b32 s41, 0
	s_get_pc_i64 s[22:23]
	s_add_nc_u64 s[22:23], s[22:23], __const._ZL30rocblas_trsm_small_left_deviceILi32ELi32ELb0E19rocblas_complex_numIfES1_PKS1_PS1_Ev13rocblas_fill_18rocblas_operation_17rocblas_diagonal_iiT3_T4_lilT5_lili.step_sizes@rel64+4
                                        ; implicit-def: $sgpr42
                                        ; implicit-def: $sgpr43
	v_lshlrev_b32_e32 v1, 8, v0
	s_wait_kmcnt 0x0
	s_ashr_i32 s29, s28, 31
	s_ashr_i32 s11, s10, 31
	s_cmp_lg_u32 s4, 0x71
	s_cselect_b32 s34, -1, 0
	s_min_i32 s35, s6, 32
	s_bfe_u32 s6, ttmp6, 0x4000c
	s_lshl_b64 s[30:31], s[8:9], 3
	s_add_co_i32 s6, s6, 1
	s_and_b32 s8, ttmp6, 15
	s_mul_i32 s6, ttmp9, s6
	s_add_co_i32 s16, s12, -1
	s_add_co_i32 s36, s35, -1
	s_add_co_i32 s8, s8, s6
	s_cmp_eq_u32 s3, 0
	s_mov_b32 s24, s18
	s_cselect_b32 s3, ttmp9, s8
	s_mov_b32 s25, s18
	s_lshl_b32 s6, s3, 5
	s_mov_b32 s26, s19
	v_or_b32_e32 v2, s6, v0
	s_mov_b32 s27, s19
	v_mov_b64_e32 v[14:15], s[24:25]
	v_mov_b64_e32 v[12:13], s[26:27]
	s_delay_alu instid0(VALU_DEP_3) | instskip(NEXT) | instid1(VALU_DEP_1)
	v_ashrrev_i32_e32 v3, 31, v2
	v_mul_u64_e32 v[6:7], s[10:11], v[2:3]
	s_clause 0x1
	s_load_b128 s[12:15], s[0:1], 0x20
	s_load_b128 s[8:11], s[0:1], 0x38
	s_wait_xcnt 0x0
	s_sub_co_i32 s0, s7, s6
	s_cmp_ge_u32 s3, s16
	v_lshlrev_b32_e32 v2, 3, v0
	s_cselect_b32 s1, s0, 32
	s_cmp_lg_u32 s5, 0x84
	v_mov_b32_e32 v3, 0
	s_cselect_b32 s37, -1, 0
	s_cmp_lg_u32 s4, 0x6f
	v_add_nc_u32_e32 v28, v2, v1
	s_cselect_b32 s38, -1, 0
	v_cmp_gt_i32_e64 s0, s35, v0
	v_cmp_gt_i32_e64 s1, s1, v0
	s_lshl_b32 s40, s35, 8
	s_mov_b32 s6, s19
	s_mov_b32 s7, s18
	s_or_b32 s39, 0, 8
	s_addk_co_i32 s40, 0xff00
	s_wait_kmcnt 0x0
	s_lshl_b64 s[4:5], s[14:15], 3
	s_add_nc_u64 s[10:11], s[10:11], s[30:31]
	s_add_nc_u64 s[4:5], s[12:13], s[4:5]
	s_delay_alu instid0(SALU_CYCLE_1) | instskip(SKIP_3) | instid1(VALU_DEP_2)
	v_add_nc_u64_e32 v[8:9], s[4:5], v[2:3]
	s_lshl_b64 s[4:5], s[8:9], 3
	s_lshl_b64 s[8:9], s[28:29], 3
	v_lshl_add_u64 v[0:1], v[6:7], 3, s[10:11]
	v_add_nc_u64_e32 v[6:7], 4, v[8:9]
	s_lshl_b64 s[10:11], s[20:21], 3
	s_delay_alu instid0(VALU_DEP_2)
	v_add_nc_u64_e32 v[8:9], 4, v[0:1]
	s_branch .LBB169_4
.LBB169_2:                              ;   in Loop: Header=BB169_4 Depth=1
	s_add_co_i32 s2, s2, 0x10000
	s_delay_alu instid0(SALU_CYCLE_1)
	s_cmp_ge_u32 s2, s33
	s_cselect_b32 s3, -1, 0
	s_and_not1_b32 s43, s43, exec_lo
	s_or_not1_b32 s12, s3, exec_lo
.LBB169_3:                              ;   in Loop: Header=BB169_4 Depth=1
	s_wait_xcnt 0x0
	s_or_b32 exec_lo, exec_lo, s44
	s_delay_alu instid0(SALU_CYCLE_1) | instskip(NEXT) | instid1(SALU_CYCLE_1)
	s_and_b32 s3, exec_lo, s12
	s_or_b32 s41, s3, s41
	s_and_not1_b32 s3, s42, exec_lo
	s_and_b32 s12, s43, exec_lo
	s_delay_alu instid0(SALU_CYCLE_1)
	s_or_b32 s42, s3, s12
	s_and_not1_b32 exec_lo, exec_lo, s41
	s_cbranch_execz .LBB169_87
.LBB169_4:                              ; =>This Loop Header: Depth=1
                                        ;     Child Loop BB169_7 Depth 2
                                        ;     Child Loop BB169_23 Depth 2
                                        ;       Child Loop BB169_26 Depth 3
                                        ;         Child Loop BB169_28 Depth 4
                                        ;         Child Loop BB169_32 Depth 4
	;; [unrolled: 1-line block ×3, first 2 shown]
                                        ;           Child Loop BB169_38 Depth 5
                                        ;           Child Loop BB169_44 Depth 5
                                        ;         Child Loop BB169_47 Depth 4
                                        ;           Child Loop BB169_49 Depth 5
                                        ;     Child Loop BB169_57 Depth 2
                                        ;       Child Loop BB169_60 Depth 3
                                        ;         Child Loop BB169_62 Depth 4
                                        ;         Child Loop BB169_66 Depth 4
	;; [unrolled: 1-line block ×3, first 2 shown]
                                        ;           Child Loop BB169_72 Depth 5
                                        ;           Child Loop BB169_78 Depth 5
                                        ;         Child Loop BB169_81 Depth 4
                                        ;           Child Loop BB169_83 Depth 5
	s_mov_b32 s3, s17
	s_and_saveexec_b32 s12, s0
	s_cbranch_execz .LBB169_19
; %bb.5:                                ;   in Loop: Header=BB169_4 Depth=1
	v_mad_nc_u64_u32 v[16:17], s4, s2, v[6:7]
	v_mov_b32_e32 v3, v2
	s_mov_b32 s13, s35
	s_delay_alu instid0(VALU_DEP_2)
	v_mad_u32 v17, s5, s2, v17
	s_branch .LBB169_7
.LBB169_6:                              ;   in Loop: Header=BB169_7 Depth=2
	global_load_b32 v18, v[16:17], off offset:-4
	s_wait_xcnt 0x0
	v_add_nc_u64_e32 v[16:17], s[8:9], v[16:17]
	s_add_co_i32 s13, s13, -1
	s_delay_alu instid0(SALU_CYCLE_1)
	s_cmp_eq_u32 s13, 0
	s_wait_loadcnt 0x0
	ds_store_b64 v3, v[18:19]
	v_add_nc_u32_e32 v3, 0x100, v3
	s_cbranch_scc1 .LBB169_11
.LBB169_7:                              ;   Parent Loop BB169_4 Depth=1
                                        ; =>  This Inner Loop Header: Depth=2
	s_and_b32 vcc_lo, exec_lo, s34
	s_mov_b32 s14, -1
                                        ; implicit-def: $vgpr19
	s_cbranch_vccz .LBB169_9
; %bb.8:                                ;   in Loop: Header=BB169_7 Depth=2
	global_load_b32 v19, v[16:17], off
	s_mov_b32 s14, 0
.LBB169_9:                              ;   in Loop: Header=BB169_7 Depth=2
	s_delay_alu instid0(SALU_CYCLE_1)
	s_and_not1_b32 vcc_lo, exec_lo, s14
	s_cbranch_vccnz .LBB169_6
; %bb.10:                               ;   in Loop: Header=BB169_7 Depth=2
	global_load_b32 v18, v[16:17], off
	s_wait_loadcnt 0x0
	v_xor_b32_e32 v19, 0x80000000, v18
	s_branch .LBB169_6
.LBB169_11:                             ;   in Loop: Header=BB169_4 Depth=1
	s_and_b32 vcc_lo, exec_lo, s37
	s_mov_b32 s13, -1
	s_cbranch_vccz .LBB169_17
; %bb.12:                               ;   in Loop: Header=BB169_4 Depth=1
	ds_load_b64 v[16:17], v28
                                        ; implicit-def: $vgpr18_vgpr19
	s_wait_dscnt 0x0
	v_cmp_ngt_f32_e64 s13, |v16|, |v17|
	s_and_saveexec_b32 s14, s13
	s_delay_alu instid0(SALU_CYCLE_1)
	s_xor_b32 s13, exec_lo, s14
	s_cbranch_execz .LBB169_14
; %bb.13:                               ;   in Loop: Header=BB169_4 Depth=1
	v_div_scale_f32 v3, null, v17, v17, v16
	v_div_scale_f32 v20, vcc_lo, v16, v17, v16
	s_delay_alu instid0(VALU_DEP_2) | instskip(SKIP_1) | instid1(TRANS32_DEP_1)
	v_rcp_f32_e32 v18, v3
	v_nop
	v_fma_f32 v19, -v3, v18, 1.0
	s_delay_alu instid0(VALU_DEP_1) | instskip(NEXT) | instid1(VALU_DEP_1)
	v_fmac_f32_e32 v18, v19, v18
	v_mul_f32_e32 v19, v20, v18
	s_delay_alu instid0(VALU_DEP_1) | instskip(NEXT) | instid1(VALU_DEP_1)
	v_fma_f32 v21, -v3, v19, v20
	v_fmac_f32_e32 v19, v21, v18
	s_delay_alu instid0(VALU_DEP_1) | instskip(NEXT) | instid1(VALU_DEP_1)
	v_fma_f32 v3, -v3, v19, v20
	v_div_fmas_f32 v3, v3, v18, v19
	s_delay_alu instid0(VALU_DEP_1) | instskip(NEXT) | instid1(VALU_DEP_1)
	v_div_fixup_f32 v18, v3, v17, v16
	v_fmac_f32_e32 v17, v16, v18
	s_delay_alu instid0(VALU_DEP_1) | instskip(SKIP_1) | instid1(VALU_DEP_2)
	v_div_scale_f32 v3, null, v17, v17, 1.0
	v_div_scale_f32 v20, vcc_lo, 1.0, v17, 1.0
	v_rcp_f32_e32 v16, v3
	v_nop
	s_delay_alu instid0(TRANS32_DEP_1) | instskip(NEXT) | instid1(VALU_DEP_1)
	v_fma_f32 v19, -v3, v16, 1.0
	v_fmac_f32_e32 v16, v19, v16
	s_delay_alu instid0(VALU_DEP_1) | instskip(NEXT) | instid1(VALU_DEP_1)
	v_mul_f32_e32 v19, v20, v16
	v_fma_f32 v21, -v3, v19, v20
	s_delay_alu instid0(VALU_DEP_1) | instskip(NEXT) | instid1(VALU_DEP_1)
	v_fmac_f32_e32 v19, v21, v16
	v_fma_f32 v3, -v3, v19, v20
	s_delay_alu instid0(VALU_DEP_1) | instskip(SKIP_1) | instid1(VALU_DEP_2)
	v_div_fmas_f32 v3, v3, v16, v19
	v_mul_f32_e32 v19, 0, v18
	v_div_fixup_f32 v16, v3, v17, 1.0
	s_delay_alu instid0(VALU_DEP_2) | instskip(NEXT) | instid1(VALU_DEP_1)
	v_pk_add_f32 v[18:19], v[18:19], v[4:5]
	v_pk_mul_f32 v[18:19], v[18:19], v[16:17] op_sel_hi:[1,0]
                                        ; implicit-def: $vgpr16_vgpr17
.LBB169_14:                             ;   in Loop: Header=BB169_4 Depth=1
	s_and_not1_saveexec_b32 s13, s13
	s_cbranch_execz .LBB169_16
; %bb.15:                               ;   in Loop: Header=BB169_4 Depth=1
	v_div_scale_f32 v3, null, v16, v16, v17
	v_div_scale_f32 v20, vcc_lo, v17, v16, v17
	s_delay_alu instid0(VALU_DEP_2) | instskip(SKIP_1) | instid1(TRANS32_DEP_1)
	v_rcp_f32_e32 v18, v3
	v_nop
	v_fma_f32 v19, -v3, v18, 1.0
	s_delay_alu instid0(VALU_DEP_1) | instskip(NEXT) | instid1(VALU_DEP_1)
	v_fmac_f32_e32 v18, v19, v18
	v_mul_f32_e32 v19, v20, v18
	s_delay_alu instid0(VALU_DEP_1) | instskip(NEXT) | instid1(VALU_DEP_1)
	v_fma_f32 v21, -v3, v19, v20
	v_fmac_f32_e32 v19, v21, v18
	s_delay_alu instid0(VALU_DEP_1) | instskip(NEXT) | instid1(VALU_DEP_1)
	v_fma_f32 v3, -v3, v19, v20
	v_div_fmas_f32 v3, v3, v18, v19
	s_delay_alu instid0(VALU_DEP_1) | instskip(NEXT) | instid1(VALU_DEP_1)
	v_div_fixup_f32 v3, v3, v16, v17
	v_fmac_f32_e32 v16, v17, v3
	s_delay_alu instid0(VALU_DEP_1) | instskip(SKIP_1) | instid1(VALU_DEP_2)
	v_div_scale_f32 v17, null, v16, v16, 1.0
	v_div_scale_f32 v20, vcc_lo, 1.0, v16, 1.0
	v_rcp_f32_e32 v18, v17
	v_nop
	s_delay_alu instid0(TRANS32_DEP_1) | instskip(NEXT) | instid1(VALU_DEP_1)
	v_fma_f32 v19, -v17, v18, 1.0
	v_fmac_f32_e32 v18, v19, v18
	s_delay_alu instid0(VALU_DEP_1) | instskip(NEXT) | instid1(VALU_DEP_1)
	v_mul_f32_e32 v19, v20, v18
	v_fma_f32 v21, -v17, v19, v20
	s_delay_alu instid0(VALU_DEP_1) | instskip(NEXT) | instid1(VALU_DEP_1)
	v_fmac_f32_e32 v19, v21, v18
	v_fma_f32 v17, -v17, v19, v20
	v_mul_f32_e32 v20, 0, v3
	s_delay_alu instid0(VALU_DEP_2) | instskip(NEXT) | instid1(VALU_DEP_2)
	v_div_fmas_f32 v17, v17, v18, v19
	v_dual_add_f32 v18, 1.0, v20 :: v_dual_sub_f32 v19, 0, v3
	s_delay_alu instid0(VALU_DEP_2) | instskip(NEXT) | instid1(VALU_DEP_1)
	v_div_fixup_f32 v16, v17, v16, 1.0
	v_pk_mul_f32 v[18:19], v[18:19], v[16:17] op_sel_hi:[1,0]
.LBB169_16:                             ;   in Loop: Header=BB169_4 Depth=1
	s_or_b32 exec_lo, exec_lo, s13
	s_mov_b32 s13, 0
	ds_store_b64 v28, v[18:19]
.LBB169_17:                             ;   in Loop: Header=BB169_4 Depth=1
	s_and_b32 vcc_lo, exec_lo, s13
	s_cbranch_vccz .LBB169_19
; %bb.18:                               ;   in Loop: Header=BB169_4 Depth=1
	ds_store_b64 v28, v[10:11]
.LBB169_19:                             ;   in Loop: Header=BB169_4 Depth=1
	s_or_b32 exec_lo, exec_lo, s12
	s_mov_b32 s12, -1
	s_or_b32 s43, s43, exec_lo
	s_wait_dscnt 0x0
	; wave barrier
	s_and_saveexec_b32 s44, s1
	s_cbranch_execz .LBB169_3
; %bb.20:                               ;   in Loop: Header=BB169_4 Depth=1
	s_mul_u64 s[12:13], s[20:21], s[2:3]
	s_and_not1_b32 vcc_lo, exec_lo, s38
	v_lshl_add_u64 v[16:17], s[12:13], 3, v[0:1]
	s_mul_u64 s[12:13], s[10:11], s[2:3]
	s_mov_b32 s3, -1
	s_cbranch_vccnz .LBB169_54
; %bb.21:                               ;   in Loop: Header=BB169_4 Depth=1
	v_add_nc_u64_e32 v[18:19], s[12:13], v[8:9]
	s_mov_b32 s3, 0
	s_mov_b32 s14, 0
	s_branch .LBB169_23
.LBB169_22:                             ;   in Loop: Header=BB169_23 Depth=2
	s_cmp_lt_i32 s14, s35
	s_cselect_b32 s15, -1, 0
	s_add_co_i32 s16, s3, 1
	s_cmp_lt_u32 s3, 2
	s_wait_xcnt 0x0
	s_cselect_b32 s3, -1, 0
	s_delay_alu instid0(SALU_CYCLE_1) | instskip(NEXT) | instid1(SALU_CYCLE_1)
	s_and_b32 s3, s15, s3
	s_and_b32 vcc_lo, exec_lo, s3
	s_mov_b32 s3, s16
	s_cbranch_vccz .LBB169_53
.LBB169_23:                             ;   Parent Loop BB169_4 Depth=1
                                        ; =>  This Loop Header: Depth=2
                                        ;       Child Loop BB169_26 Depth 3
                                        ;         Child Loop BB169_28 Depth 4
                                        ;         Child Loop BB169_32 Depth 4
	;; [unrolled: 1-line block ×3, first 2 shown]
                                        ;           Child Loop BB169_38 Depth 5
                                        ;           Child Loop BB169_44 Depth 5
                                        ;         Child Loop BB169_47 Depth 4
                                        ;           Child Loop BB169_49 Depth 5
	s_load_b32 s28, s[22:23], s3 offset:0x0 scale_offset
	s_wait_kmcnt 0x0
	s_add_co_i32 s45, s28, -1
	s_delay_alu instid0(SALU_CYCLE_1) | instskip(NEXT) | instid1(SALU_CYCLE_1)
	s_add_co_i32 s15, s45, s14
	s_cmp_ge_i32 s15, s35
	s_cbranch_scc1 .LBB169_22
; %bb.24:                               ;   in Loop: Header=BB169_23 Depth=2
	s_max_i32 s46, s28, 1
	s_cmp_lg_u32 s3, 2
	s_mul_i32 s50, s14, 0x108
	s_cselect_b32 s47, -1, 0
	s_and_b32 s48, s46, 0x7ffffffe
	s_mul_i32 s51, s28, 0x108
	s_cmp_lg_u32 s46, s48
	s_cselect_b32 s49, -1, 0
	s_ashr_i32 s15, s14, 31
	s_ashr_i32 s29, s28, 31
	s_branch .LBB169_26
.LBB169_25:                             ;   in Loop: Header=BB169_26 Depth=3
	s_add_nc_u64 s[14:15], s[14:15], s[28:29]
	s_add_co_i32 s50, s50, s51
	s_add_co_i32 s16, s45, s14
	s_delay_alu instid0(SALU_CYCLE_1)
	s_cmp_ge_i32 s16, s35
	s_cbranch_scc1 .LBB169_22
.LBB169_26:                             ;   Parent Loop BB169_4 Depth=1
                                        ;     Parent Loop BB169_23 Depth=2
                                        ; =>    This Loop Header: Depth=3
                                        ;         Child Loop BB169_28 Depth 4
                                        ;         Child Loop BB169_32 Depth 4
                                        ;         Child Loop BB169_36 Depth 4
                                        ;           Child Loop BB169_38 Depth 5
                                        ;           Child Loop BB169_44 Depth 5
                                        ;         Child Loop BB169_47 Depth 4
                                        ;           Child Loop BB169_49 Depth 5
	s_and_not1_b32 vcc_lo, exec_lo, s47
	s_cbranch_vccnz .LBB169_30
; %bb.27:                               ;   in Loop: Header=BB169_26 Depth=3
	s_mov_b32 s30, s14
	s_mov_b32 s31, s14
	s_mov_b32 s52, 1
	s_wait_xcnt 0x0
	s_mov_b32 s53, 0
	s_mov_b32 s54, s48
	;; [unrolled: 1-line block ×3, first 2 shown]
.LBB169_28:                             ;   Parent Loop BB169_4 Depth=1
                                        ;     Parent Loop BB169_23 Depth=2
                                        ;       Parent Loop BB169_26 Depth=3
                                        ; =>      This Inner Loop Header: Depth=4
	s_add_co_i32 s56, s52, s31
	s_add_co_i32 s58, s53, s30
	s_ashr_i32 s57, s56, 31
	s_ashr_i32 s59, s58, 31
	v_lshl_add_u64 v[20:21], s[56:57], 3, v[16:17]
	v_lshl_add_u64 v[22:23], s[58:59], 3, v[16:17]
	s_add_co_i32 s54, s54, -2
	s_add_co_i32 s53, s53, 2
	s_add_co_i32 s52, s52, 2
	s_clause 0x1
	global_load_b64 v[20:21], v[20:21], off
	global_load_b64 v[22:23], v[22:23], off
	s_mov_b32 s16, s48
	s_mov_b32 s56, s49
	s_wait_loadcnt 0x0
	s_wait_xcnt 0x1
	v_dual_mov_b32 v25, v20 :: v_dual_mov_b32 v20, v23
	v_mov_b32_e32 v24, v22
	s_wait_xcnt 0x0
	s_delay_alu instid0(VALU_DEP_2) | instskip(SKIP_1) | instid1(VALU_DEP_2)
	v_pk_mul_f32 v[22:23], v[20:21], v[12:13]
	v_pk_mul_f32 v[20:21], v[20:21], v[14:15]
	v_pk_fma_f32 v[26:27], v[24:25], v[14:15], v[22:23] neg_lo:[0,0,1] neg_hi:[0,0,1]
	s_delay_alu instid0(VALU_DEP_2) | instskip(NEXT) | instid1(VALU_DEP_1)
	v_pk_fma_f32 v[22:23], v[24:25], v[12:13], v[20:21]
	v_dual_mov_b32 v20, v26 :: v_dual_mov_b32 v21, v22
	s_delay_alu instid0(VALU_DEP_3)
	v_mov_b32_e32 v22, v27
	scratch_store_b128 off, v[20:23], s55 offset:-8
	s_wait_xcnt 0x0
	s_add_co_i32 s55, s55, 16
	s_cmp_lg_u32 s54, 0
	s_cbranch_scc1 .LBB169_28
; %bb.29:                               ;   in Loop: Header=BB169_26 Depth=3
	s_and_b32 vcc_lo, exec_lo, s56
	s_cbranch_vccnz .LBB169_31
	s_branch .LBB169_33
.LBB169_30:                             ;   in Loop: Header=BB169_26 Depth=3
	s_mov_b32 s16, 0
	s_cbranch_execz .LBB169_33
.LBB169_31:                             ;   in Loop: Header=BB169_26 Depth=3
	s_add_nc_u64 s[30:31], s[14:15], s[16:17]
	s_wait_xcnt 0x0
	v_lshl_add_u64 v[20:21], s[30:31], 3, v[18:19]
	s_lshl_b32 s30, s16, 3
	s_sub_co_i32 s16, s46, s16
.LBB169_32:                             ;   Parent Loop BB169_4 Depth=1
                                        ;     Parent Loop BB169_23 Depth=2
                                        ;       Parent Loop BB169_26 Depth=3
                                        ; =>      This Inner Loop Header: Depth=4
	global_load_b64 v[22:23], v[20:21], off offset:-4
	v_mov_b64_e32 v[24:25], s[6:7]
	v_mov_b64_e32 v[26:27], s[18:19]
	s_wait_xcnt 0x0
	v_add_nc_u64_e32 v[20:21], 8, v[20:21]
	s_add_co_i32 s16, s16, -1
	s_wait_loadcnt 0x0
	s_delay_alu instid0(VALU_DEP_3) | instskip(NEXT) | instid1(VALU_DEP_1)
	v_pk_mul_f32 v[24:25], v[22:23], v[24:25] op_sel:[1,0]
	v_pk_fma_f32 v[30:31], v[22:23], v[26:27], v[24:25] op_sel_hi:[0,1,1]
	v_pk_fma_f32 v[22:23], v[22:23], v[26:27], v[24:25] neg_lo:[0,0,1] neg_hi:[0,0,1]
	s_delay_alu instid0(VALU_DEP_2)
	v_mov_b32_e32 v23, v31
	scratch_store_b64 off, v[22:23], s30
	s_wait_xcnt 0x0
	s_add_co_i32 s30, s30, 8
	s_cmp_eq_u32 s16, 0
	s_cbranch_scc0 .LBB169_32
.LBB169_33:                             ;   in Loop: Header=BB169_26 Depth=3
	s_cmp_lt_i32 s14, 1
	s_cbranch_scc1 .LBB169_45
; %bb.34:                               ;   in Loop: Header=BB169_26 Depth=3
	s_mov_b32 s31, 0
	s_mov_b32 s30, s14
	;; [unrolled: 1-line block ×4, first 2 shown]
	s_branch .LBB169_36
.LBB169_35:                             ;   in Loop: Header=BB169_36 Depth=4
	s_add_co_i32 s16, s16, 1
	s_add_co_i32 s31, s31, 8
	s_cmp_eq_u32 s16, s14
	s_cbranch_scc1 .LBB169_45
.LBB169_36:                             ;   Parent Loop BB169_4 Depth=1
                                        ;     Parent Loop BB169_23 Depth=2
                                        ;       Parent Loop BB169_26 Depth=3
                                        ; =>      This Loop Header: Depth=4
                                        ;           Child Loop BB169_38 Depth 5
                                        ;           Child Loop BB169_44 Depth 5
	s_wait_xcnt 0x0
	v_lshl_add_u64 v[20:21], s[16:17], 3, v[16:17]
	s_and_b32 vcc_lo, exec_lo, s47
	global_load_b64 v[20:21], v[20:21], off
	s_cbranch_vccz .LBB169_40
; %bb.37:                               ;   in Loop: Header=BB169_36 Depth=4
	s_wait_loadcnt 0x0
	v_dual_mov_b32 v24, v20 :: v_dual_mov_b32 v25, v20
	v_dual_mov_b32 v22, v21 :: v_dual_mov_b32 v26, v21
	v_mov_b32_e32 v27, v21
	s_lshl_b32 s53, s16, 3
	s_mov_b32 s54, 1
	s_mov_b32 s55, 0
	;; [unrolled: 1-line block ×4, first 2 shown]
.LBB169_38:                             ;   Parent Loop BB169_4 Depth=1
                                        ;     Parent Loop BB169_23 Depth=2
                                        ;       Parent Loop BB169_26 Depth=3
                                        ;         Parent Loop BB169_36 Depth=4
                                        ; =>        This Inner Loop Header: Depth=5
	scratch_load_b128 v[30:33], off, s57 offset:-8
	s_add_co_i32 s58, s54, s52
	s_add_co_i32 s59, s55, s30
	s_lshl_b32 s58, s58, 8
	s_lshl_b32 s59, s59, 8
	s_add_co_i32 s58, s53, s58
	s_add_co_i32 s59, s53, s59
	s_delay_alu instid0(SALU_CYCLE_1)
	v_dual_mov_b32 v3, s58 :: v_dual_mov_b32 v23, s59
	s_add_co_i32 s56, s56, -2
	s_add_co_i32 s55, s55, 2
	ds_load_b64 v[34:35], v3
	ds_load_b64 v[36:37], v23
	s_add_co_i32 s54, s54, 2
	s_wait_dscnt 0x0
	v_dual_mov_b32 v39, v34 :: v_dual_mov_b32 v34, v37
	v_mov_b32_e32 v38, v36
	s_delay_alu instid0(VALU_DEP_2) | instskip(SKIP_1) | instid1(VALU_DEP_2)
	v_pk_mul_f32 v[36:37], v[34:35], v[26:27]
	v_pk_mul_f32 v[34:35], v[34:35], v[24:25]
	v_pk_fma_f32 v[36:37], v[38:39], v[24:25], v[36:37] neg_lo:[0,0,1] neg_hi:[0,0,1]
	s_delay_alu instid0(VALU_DEP_2) | instskip(SKIP_3) | instid1(VALU_DEP_2)
	v_pk_fma_f32 v[34:35], v[38:39], v[26:27], v[34:35]
	s_wait_loadcnt 0x0
	v_dual_mov_b32 v38, v30 :: v_dual_mov_b32 v39, v32
	v_mov_b32_e32 v32, v31
	v_pk_add_f32 v[36:37], v[38:39], v[36:37] neg_lo:[0,1] neg_hi:[0,1]
	s_delay_alu instid0(VALU_DEP_2) | instskip(NEXT) | instid1(VALU_DEP_1)
	v_pk_add_f32 v[32:33], v[32:33], v[34:35] neg_lo:[0,1] neg_hi:[0,1]
	v_dual_mov_b32 v30, v36 :: v_dual_mov_b32 v31, v32
	s_delay_alu instid0(VALU_DEP_3)
	v_mov_b32_e32 v32, v37
	scratch_store_b128 off, v[30:33], s57 offset:-8
	s_wait_xcnt 0x0
	s_add_co_i32 s57, s57, 16
	s_cmp_lg_u32 s56, 0
	s_cbranch_scc1 .LBB169_38
; %bb.39:                               ;   in Loop: Header=BB169_36 Depth=4
	s_mov_b32 s53, s49
	s_mov_b32 s54, s48
	s_branch .LBB169_42
.LBB169_40:                             ;   in Loop: Header=BB169_36 Depth=4
	s_wait_loadcnt 0x0
	v_mov_b32_e32 v22, v21
	s_mov_b32 s53, 0
	s_mov_b32 s54, s48
	s_cbranch_execz .LBB169_42
; %bb.41:                               ;   in Loop: Header=BB169_36 Depth=4
	s_mov_b32 s53, -1
	s_mov_b32 s54, 0
.LBB169_42:                             ;   in Loop: Header=BB169_36 Depth=4
	s_and_not1_b32 vcc_lo, exec_lo, s53
	s_cbranch_vccnz .LBB169_35
; %bb.43:                               ;   in Loop: Header=BB169_36 Depth=4
	s_add_co_i32 s55, s14, s54
	s_wait_xcnt 0x0
	v_dual_mov_b32 v23, v21 :: v_dual_mov_b32 v21, v20
	s_lshl_b32 s55, s55, 8
	s_lshl_b32 s56, s54, 3
	s_sub_co_i32 s53, s46, s54
	s_add_co_i32 s54, s31, s55
	s_mov_b32 s55, s56
.LBB169_44:                             ;   Parent Loop BB169_4 Depth=1
                                        ;     Parent Loop BB169_23 Depth=2
                                        ;       Parent Loop BB169_26 Depth=3
                                        ;         Parent Loop BB169_36 Depth=4
                                        ; =>        This Inner Loop Header: Depth=5
	scratch_load_b64 v[24:25], off, s55
	v_mov_b32_e32 v3, s54
	s_add_co_i32 s53, s53, -1
	s_addk_co_i32 s54, 0x100
	ds_load_b64 v[26:27], v3
	s_wait_dscnt 0x0
	v_pk_mul_f32 v[30:31], v[26:27], v[22:23] op_sel:[1,0] op_sel_hi:[0,1]
	s_delay_alu instid0(VALU_DEP_1) | instskip(SKIP_1) | instid1(VALU_DEP_2)
	v_pk_fma_f32 v[32:33], v[26:27], v[20:21], v[30:31]
	v_pk_fma_f32 v[26:27], v[26:27], v[20:21], v[30:31] neg_lo:[0,0,1] neg_hi:[0,0,1]
	v_mov_b32_e32 v27, v33
	s_wait_loadcnt 0x0
	s_delay_alu instid0(VALU_DEP_1)
	v_pk_add_f32 v[24:25], v[24:25], v[26:27] neg_lo:[0,1] neg_hi:[0,1]
	scratch_store_b64 off, v[24:25], s55
	s_wait_xcnt 0x0
	s_add_co_i32 s55, s55, 8
	s_cmp_eq_u32 s53, 0
	s_cbranch_scc0 .LBB169_44
	s_branch .LBB169_35
.LBB169_45:                             ;   in Loop: Header=BB169_26 Depth=3
	s_mov_b32 s16, 0
	s_mov_b32 s52, s50
	s_branch .LBB169_47
.LBB169_46:                             ;   in Loop: Header=BB169_47 Depth=4
	s_mul_i32 s31, s30, 0x108
	s_wait_xcnt 0x0
	s_lshl_b32 s53, s16, 3
	v_mov_b32_e32 v3, s31
	s_ashr_i32 s31, s30, 31
	s_add_co_i32 s16, s16, 1
	s_addk_co_i32 s52, 0x100
	s_cmp_eq_u32 s16, s46
	ds_load_b64 v[24:25], v3
	s_wait_dscnt 0x0
	v_pk_mul_f32 v[22:23], v[24:25], v[22:23] op_sel:[1,0] op_sel_hi:[0,0]
	s_delay_alu instid0(VALU_DEP_1) | instskip(SKIP_3) | instid1(VALU_DEP_3)
	v_pk_fma_f32 v[26:27], v[24:25], v[20:21], v[22:23] op_sel_hi:[1,0,1]
	s_wait_xcnt 0x0
	v_pk_fma_f32 v[20:21], v[24:25], v[20:21], v[22:23] neg_lo:[0,0,1] neg_hi:[0,0,1]
	v_lshl_add_u64 v[22:23], s[30:31], 3, v[16:17]
	v_mov_b32_e32 v21, v27
	scratch_store_b64 off, v[20:21], s53
	global_store_b64 v[22:23], v[20:21], off
	s_cbranch_scc1 .LBB169_25
.LBB169_47:                             ;   Parent Loop BB169_4 Depth=1
                                        ;     Parent Loop BB169_23 Depth=2
                                        ;       Parent Loop BB169_26 Depth=3
                                        ; =>      This Loop Header: Depth=4
                                        ;           Child Loop BB169_49 Depth 5
	s_cmp_lg_u32 s16, 0
	s_cbranch_scc0 .LBB169_51
; %bb.48:                               ;   in Loop: Header=BB169_47 Depth=4
	s_lshl_b32 s30, s16, 3
	s_mov_b32 s31, 0
	scratch_load_b64 v[20:21], off, s30
	s_mov_b32 s53, s52
	s_mov_b32 s54, s16
.LBB169_49:                             ;   Parent Loop BB169_4 Depth=1
                                        ;     Parent Loop BB169_23 Depth=2
                                        ;       Parent Loop BB169_26 Depth=3
                                        ;         Parent Loop BB169_47 Depth=4
                                        ; =>        This Inner Loop Header: Depth=5
	scratch_load_b64 v[22:23], off, s31
	v_mov_b32_e32 v3, s53
	s_add_co_i32 s54, s54, -1
	s_wait_xcnt 0x0
	s_add_co_i32 s31, s31, 8
	s_add_co_i32 s53, s53, 8
	s_cmp_eq_u32 s54, 0
	ds_load_b64 v[24:25], v3
	s_wait_loadcnt_dscnt 0x0
	v_pk_mul_f32 v[26:27], v[24:25], v[22:23] op_sel:[1,1] op_sel_hi:[0,1]
	s_delay_alu instid0(VALU_DEP_1) | instskip(SKIP_1) | instid1(VALU_DEP_2)
	v_pk_fma_f32 v[30:31], v[24:25], v[22:23], v[26:27] op_sel_hi:[1,0,1]
	v_pk_fma_f32 v[22:23], v[24:25], v[22:23], v[26:27] neg_lo:[0,0,1] neg_hi:[0,0,1]
	v_mov_b32_e32 v23, v31
	s_delay_alu instid0(VALU_DEP_1)
	v_pk_add_f32 v[20:21], v[20:21], v[22:23] neg_lo:[0,1] neg_hi:[0,1]
	scratch_store_b64 off, v[20:21], s30
	s_cbranch_scc0 .LBB169_49
; %bb.50:                               ;   in Loop: Header=BB169_47 Depth=4
	v_mov_b32_e32 v22, v21
	s_wait_xcnt 0x0
	s_add_co_i32 s30, s16, s14
	s_branch .LBB169_46
.LBB169_51:                             ;   in Loop: Header=BB169_47 Depth=4
                                        ; implicit-def: $vgpr20
                                        ; implicit-def: $vgpr22
                                        ; implicit-def: $sgpr30
	s_cbranch_execz .LBB169_46
; %bb.52:                               ;   in Loop: Header=BB169_47 Depth=4
	scratch_load_b64 v[20:21], off, off
	s_mov_b32 s30, s14
	s_wait_loadcnt 0x0
	v_mov_b32_e32 v22, v21
	s_branch .LBB169_46
.LBB169_53:                             ;   in Loop: Header=BB169_4 Depth=1
	s_mov_b32 s3, 0
.LBB169_54:                             ;   in Loop: Header=BB169_4 Depth=1
	s_delay_alu instid0(SALU_CYCLE_1)
	s_and_b32 vcc_lo, exec_lo, s3
	s_cbranch_vccz .LBB169_2
; %bb.55:                               ;   in Loop: Header=BB169_4 Depth=1
	v_add_nc_u64_e32 v[18:19], s[12:13], v[8:9]
	s_mov_b32 s3, 0
	s_mov_b32 s12, s36
	s_branch .LBB169_57
.LBB169_56:                             ;   in Loop: Header=BB169_57 Depth=2
	s_cmp_gt_i32 s12, -1
	s_cselect_b32 s13, -1, 0
	s_add_co_i32 s14, s3, 1
	s_cmp_lt_u32 s3, 2
	s_wait_xcnt 0x0
	s_cselect_b32 s3, -1, 0
	s_delay_alu instid0(SALU_CYCLE_1) | instskip(NEXT) | instid1(SALU_CYCLE_1)
	s_and_b32 s3, s13, s3
	s_and_not1_b32 vcc_lo, exec_lo, s3
	s_mov_b32 s3, s14
	s_cbranch_vccnz .LBB169_2
.LBB169_57:                             ;   Parent Loop BB169_4 Depth=1
                                        ; =>  This Loop Header: Depth=2
                                        ;       Child Loop BB169_60 Depth 3
                                        ;         Child Loop BB169_62 Depth 4
                                        ;         Child Loop BB169_66 Depth 4
	;; [unrolled: 1-line block ×3, first 2 shown]
                                        ;           Child Loop BB169_72 Depth 5
                                        ;           Child Loop BB169_78 Depth 5
                                        ;         Child Loop BB169_81 Depth 4
                                        ;           Child Loop BB169_83 Depth 5
	s_load_b32 s30, s[22:23], s3 offset:0x0 scale_offset
	s_wait_kmcnt 0x0
	s_add_co_i32 s31, s30, -1
	s_delay_alu instid0(SALU_CYCLE_1)
	s_cmp_lt_i32 s12, s31
	s_cbranch_scc1 .LBB169_56
; %bb.58:                               ;   in Loop: Header=BB169_57 Depth=2
	s_max_i32 s45, s30, 1
	s_cmp_lg_u32 s3, 2
	s_mul_i32 s51, s12, 0x108
	s_cselect_b32 s46, -1, 0
	s_and_b32 s47, s45, 0x7ffffffe
	s_mul_i32 s52, s30, 0xfffffef8
	s_cmp_lg_u32 s45, s47
	s_cselect_b32 s48, -1, 0
	s_lshl_b32 s13, s12, 3
	s_lshl_b32 s14, s30, 3
	s_add_co_i32 s49, s40, s13
	s_sub_co_i32 s50, 0, s14
	s_branch .LBB169_60
.LBB169_59:                             ;   in Loop: Header=BB169_60 Depth=3
	s_sub_co_i32 s12, s12, s30
	s_add_co_i32 s49, s49, s50
	s_add_co_i32 s51, s51, s52
	s_cmp_lt_i32 s12, s31
	s_cbranch_scc1 .LBB169_56
.LBB169_60:                             ;   Parent Loop BB169_4 Depth=1
                                        ;     Parent Loop BB169_57 Depth=2
                                        ; =>    This Loop Header: Depth=3
                                        ;         Child Loop BB169_62 Depth 4
                                        ;         Child Loop BB169_66 Depth 4
	;; [unrolled: 1-line block ×3, first 2 shown]
                                        ;           Child Loop BB169_72 Depth 5
                                        ;           Child Loop BB169_78 Depth 5
                                        ;         Child Loop BB169_81 Depth 4
                                        ;           Child Loop BB169_83 Depth 5
	s_and_not1_b32 vcc_lo, exec_lo, s46
	s_cbranch_vccnz .LBB169_64
; %bb.61:                               ;   in Loop: Header=BB169_60 Depth=3
	s_mov_b32 s13, s12
	s_mov_b32 s14, 1
	;; [unrolled: 1-line block ×3, first 2 shown]
	s_wait_xcnt 0x0
	s_mov_b32 s28, s47
	s_mov_b32 s29, s39
.LBB169_62:                             ;   Parent Loop BB169_4 Depth=1
                                        ;     Parent Loop BB169_57 Depth=2
                                        ;       Parent Loop BB169_60 Depth=3
                                        ; =>      This Inner Loop Header: Depth=4
	s_sub_co_i32 s54, s13, s14
	s_sub_co_i32 s56, s12, s15
	s_ashr_i32 s55, s54, 31
	s_ashr_i32 s57, s56, 31
	v_lshl_add_u64 v[20:21], s[54:55], 3, v[16:17]
	v_lshl_add_u64 v[22:23], s[56:57], 3, v[16:17]
	s_add_co_i32 s28, s28, -2
	s_add_co_i32 s15, s15, 2
	s_add_co_i32 s14, s14, 2
	s_clause 0x1
	global_load_b64 v[24:25], v[20:21], off
	global_load_b64 v[26:27], v[22:23], off
	s_wait_xcnt 0x1
	v_mov_b64_e32 v[20:21], s[26:27]
	s_wait_xcnt 0x0
	v_mov_b64_e32 v[22:23], s[24:25]
	s_mov_b32 s16, s47
	s_mov_b32 s53, s48
	s_wait_loadcnt 0x0
	v_dual_mov_b32 v31, v24 :: v_dual_mov_b32 v24, v27
	v_mov_b32_e32 v30, v26
	s_delay_alu instid0(VALU_DEP_2) | instskip(SKIP_1) | instid1(VALU_DEP_2)
	v_pk_mul_f32 v[26:27], v[24:25], v[20:21]
	v_pk_mul_f32 v[24:25], v[24:25], v[22:23]
	v_pk_fma_f32 v[26:27], v[30:31], v[22:23], v[26:27] neg_lo:[0,0,1] neg_hi:[0,0,1]
	s_delay_alu instid0(VALU_DEP_2) | instskip(NEXT) | instid1(VALU_DEP_1)
	v_pk_fma_f32 v[22:23], v[30:31], v[20:21], v[24:25]
	v_dual_mov_b32 v20, v26 :: v_dual_mov_b32 v21, v22
	s_delay_alu instid0(VALU_DEP_3)
	v_mov_b32_e32 v22, v27
	scratch_store_b128 off, v[20:23], s29 offset:-8
	s_wait_xcnt 0x0
	s_add_co_i32 s29, s29, 16
	s_cmp_lg_u32 s28, 0
	s_cbranch_scc1 .LBB169_62
; %bb.63:                               ;   in Loop: Header=BB169_60 Depth=3
	s_and_b32 vcc_lo, exec_lo, s53
	s_ashr_i32 s13, s12, 31
	s_cbranch_vccnz .LBB169_65
	s_branch .LBB169_67
.LBB169_64:                             ;   in Loop: Header=BB169_60 Depth=3
	s_mov_b32 s16, 0
	s_ashr_i32 s13, s12, 31
	s_cbranch_execz .LBB169_67
.LBB169_65:                             ;   in Loop: Header=BB169_60 Depth=3
	s_lshl_b64 s[14:15], s[12:13], 3
	s_wait_xcnt 0x0
	s_lshl_b64 s[28:29], s[16:17], 3
	s_delay_alu instid0(SALU_CYCLE_1) | instskip(NEXT) | instid1(SALU_CYCLE_1)
	s_sub_nc_u64 s[14:15], s[14:15], s[28:29]
	v_add_nc_u64_e32 v[20:21], s[14:15], v[18:19]
	s_lshl_b32 s15, s16, 3
	s_sub_co_i32 s14, s45, s16
.LBB169_66:                             ;   Parent Loop BB169_4 Depth=1
                                        ;     Parent Loop BB169_57 Depth=2
                                        ;       Parent Loop BB169_60 Depth=3
                                        ; =>      This Inner Loop Header: Depth=4
	global_load_b64 v[22:23], v[20:21], off offset:-4
	v_mov_b64_e32 v[24:25], s[6:7]
	v_mov_b64_e32 v[26:27], s[18:19]
	s_wait_xcnt 0x0
	v_add_nc_u64_e32 v[20:21], -8, v[20:21]
	s_add_co_i32 s14, s14, -1
	s_wait_loadcnt 0x0
	s_delay_alu instid0(VALU_DEP_3) | instskip(NEXT) | instid1(VALU_DEP_1)
	v_pk_mul_f32 v[24:25], v[22:23], v[24:25] op_sel:[1,0]
	v_pk_fma_f32 v[30:31], v[22:23], v[26:27], v[24:25] op_sel_hi:[0,1,1]
	v_pk_fma_f32 v[22:23], v[22:23], v[26:27], v[24:25] neg_lo:[0,0,1] neg_hi:[0,0,1]
	s_delay_alu instid0(VALU_DEP_2)
	v_mov_b32_e32 v23, v31
	scratch_store_b64 off, v[22:23], s15
	s_wait_xcnt 0x0
	s_add_co_i32 s15, s15, 8
	s_cmp_eq_u32 s14, 0
	s_cbranch_scc0 .LBB169_66
.LBB169_67:                             ;   in Loop: Header=BB169_60 Depth=3
	s_cmp_le_i32 s36, s12
	s_cbranch_scc1 .LBB169_79
; %bb.68:                               ;   in Loop: Header=BB169_60 Depth=3
	s_mov_b32 s16, s12
	s_wait_xcnt 0x0
	s_mov_b32 s28, s12
	s_mov_b32 s29, s49
	;; [unrolled: 1-line block ×3, first 2 shown]
	s_branch .LBB169_70
.LBB169_69:                             ;   in Loop: Header=BB169_70 Depth=4
	s_add_co_i32 s14, s14, -1
	s_addk_co_i32 s29, 0xff00
	s_cmp_le_i32 s14, s12
	s_cbranch_scc1 .LBB169_79
.LBB169_70:                             ;   Parent Loop BB169_4 Depth=1
                                        ;     Parent Loop BB169_57 Depth=2
                                        ;       Parent Loop BB169_60 Depth=3
                                        ; =>      This Loop Header: Depth=4
                                        ;           Child Loop BB169_72 Depth 5
                                        ;           Child Loop BB169_78 Depth 5
	s_ashr_i32 s15, s14, 31
	s_and_b32 vcc_lo, exec_lo, s46
	s_wait_xcnt 0x0
	v_lshl_add_u64 v[20:21], s[14:15], 3, v[16:17]
	global_load_b64 v[20:21], v[20:21], off
	s_cbranch_vccz .LBB169_74
; %bb.71:                               ;   in Loop: Header=BB169_70 Depth=4
	s_wait_loadcnt 0x0
	v_dual_mov_b32 v24, v20 :: v_dual_mov_b32 v25, v20
	v_dual_mov_b32 v22, v21 :: v_dual_mov_b32 v26, v21
	v_mov_b32_e32 v27, v21
	s_lshl_b32 s15, s14, 8
	s_mov_b32 s53, 1
	s_mov_b32 s54, 0
	;; [unrolled: 1-line block ×4, first 2 shown]
.LBB169_72:                             ;   Parent Loop BB169_4 Depth=1
                                        ;     Parent Loop BB169_57 Depth=2
                                        ;       Parent Loop BB169_60 Depth=3
                                        ;         Parent Loop BB169_70 Depth=4
                                        ; =>        This Inner Loop Header: Depth=5
	scratch_load_b128 v[30:33], off, s56 offset:-8
	s_sub_co_i32 s57, s28, s53
	s_sub_co_i32 s58, s16, s54
	s_lshl_b32 s57, s57, 3
	s_lshl_b32 s58, s58, 3
	s_add_co_i32 s57, s15, s57
	s_add_co_i32 s58, s15, s58
	s_delay_alu instid0(SALU_CYCLE_1)
	v_dual_mov_b32 v3, s57 :: v_dual_mov_b32 v23, s58
	s_add_co_i32 s55, s55, -2
	s_add_co_i32 s54, s54, 2
	ds_load_b64 v[34:35], v3
	ds_load_b64 v[36:37], v23
	s_add_co_i32 s53, s53, 2
	s_wait_dscnt 0x0
	v_dual_mov_b32 v39, v34 :: v_dual_mov_b32 v34, v37
	v_mov_b32_e32 v38, v36
	s_delay_alu instid0(VALU_DEP_2) | instskip(SKIP_1) | instid1(VALU_DEP_2)
	v_pk_mul_f32 v[36:37], v[34:35], v[26:27]
	v_pk_mul_f32 v[34:35], v[34:35], v[24:25]
	v_pk_fma_f32 v[36:37], v[38:39], v[24:25], v[36:37] neg_lo:[0,0,1] neg_hi:[0,0,1]
	s_delay_alu instid0(VALU_DEP_2) | instskip(SKIP_3) | instid1(VALU_DEP_2)
	v_pk_fma_f32 v[34:35], v[38:39], v[26:27], v[34:35]
	s_wait_loadcnt 0x0
	v_dual_mov_b32 v38, v30 :: v_dual_mov_b32 v39, v32
	v_mov_b32_e32 v32, v31
	v_pk_add_f32 v[36:37], v[38:39], v[36:37] neg_lo:[0,1] neg_hi:[0,1]
	s_delay_alu instid0(VALU_DEP_2) | instskip(NEXT) | instid1(VALU_DEP_1)
	v_pk_add_f32 v[32:33], v[32:33], v[34:35] neg_lo:[0,1] neg_hi:[0,1]
	v_dual_mov_b32 v30, v36 :: v_dual_mov_b32 v31, v32
	s_delay_alu instid0(VALU_DEP_3)
	v_mov_b32_e32 v32, v37
	scratch_store_b128 off, v[30:33], s56 offset:-8
	s_wait_xcnt 0x0
	s_add_co_i32 s56, s56, 16
	s_cmp_lg_u32 s55, 0
	s_cbranch_scc1 .LBB169_72
; %bb.73:                               ;   in Loop: Header=BB169_70 Depth=4
	s_mov_b32 s15, s48
	s_mov_b32 s53, s47
	s_branch .LBB169_76
.LBB169_74:                             ;   in Loop: Header=BB169_70 Depth=4
	s_wait_loadcnt 0x0
	v_mov_b32_e32 v22, v21
	s_mov_b32 s15, 0
	s_mov_b32 s53, s47
	s_cbranch_execz .LBB169_76
; %bb.75:                               ;   in Loop: Header=BB169_70 Depth=4
	s_mov_b32 s15, -1
	s_mov_b32 s53, 0
.LBB169_76:                             ;   in Loop: Header=BB169_70 Depth=4
	s_and_not1_b32 vcc_lo, exec_lo, s15
	s_cbranch_vccnz .LBB169_69
; %bb.77:                               ;   in Loop: Header=BB169_70 Depth=4
	s_wait_xcnt 0x0
	v_dual_mov_b32 v23, v21 :: v_dual_mov_b32 v21, v20
	s_lshl_b32 s54, s53, 3
	s_sub_co_i32 s15, s45, s53
	s_sub_co_i32 s53, s29, s54
.LBB169_78:                             ;   Parent Loop BB169_4 Depth=1
                                        ;     Parent Loop BB169_57 Depth=2
                                        ;       Parent Loop BB169_60 Depth=3
                                        ;         Parent Loop BB169_70 Depth=4
                                        ; =>        This Inner Loop Header: Depth=5
	scratch_load_b64 v[24:25], off, s54
	v_mov_b32_e32 v3, s53
	s_add_co_i32 s15, s15, -1
	s_add_co_i32 s53, s53, -8
	ds_load_b64 v[26:27], v3
	s_wait_dscnt 0x0
	v_pk_mul_f32 v[30:31], v[26:27], v[22:23] op_sel:[1,0] op_sel_hi:[0,1]
	s_delay_alu instid0(VALU_DEP_1) | instskip(SKIP_1) | instid1(VALU_DEP_2)
	v_pk_fma_f32 v[32:33], v[26:27], v[20:21], v[30:31]
	v_pk_fma_f32 v[26:27], v[26:27], v[20:21], v[30:31] neg_lo:[0,0,1] neg_hi:[0,0,1]
	v_mov_b32_e32 v27, v33
	s_wait_loadcnt 0x0
	s_delay_alu instid0(VALU_DEP_1)
	v_pk_add_f32 v[24:25], v[24:25], v[26:27] neg_lo:[0,1] neg_hi:[0,1]
	scratch_store_b64 off, v[24:25], s54
	s_wait_xcnt 0x0
	s_add_co_i32 s54, s54, 8
	s_cmp_eq_u32 s15, 0
	s_cbranch_scc0 .LBB169_78
	s_branch .LBB169_69
.LBB169_79:                             ;   in Loop: Header=BB169_60 Depth=3
	s_mov_b32 s16, 0
	s_mov_b32 s53, s51
	s_branch .LBB169_81
.LBB169_80:                             ;   in Loop: Header=BB169_81 Depth=4
	s_wait_xcnt 0x0
	s_mulk_i32 s28, 0x108
	v_lshl_add_u64 v[30:31], s[14:15], 3, v[16:17]
	v_mov_b32_e32 v3, s28
	s_lshl_b32 s28, s16, 3
	s_add_co_i32 s16, s16, 1
	s_add_co_i32 s53, s53, -8
	s_cmp_eq_u32 s16, s45
	ds_load_b64 v[24:25], v3
	s_wait_dscnt 0x0
	v_pk_mul_f32 v[22:23], v[24:25], v[22:23] op_sel:[1,0] op_sel_hi:[0,0]
	s_delay_alu instid0(VALU_DEP_1) | instskip(SKIP_2) | instid1(VALU_DEP_2)
	v_pk_fma_f32 v[26:27], v[24:25], v[20:21], v[22:23] op_sel_hi:[1,0,1]
	s_wait_xcnt 0x0
	v_pk_fma_f32 v[20:21], v[24:25], v[20:21], v[22:23] neg_lo:[0,0,1] neg_hi:[0,0,1]
	v_mov_b32_e32 v21, v27
	scratch_store_b64 off, v[20:21], s28
	global_store_b64 v[30:31], v[20:21], off
	s_cbranch_scc1 .LBB169_59
.LBB169_81:                             ;   Parent Loop BB169_4 Depth=1
                                        ;     Parent Loop BB169_57 Depth=2
                                        ;       Parent Loop BB169_60 Depth=3
                                        ; =>      This Loop Header: Depth=4
                                        ;           Child Loop BB169_83 Depth 5
	s_cmp_lg_u32 s16, 0
	s_cbranch_scc0 .LBB169_85
; %bb.82:                               ;   in Loop: Header=BB169_81 Depth=4
	s_lshl_b32 s14, s16, 3
	s_mov_b32 s15, 0
	scratch_load_b64 v[20:21], off, s14
	s_mov_b32 s28, s53
	s_mov_b32 s29, s16
.LBB169_83:                             ;   Parent Loop BB169_4 Depth=1
                                        ;     Parent Loop BB169_57 Depth=2
                                        ;       Parent Loop BB169_60 Depth=3
                                        ;         Parent Loop BB169_81 Depth=4
                                        ; =>        This Inner Loop Header: Depth=5
	scratch_load_b64 v[22:23], off, s15
	v_mov_b32_e32 v3, s28
	s_add_co_i32 s29, s29, -1
	s_addk_co_i32 s28, 0xff00
	s_wait_xcnt 0x0
	s_add_co_i32 s15, s15, 8
	s_cmp_eq_u32 s29, 0
	ds_load_b64 v[24:25], v3
	s_wait_loadcnt_dscnt 0x0
	v_pk_mul_f32 v[26:27], v[24:25], v[22:23] op_sel:[1,1] op_sel_hi:[0,1]
	s_delay_alu instid0(VALU_DEP_1) | instskip(SKIP_1) | instid1(VALU_DEP_2)
	v_pk_fma_f32 v[30:31], v[24:25], v[22:23], v[26:27] op_sel_hi:[1,0,1]
	v_pk_fma_f32 v[22:23], v[24:25], v[22:23], v[26:27] neg_lo:[0,0,1] neg_hi:[0,0,1]
	v_mov_b32_e32 v23, v31
	s_delay_alu instid0(VALU_DEP_1)
	v_pk_add_f32 v[20:21], v[20:21], v[22:23] neg_lo:[0,1] neg_hi:[0,1]
	scratch_store_b64 off, v[20:21], s14
	s_cbranch_scc0 .LBB169_83
; %bb.84:                               ;   in Loop: Header=BB169_81 Depth=4
	s_sub_co_i32 s28, s12, s16
	v_mov_b32_e32 v22, v21
	s_ashr_i32 s29, s28, 31
	s_wait_xcnt 0x0
	s_mov_b64 s[14:15], s[28:29]
	s_branch .LBB169_80
.LBB169_85:                             ;   in Loop: Header=BB169_81 Depth=4
                                        ; implicit-def: $vgpr20
                                        ; implicit-def: $vgpr22
                                        ; implicit-def: $sgpr28
                                        ; implicit-def: $sgpr14_sgpr15
	s_cbranch_execz .LBB169_80
; %bb.86:                               ;   in Loop: Header=BB169_81 Depth=4
	scratch_load_b64 v[20:21], off, off
	s_mov_b64 s[14:15], s[12:13]
	s_mov_b32 s28, s12
	s_wait_loadcnt 0x0
	v_mov_b32_e32 v22, v21
	s_branch .LBB169_80
.LBB169_87:
	s_or_b32 exec_lo, exec_lo, s41
	s_and_saveexec_b32 s0, s42
	s_delay_alu instid0(SALU_CYCLE_1)
	s_xor_b32 s0, exec_lo, s0
.LBB169_88:
	s_endpgm
	.section	.rodata,"a",@progbits
	.p2align	6, 0x0
	.amdhsa_kernel _ZL30rocblas_trsm_small_left_deviceILi32ELi32ELb0E19rocblas_complex_numIfES1_PKS1_PS1_Ev13rocblas_fill_18rocblas_operation_17rocblas_diagonal_iiT3_T4_lilT5_lili
		.amdhsa_group_segment_fixed_size 8192
		.amdhsa_private_segment_fixed_size 272
		.amdhsa_kernarg_size 360
		.amdhsa_user_sgpr_count 2
		.amdhsa_user_sgpr_dispatch_ptr 0
		.amdhsa_user_sgpr_queue_ptr 0
		.amdhsa_user_sgpr_kernarg_segment_ptr 1
		.amdhsa_user_sgpr_dispatch_id 0
		.amdhsa_user_sgpr_kernarg_preload_length 0
		.amdhsa_user_sgpr_kernarg_preload_offset 0
		.amdhsa_user_sgpr_private_segment_size 0
		.amdhsa_wavefront_size32 1
		.amdhsa_uses_dynamic_stack 0
		.amdhsa_enable_private_segment 1
		.amdhsa_system_sgpr_workgroup_id_x 1
		.amdhsa_system_sgpr_workgroup_id_y 0
		.amdhsa_system_sgpr_workgroup_id_z 1
		.amdhsa_system_sgpr_workgroup_info 0
		.amdhsa_system_vgpr_workitem_id 0
		.amdhsa_next_free_vgpr 81
		.amdhsa_next_free_sgpr 60
		.amdhsa_named_barrier_count 0
		.amdhsa_reserve_vcc 1
		.amdhsa_float_round_mode_32 0
		.amdhsa_float_round_mode_16_64 0
		.amdhsa_float_denorm_mode_32 3
		.amdhsa_float_denorm_mode_16_64 3
		.amdhsa_fp16_overflow 0
		.amdhsa_memory_ordered 1
		.amdhsa_forward_progress 1
		.amdhsa_inst_pref_size 33
		.amdhsa_round_robin_scheduling 0
		.amdhsa_exception_fp_ieee_invalid_op 0
		.amdhsa_exception_fp_denorm_src 0
		.amdhsa_exception_fp_ieee_div_zero 0
		.amdhsa_exception_fp_ieee_overflow 0
		.amdhsa_exception_fp_ieee_underflow 0
		.amdhsa_exception_fp_ieee_inexact 0
		.amdhsa_exception_int_div_zero 0
	.end_amdhsa_kernel
	.section	.text._ZL30rocblas_trsm_small_left_deviceILi32ELi32ELb0E19rocblas_complex_numIfES1_PKS1_PS1_Ev13rocblas_fill_18rocblas_operation_17rocblas_diagonal_iiT3_T4_lilT5_lili,"axG",@progbits,_ZL30rocblas_trsm_small_left_deviceILi32ELi32ELb0E19rocblas_complex_numIfES1_PKS1_PS1_Ev13rocblas_fill_18rocblas_operation_17rocblas_diagonal_iiT3_T4_lilT5_lili,comdat
.Lfunc_end169:
	.size	_ZL30rocblas_trsm_small_left_deviceILi32ELi32ELb0E19rocblas_complex_numIfES1_PKS1_PS1_Ev13rocblas_fill_18rocblas_operation_17rocblas_diagonal_iiT3_T4_lilT5_lili, .Lfunc_end169-_ZL30rocblas_trsm_small_left_deviceILi32ELi32ELb0E19rocblas_complex_numIfES1_PKS1_PS1_Ev13rocblas_fill_18rocblas_operation_17rocblas_diagonal_iiT3_T4_lilT5_lili
                                        ; -- End function
	.set _ZL30rocblas_trsm_small_left_deviceILi32ELi32ELb0E19rocblas_complex_numIfES1_PKS1_PS1_Ev13rocblas_fill_18rocblas_operation_17rocblas_diagonal_iiT3_T4_lilT5_lili.num_vgpr, 40
	.set _ZL30rocblas_trsm_small_left_deviceILi32ELi32ELb0E19rocblas_complex_numIfES1_PKS1_PS1_Ev13rocblas_fill_18rocblas_operation_17rocblas_diagonal_iiT3_T4_lilT5_lili.num_agpr, 0
	.set _ZL30rocblas_trsm_small_left_deviceILi32ELi32ELb0E19rocblas_complex_numIfES1_PKS1_PS1_Ev13rocblas_fill_18rocblas_operation_17rocblas_diagonal_iiT3_T4_lilT5_lili.numbered_sgpr, 60
	.set _ZL30rocblas_trsm_small_left_deviceILi32ELi32ELb0E19rocblas_complex_numIfES1_PKS1_PS1_Ev13rocblas_fill_18rocblas_operation_17rocblas_diagonal_iiT3_T4_lilT5_lili.num_named_barrier, 0
	.set _ZL30rocblas_trsm_small_left_deviceILi32ELi32ELb0E19rocblas_complex_numIfES1_PKS1_PS1_Ev13rocblas_fill_18rocblas_operation_17rocblas_diagonal_iiT3_T4_lilT5_lili.private_seg_size, 272
	.set _ZL30rocblas_trsm_small_left_deviceILi32ELi32ELb0E19rocblas_complex_numIfES1_PKS1_PS1_Ev13rocblas_fill_18rocblas_operation_17rocblas_diagonal_iiT3_T4_lilT5_lili.uses_vcc, 1
	.set _ZL30rocblas_trsm_small_left_deviceILi32ELi32ELb0E19rocblas_complex_numIfES1_PKS1_PS1_Ev13rocblas_fill_18rocblas_operation_17rocblas_diagonal_iiT3_T4_lilT5_lili.uses_flat_scratch, 0
	.set _ZL30rocblas_trsm_small_left_deviceILi32ELi32ELb0E19rocblas_complex_numIfES1_PKS1_PS1_Ev13rocblas_fill_18rocblas_operation_17rocblas_diagonal_iiT3_T4_lilT5_lili.has_dyn_sized_stack, 0
	.set _ZL30rocblas_trsm_small_left_deviceILi32ELi32ELb0E19rocblas_complex_numIfES1_PKS1_PS1_Ev13rocblas_fill_18rocblas_operation_17rocblas_diagonal_iiT3_T4_lilT5_lili.has_recursion, 0
	.set _ZL30rocblas_trsm_small_left_deviceILi32ELi32ELb0E19rocblas_complex_numIfES1_PKS1_PS1_Ev13rocblas_fill_18rocblas_operation_17rocblas_diagonal_iiT3_T4_lilT5_lili.has_indirect_call, 0
	.section	.AMDGPU.csdata,"",@progbits
; Kernel info:
; codeLenInByte = 4140
; TotalNumSgprs: 62
; NumVgprs: 40
; ScratchSize: 272
; MemoryBound: 0
; FloatMode: 240
; IeeeMode: 1
; LDSByteSize: 8192 bytes/workgroup (compile time only)
; SGPRBlocks: 0
; VGPRBlocks: 5
; NumSGPRsForWavesPerEU: 62
; NumVGPRsForWavesPerEU: 81
; NamedBarCnt: 0
; Occupancy: 10
; WaveLimiterHint : 1
; COMPUTE_PGM_RSRC2:SCRATCH_EN: 1
; COMPUTE_PGM_RSRC2:USER_SGPR: 2
; COMPUTE_PGM_RSRC2:TRAP_HANDLER: 0
; COMPUTE_PGM_RSRC2:TGID_X_EN: 1
; COMPUTE_PGM_RSRC2:TGID_Y_EN: 0
; COMPUTE_PGM_RSRC2:TGID_Z_EN: 1
; COMPUTE_PGM_RSRC2:TIDIG_COMP_CNT: 0
	.section	.text._ZL38rocblas_trsm_small_left_device_sharedBILi32ELi32ELb1E19rocblas_complex_numIfES1_PKS1_PS1_Ev13rocblas_fill_18rocblas_operation_17rocblas_diagonal_iiT3_T4_lilT5_lili,"axG",@progbits,_ZL38rocblas_trsm_small_left_device_sharedBILi32ELi32ELb1E19rocblas_complex_numIfES1_PKS1_PS1_Ev13rocblas_fill_18rocblas_operation_17rocblas_diagonal_iiT3_T4_lilT5_lili,comdat
	.globl	_ZL38rocblas_trsm_small_left_device_sharedBILi32ELi32ELb1E19rocblas_complex_numIfES1_PKS1_PS1_Ev13rocblas_fill_18rocblas_operation_17rocblas_diagonal_iiT3_T4_lilT5_lili ; -- Begin function _ZL38rocblas_trsm_small_left_device_sharedBILi32ELi32ELb1E19rocblas_complex_numIfES1_PKS1_PS1_Ev13rocblas_fill_18rocblas_operation_17rocblas_diagonal_iiT3_T4_lilT5_lili
	.p2align	8
	.type	_ZL38rocblas_trsm_small_left_device_sharedBILi32ELi32ELb1E19rocblas_complex_numIfES1_PKS1_PS1_Ev13rocblas_fill_18rocblas_operation_17rocblas_diagonal_iiT3_T4_lilT5_lili,@function
_ZL38rocblas_trsm_small_left_device_sharedBILi32ELi32ELb1E19rocblas_complex_numIfES1_PKS1_PS1_Ev13rocblas_fill_18rocblas_operation_17rocblas_diagonal_iiT3_T4_lilT5_lili: ; @_ZL38rocblas_trsm_small_left_device_sharedBILi32ELi32ELb1E19rocblas_complex_numIfES1_PKS1_PS1_Ev13rocblas_fill_18rocblas_operation_17rocblas_diagonal_iiT3_T4_lilT5_lili
; %bb.0:
	s_load_b32 s30, s[0:1], 0x60
	s_bfe_u32 s2, ttmp6, 0x40014
	s_lshr_b32 s4, ttmp7, 16
	s_add_co_i32 s2, s2, 1
	s_bfe_u32 s5, ttmp6, 0x40008
	s_mul_i32 s2, s4, s2
	s_getreg_b32 s3, hwreg(HW_REG_IB_STS2, 6, 4)
	s_add_co_i32 s5, s5, s2
	s_cmp_eq_u32 s3, 0
	s_mov_b32 s15, 0
	s_cselect_b32 s2, s4, s5
	s_wait_kmcnt 0x0
	s_cmp_ge_u32 s2, s30
	s_cbranch_scc1 .LBB170_86
; %bb.1:
	s_clause 0x4
	s_load_b32 s20, s[0:1], 0x30
	s_load_b96 s[12:14], s[0:1], 0x48
	s_load_b128 s[8:11], s[0:1], 0x4
	s_load_b32 s4, s[0:1], 0x68
	s_load_b64 s[16:17], s[0:1], 0x14
	v_dual_mov_b32 v1, 0 :: v_dual_lshlrev_b32 v2, 3, v0
	v_mov_b64_e32 v[8:9], 0xbf80000000000000
	v_mov_b64_e32 v[12:13], 0x3f800000
	s_load_b128 s[24:27], s[0:1], 0x20
	s_delay_alu instid0(VALU_DEP_3) | instskip(SKIP_1) | instid1(VALU_DEP_1)
	v_or_b32_e32 v22, 0x2000, v2
	v_dual_lshlrev_b32 v11, 8, v0 :: v_dual_mov_b32 v3, v1
	v_add_nc_u32_e32 v23, v2, v11
	s_wait_kmcnt 0x0
	s_ashr_i32 s21, s20, 31
	s_ashr_i32 s19, s14, 31
	s_cmp_lg_u32 s8, 0x71
	s_mov_b32 s18, s14
	s_cselect_b32 s31, -1, 0
	s_bfe_u32 s5, ttmp6, 0x4000c
	s_min_i32 s33, s10, 32
	s_add_co_i32 s5, s5, 1
	s_and_b32 s6, ttmp6, 15
	s_mul_i32 s5, ttmp9, s5
	s_lshl_b64 s[12:13], s[12:13], 3
	s_add_co_i32 s4, s4, -1
	s_add_co_i32 s34, s33, -1
	s_add_co_i32 s6, s6, s5
	s_cmp_eq_u32 s3, 0
	v_mul_u64_e32 v[6:7], s[18:19], v[0:1]
	s_cselect_b32 s3, ttmp9, s6
	s_delay_alu instid0(SALU_CYCLE_1) | instskip(NEXT) | instid1(SALU_CYCLE_1)
	s_lshl_b32 s22, s3, 5
	s_sub_co_i32 s5, s11, s22
	s_cmp_ge_u32 s3, s4
	s_mov_b32 s11, s17
	s_cselect_b32 s3, s5, 32
	s_ashr_i32 s23, s22, 31
	v_cmp_gt_i32_e32 vcc_lo, s3, v0
	s_mul_u64 s[4:5], s[18:19], s[22:23]
	s_delay_alu instid0(SALU_CYCLE_1)
	s_lshl_b64 s[28:29], s[4:5], 3
	s_load_b128 s[4:7], s[0:1], 0x38
	s_cmp_lg_u32 s9, 0x84
	s_cselect_b32 s35, -1, 0
	s_cmp_gt_i32 s10, 0
	s_cselect_b32 s3, -1, 0
	s_cmp_lg_u32 s8, 0x6f
	s_cselect_b32 s36, -1, 0
	s_and_b32 s37, vcc_lo, s3
	s_cmp_gt_i32 s10, 1
	s_mov_b32 s10, s17
	s_cselect_b32 s38, -1, 0
	s_and_b32 s39, s33, 62
	s_delay_alu instid0(SALU_CYCLE_1)
	s_cmp_lg_u32 s33, s39
	s_cselect_b32 s40, -1, 0
	s_lshl_b64 s[8:9], s[22:23], 3
	s_wait_kmcnt 0x0
	s_add_nc_u64 s[22:23], s[6:7], s[12:13]
	v_or_b32_e32 v10, s8, v2
	s_load_b64 s[6:7], s[0:1], 0x58
	s_wait_xcnt 0x0
	s_lshl_b64 s[0:1], s[26:27], 3
	s_lshl_b32 s41, s33, 3
	s_add_nc_u64 s[0:1], s[24:25], s[0:1]
	v_mad_nc_u64_u32 v[4:5], v10, s14, s[22:23]
	s_mov_b32 s8, s16
	s_mov_b32 s12, s17
	;; [unrolled: 1-line block ×3, first 2 shown]
	s_lshl_b64 s[4:5], s[4:5], 3
	s_lshl_b64 s[20:21], s[20:21], 3
	s_add_co_i32 s41, s41, -8
	s_get_pc_i64 s[24:25]
	s_add_nc_u64 s[24:25], s[24:25], __const._ZL38rocblas_trsm_small_left_device_sharedBILi32ELi32ELb1E19rocblas_complex_numIfES1_PKS1_PS1_Ev13rocblas_fill_18rocblas_operation_17rocblas_diagonal_iiT3_T4_lilT5_lili.step_sizes@rel64+4
	s_delay_alu instid0(VALU_DEP_1) | instskip(SKIP_1) | instid1(VALU_DEP_1)
	v_mad_u32 v5, s9, s14, v5
	s_mov_b32 s9, s16
	v_mad_u32 v5, v10, s19, v5
	v_add_nc_u64_e32 v[10:11], s[0:1], v[2:3]
	v_cmp_gt_i32_e64 s0, s33, v0
	s_add_nc_u64 s[18:19], s[22:23], s[28:29]
	s_wait_kmcnt 0x0
	s_lshl_b64 s[22:23], s[6:7], 3
	s_or_b32 s1, 0, 8
	v_add_nc_u64_e32 v[0:1], 4, v[10:11]
	v_add_nc_u64_e32 v[10:11], 4, v[4:5]
	s_branch .LBB170_3
.LBB170_2:                              ;   in Loop: Header=BB170_3 Depth=1
	s_or_b32 exec_lo, exec_lo, s3
	s_add_co_i32 s2, s2, 0x10000
	s_delay_alu instid0(SALU_CYCLE_1)
	s_cmp_lt_u32 s2, s30
	s_cbranch_scc0 .LBB170_86
.LBB170_3:                              ; =>This Loop Header: Depth=1
                                        ;     Child Loop BB170_6 Depth 2
                                        ;     Child Loop BB170_21 Depth 2
	;; [unrolled: 1-line block ×4, first 2 shown]
                                        ;       Child Loop BB170_32 Depth 3
                                        ;         Child Loop BB170_33 Depth 4
                                        ;         Child Loop BB170_37 Depth 4
                                        ;           Child Loop BB170_39 Depth 5
                                        ;           Child Loop BB170_45 Depth 5
                                        ;         Child Loop BB170_48 Depth 4
                                        ;           Child Loop BB170_50 Depth 5
                                        ;     Child Loop BB170_58 Depth 2
                                        ;       Child Loop BB170_61 Depth 3
                                        ;         Child Loop BB170_62 Depth 4
                                        ;         Child Loop BB170_66 Depth 4
                                        ;           Child Loop BB170_68 Depth 5
                                        ;           Child Loop BB170_74 Depth 5
                                        ;         Child Loop BB170_77 Depth 4
                                        ;           Child Loop BB170_79 Depth 5
                                        ;     Child Loop BB170_85 Depth 2
	s_mov_b32 s3, s15
	s_and_saveexec_b32 s14, s0
	s_cbranch_execz .LBB170_18
; %bb.4:                                ;   in Loop: Header=BB170_3 Depth=1
	s_delay_alu instid0(VALU_DEP_2) | instskip(SKIP_2) | instid1(VALU_DEP_2)
	v_mad_nc_u64_u32 v[14:15], s4, s2, v[0:1]
	v_mov_b32_e32 v3, v2
	s_mov_b32 s26, s33
	v_mad_u32 v15, s5, s2, v15
	s_branch .LBB170_6
.LBB170_5:                              ;   in Loop: Header=BB170_6 Depth=2
	global_load_b32 v16, v[14:15], off offset:-4
	s_wait_xcnt 0x0
	v_add_nc_u64_e32 v[14:15], s[20:21], v[14:15]
	s_add_co_i32 s26, s26, -1
	s_delay_alu instid0(SALU_CYCLE_1)
	s_cmp_eq_u32 s26, 0
	s_wait_loadcnt 0x0
	ds_store_b64 v3, v[16:17]
	v_add_nc_u32_e32 v3, 0x100, v3
	s_cbranch_scc1 .LBB170_10
.LBB170_6:                              ;   Parent Loop BB170_3 Depth=1
                                        ; =>  This Inner Loop Header: Depth=2
	s_and_b32 vcc_lo, exec_lo, s31
	s_mov_b32 s27, -1
                                        ; implicit-def: $vgpr17
	s_cbranch_vccz .LBB170_8
; %bb.7:                                ;   in Loop: Header=BB170_6 Depth=2
	global_load_b32 v17, v[14:15], off
	s_mov_b32 s27, 0
.LBB170_8:                              ;   in Loop: Header=BB170_6 Depth=2
	s_delay_alu instid0(SALU_CYCLE_1)
	s_and_not1_b32 vcc_lo, exec_lo, s27
	s_cbranch_vccnz .LBB170_5
; %bb.9:                                ;   in Loop: Header=BB170_6 Depth=2
	global_load_b32 v16, v[14:15], off
	s_wait_loadcnt 0x0
	v_xor_b32_e32 v17, 0x80000000, v16
	s_branch .LBB170_5
.LBB170_10:                             ;   in Loop: Header=BB170_3 Depth=1
	s_and_b32 vcc_lo, exec_lo, s35
	s_mov_b32 s26, -1
	s_cbranch_vccz .LBB170_16
; %bb.11:                               ;   in Loop: Header=BB170_3 Depth=1
	ds_load_b64 v[14:15], v23
                                        ; implicit-def: $vgpr16_vgpr17
	s_wait_dscnt 0x0
	v_cmp_ngt_f32_e64 s26, |v14|, |v15|
	s_and_saveexec_b32 s27, s26
	s_delay_alu instid0(SALU_CYCLE_1)
	s_xor_b32 s26, exec_lo, s27
	s_cbranch_execz .LBB170_13
; %bb.12:                               ;   in Loop: Header=BB170_3 Depth=1
	v_div_scale_f32 v3, null, v15, v15, v14
	v_div_scale_f32 v18, vcc_lo, v14, v15, v14
	s_delay_alu instid0(VALU_DEP_2) | instskip(SKIP_1) | instid1(TRANS32_DEP_1)
	v_rcp_f32_e32 v16, v3
	v_nop
	v_fma_f32 v17, -v3, v16, 1.0
	s_delay_alu instid0(VALU_DEP_1) | instskip(NEXT) | instid1(VALU_DEP_1)
	v_fmac_f32_e32 v16, v17, v16
	v_mul_f32_e32 v17, v18, v16
	s_delay_alu instid0(VALU_DEP_1) | instskip(NEXT) | instid1(VALU_DEP_1)
	v_fma_f32 v19, -v3, v17, v18
	v_fmac_f32_e32 v17, v19, v16
	s_delay_alu instid0(VALU_DEP_1) | instskip(NEXT) | instid1(VALU_DEP_1)
	v_fma_f32 v3, -v3, v17, v18
	v_div_fmas_f32 v3, v3, v16, v17
	s_delay_alu instid0(VALU_DEP_1) | instskip(NEXT) | instid1(VALU_DEP_1)
	v_div_fixup_f32 v16, v3, v15, v14
	v_fmac_f32_e32 v15, v14, v16
	s_delay_alu instid0(VALU_DEP_1) | instskip(SKIP_1) | instid1(VALU_DEP_2)
	v_div_scale_f32 v3, null, v15, v15, 1.0
	v_div_scale_f32 v18, vcc_lo, 1.0, v15, 1.0
	v_rcp_f32_e32 v14, v3
	v_nop
	s_delay_alu instid0(TRANS32_DEP_1) | instskip(NEXT) | instid1(VALU_DEP_1)
	v_fma_f32 v17, -v3, v14, 1.0
	v_fmac_f32_e32 v14, v17, v14
	s_delay_alu instid0(VALU_DEP_1) | instskip(NEXT) | instid1(VALU_DEP_1)
	v_mul_f32_e32 v17, v18, v14
	v_fma_f32 v19, -v3, v17, v18
	s_delay_alu instid0(VALU_DEP_1) | instskip(NEXT) | instid1(VALU_DEP_1)
	v_fmac_f32_e32 v17, v19, v14
	v_fma_f32 v3, -v3, v17, v18
	s_delay_alu instid0(VALU_DEP_1) | instskip(SKIP_1) | instid1(VALU_DEP_2)
	v_div_fmas_f32 v3, v3, v14, v17
	v_mul_f32_e32 v17, 0, v16
	v_div_fixup_f32 v14, v3, v15, 1.0
	s_delay_alu instid0(VALU_DEP_2) | instskip(NEXT) | instid1(VALU_DEP_1)
	v_pk_add_f32 v[16:17], v[16:17], v[8:9]
	v_pk_mul_f32 v[16:17], v[16:17], v[14:15] op_sel_hi:[1,0]
                                        ; implicit-def: $vgpr14_vgpr15
.LBB170_13:                             ;   in Loop: Header=BB170_3 Depth=1
	s_and_not1_saveexec_b32 s26, s26
	s_cbranch_execz .LBB170_15
; %bb.14:                               ;   in Loop: Header=BB170_3 Depth=1
	v_div_scale_f32 v3, null, v14, v14, v15
	v_div_scale_f32 v18, vcc_lo, v15, v14, v15
	s_delay_alu instid0(VALU_DEP_2) | instskip(SKIP_1) | instid1(TRANS32_DEP_1)
	v_rcp_f32_e32 v16, v3
	v_nop
	v_fma_f32 v17, -v3, v16, 1.0
	s_delay_alu instid0(VALU_DEP_1) | instskip(NEXT) | instid1(VALU_DEP_1)
	v_fmac_f32_e32 v16, v17, v16
	v_mul_f32_e32 v17, v18, v16
	s_delay_alu instid0(VALU_DEP_1) | instskip(NEXT) | instid1(VALU_DEP_1)
	v_fma_f32 v19, -v3, v17, v18
	v_fmac_f32_e32 v17, v19, v16
	s_delay_alu instid0(VALU_DEP_1) | instskip(NEXT) | instid1(VALU_DEP_1)
	v_fma_f32 v3, -v3, v17, v18
	v_div_fmas_f32 v3, v3, v16, v17
	s_delay_alu instid0(VALU_DEP_1) | instskip(NEXT) | instid1(VALU_DEP_1)
	v_div_fixup_f32 v3, v3, v14, v15
	v_fmac_f32_e32 v14, v15, v3
	s_delay_alu instid0(VALU_DEP_1) | instskip(SKIP_1) | instid1(VALU_DEP_2)
	v_div_scale_f32 v15, null, v14, v14, 1.0
	v_div_scale_f32 v18, vcc_lo, 1.0, v14, 1.0
	v_rcp_f32_e32 v16, v15
	v_nop
	s_delay_alu instid0(TRANS32_DEP_1) | instskip(NEXT) | instid1(VALU_DEP_1)
	v_fma_f32 v17, -v15, v16, 1.0
	v_fmac_f32_e32 v16, v17, v16
	s_delay_alu instid0(VALU_DEP_1) | instskip(NEXT) | instid1(VALU_DEP_1)
	v_mul_f32_e32 v17, v18, v16
	v_fma_f32 v19, -v15, v17, v18
	s_delay_alu instid0(VALU_DEP_1) | instskip(NEXT) | instid1(VALU_DEP_1)
	v_fmac_f32_e32 v17, v19, v16
	v_dual_fma_f32 v15, -v15, v17, v18 :: v_dual_mul_f32 v18, 0, v3
	s_delay_alu instid0(VALU_DEP_1) | instskip(NEXT) | instid1(VALU_DEP_2)
	v_div_fmas_f32 v15, v15, v16, v17
	v_dual_add_f32 v16, 1.0, v18 :: v_dual_sub_f32 v17, 0, v3
	s_delay_alu instid0(VALU_DEP_2) | instskip(NEXT) | instid1(VALU_DEP_1)
	v_div_fixup_f32 v14, v15, v14, 1.0
	v_pk_mul_f32 v[16:17], v[16:17], v[14:15] op_sel_hi:[1,0]
.LBB170_15:                             ;   in Loop: Header=BB170_3 Depth=1
	s_or_b32 exec_lo, exec_lo, s26
	s_mov_b32 s26, 0
	ds_store_b64 v23, v[16:17]
.LBB170_16:                             ;   in Loop: Header=BB170_3 Depth=1
	s_and_b32 vcc_lo, exec_lo, s26
	s_cbranch_vccz .LBB170_18
; %bb.17:                               ;   in Loop: Header=BB170_3 Depth=1
	ds_store_b64 v23, v[12:13]
.LBB170_18:                             ;   in Loop: Header=BB170_3 Depth=1
	s_or_b32 exec_lo, exec_lo, s14
	s_mul_u64 s[26:27], s[22:23], s[2:3]
	s_and_saveexec_b32 s42, s37
	s_cbranch_execz .LBB170_26
; %bb.19:                               ;   in Loop: Header=BB170_3 Depth=1
	s_and_not1_b32 vcc_lo, exec_lo, s38
	s_cbranch_vccnz .LBB170_23
; %bb.20:                               ;   in Loop: Header=BB170_3 Depth=1
	s_mul_u64 s[28:29], s[6:7], s[2:3]
	s_mov_b32 s14, 0
	s_lshl_b64 s[28:29], s[28:29], 3
	s_mov_b32 s3, s39
	s_add_nc_u64 s[28:29], s[18:19], s[28:29]
	s_delay_alu instid0(SALU_CYCLE_1)
	v_lshl_add_u64 v[14:15], v[6:7], 3, s[28:29]
	s_mov_b32 s28, 1
.LBB170_21:                             ;   Parent Loop BB170_3 Depth=1
                                        ; =>  This Inner Loop Header: Depth=2
	s_mov_b32 s29, s15
	s_delay_alu instid0(VALU_DEP_1)
	v_lshl_add_u64 v[16:17], s[14:15], 3, v[14:15]
	v_lshl_add_u64 v[18:19], s[28:29], 3, v[14:15]
	v_lshl_add_u32 v3, s14, 8, v22
	v_lshl_add_u32 v28, s28, 8, v22
	s_add_co_i32 s3, s3, -2
	s_clause 0x1
	global_load_b64 v[20:21], v[16:17], off
	global_load_b64 v[24:25], v[18:19], off
	s_wait_xcnt 0x1
	v_mov_b64_e32 v[16:17], s[10:11]
	s_wait_xcnt 0x0
	v_mov_b64_e32 v[18:19], s[8:9]
	s_add_co_i32 s14, s14, 2
	s_add_co_i32 s28, s28, 2
	s_mov_b32 s29, s39
	s_mov_b32 s43, s40
	s_cmp_lg_u32 s3, 0
	s_wait_loadcnt 0x0
	v_dual_mov_b32 v26, v20 :: v_dual_mov_b32 v27, v24
	v_mov_b32_e32 v24, v21
	s_delay_alu instid0(VALU_DEP_1) | instskip(SKIP_1) | instid1(VALU_DEP_2)
	v_pk_mul_f32 v[20:21], v[16:17], v[24:25]
	v_pk_mul_f32 v[24:25], v[18:19], v[24:25]
	v_pk_fma_f32 v[18:19], v[18:19], v[26:27], v[20:21] neg_lo:[0,0,1] neg_hi:[0,0,1]
	s_delay_alu instid0(VALU_DEP_2)
	v_pk_fma_f32 v[16:17], v[16:17], v[26:27], v[24:25]
	ds_store_b32 v3, v18
	ds_store_b32 v28, v19
	ds_store_b32 v3, v16 offset:4
	ds_store_b32 v28, v17 offset:4
	s_cbranch_scc1 .LBB170_21
; %bb.22:                               ;   in Loop: Header=BB170_3 Depth=1
	s_and_b32 vcc_lo, exec_lo, s43
	s_cbranch_vccnz .LBB170_24
	s_branch .LBB170_26
.LBB170_23:                             ;   in Loop: Header=BB170_3 Depth=1
	s_mov_b32 s29, 0
	s_cbranch_execz .LBB170_26
.LBB170_24:                             ;   in Loop: Header=BB170_3 Depth=1
	s_lshl_b32 s14, s29, 3
	v_lshl_add_u32 v3, s29, 8, v22
	s_add_nc_u64 s[44:45], s[26:27], s[14:15]
	s_sub_co_i32 s3, s33, s29
	v_add_nc_u64_e32 v[14:15], s[44:45], v[10:11]
.LBB170_25:                             ;   Parent Loop BB170_3 Depth=1
                                        ; =>  This Inner Loop Header: Depth=2
	global_load_b64 v[16:17], v[14:15], off offset:-4
	v_mov_b64_e32 v[18:19], s[12:13]
	v_mov_b64_e32 v[20:21], s[16:17]
	s_wait_xcnt 0x0
	v_add_nc_u64_e32 v[14:15], 8, v[14:15]
	s_add_co_i32 s3, s3, -1
	s_delay_alu instid0(SALU_CYCLE_1) | instskip(SKIP_2) | instid1(VALU_DEP_1)
	s_cmp_lg_u32 s3, 0
	s_wait_loadcnt 0x0
	v_pk_mul_f32 v[18:19], v[18:19], v[16:17] op_sel:[0,1]
	v_pk_fma_f32 v[24:25], v[20:21], v[16:17], v[18:19] op_sel_hi:[1,0,1]
	v_pk_fma_f32 v[16:17], v[20:21], v[16:17], v[18:19] neg_lo:[0,0,1] neg_hi:[0,0,1]
	s_delay_alu instid0(VALU_DEP_2)
	v_mov_b32_e32 v17, v25
	ds_store_b64 v3, v[16:17]
	v_add_nc_u32_e32 v3, 0x100, v3
	s_cbranch_scc1 .LBB170_25
.LBB170_26:                             ;   in Loop: Header=BB170_3 Depth=1
	s_or_b32 exec_lo, exec_lo, s42
	s_delay_alu instid0(SALU_CYCLE_1)
	s_and_not1_b32 vcc_lo, exec_lo, s36
	s_mov_b32 s3, -1
	s_wait_dscnt 0x0
	; wave barrier
	s_cbranch_vccnz .LBB170_55
; %bb.27:                               ;   in Loop: Header=BB170_3 Depth=1
	s_mov_b32 s14, 0
	s_mov_b32 s3, s34
	s_branch .LBB170_29
.LBB170_28:                             ;   in Loop: Header=BB170_29 Depth=2
	s_cmp_gt_i32 s3, -1
	s_cselect_b32 s28, -1, 0
	s_add_co_i32 s29, s14, 1
	s_cmp_lt_u32 s14, 2
	s_wait_xcnt 0x0
	s_cselect_b32 s14, -1, 0
	s_delay_alu instid0(SALU_CYCLE_1) | instskip(NEXT) | instid1(SALU_CYCLE_1)
	s_and_b32 s14, s28, s14
	s_and_b32 vcc_lo, exec_lo, s14
	s_mov_b32 s14, s29
	s_cbranch_vccz .LBB170_54
.LBB170_29:                             ;   Parent Loop BB170_3 Depth=1
                                        ; =>  This Loop Header: Depth=2
                                        ;       Child Loop BB170_32 Depth 3
                                        ;         Child Loop BB170_33 Depth 4
                                        ;         Child Loop BB170_37 Depth 4
                                        ;           Child Loop BB170_39 Depth 5
                                        ;           Child Loop BB170_45 Depth 5
                                        ;         Child Loop BB170_48 Depth 4
                                        ;           Child Loop BB170_50 Depth 5
	s_load_b32 s28, s[24:25], s14 offset:0x0 scale_offset
	s_wait_kmcnt 0x0
	s_add_co_i32 s29, s28, -1
	s_delay_alu instid0(SALU_CYCLE_1)
	s_cmp_lt_i32 s3, s29
	s_cbranch_scc1 .LBB170_28
; %bb.30:                               ;   in Loop: Header=BB170_29 Depth=2
	s_max_i32 s42, s28, 1
	s_cmp_lg_u32 s14, 2
	s_mul_i32 s48, s3, 0x108
	s_cselect_b32 s43, -1, 0
	s_and_b32 s44, s42, 0x7ffffffe
	s_mul_i32 s49, s28, 0xfffffef8
	s_cmp_lg_u32 s42, s44
	s_cselect_b32 s45, -1, 0
	s_lshl_b32 s47, s3, 8
	s_lshl_b32 s46, s28, 8
	v_add_nc_u32_e32 v3, s47, v22
	s_sub_co_i32 s46, 0, s46
	s_add_co_i32 s47, s41, s47
	s_branch .LBB170_32
.LBB170_31:                             ;   in Loop: Header=BB170_32 Depth=3
	v_add_nc_u32_e32 v3, s46, v3
	s_sub_co_i32 s3, s3, s28
	s_add_co_i32 s47, s47, s46
	s_add_co_i32 s48, s48, s49
	s_cmp_lt_i32 s3, s29
	s_cbranch_scc1 .LBB170_28
.LBB170_32:                             ;   Parent Loop BB170_3 Depth=1
                                        ;     Parent Loop BB170_29 Depth=2
                                        ; =>    This Loop Header: Depth=3
                                        ;         Child Loop BB170_33 Depth 4
                                        ;         Child Loop BB170_37 Depth 4
                                        ;           Child Loop BB170_39 Depth 5
                                        ;           Child Loop BB170_45 Depth 5
                                        ;         Child Loop BB170_48 Depth 4
                                        ;           Child Loop BB170_50 Depth 5
	s_wait_xcnt 0x0
	v_mov_b32_e32 v14, v3
	s_mov_b32 s50, 0
	s_mov_b32 s51, s42
.LBB170_33:                             ;   Parent Loop BB170_3 Depth=1
                                        ;     Parent Loop BB170_29 Depth=2
                                        ;       Parent Loop BB170_32 Depth=3
                                        ; =>      This Inner Loop Header: Depth=4
	ds_load_b64 v[16:17], v14
	v_add_nc_u32_e32 v14, 0xffffff00, v14
	s_add_co_i32 s51, s51, -1
	s_wait_dscnt 0x0
	scratch_store_b64 off, v[16:17], s50
	s_wait_xcnt 0x0
	s_add_co_i32 s50, s50, 8
	s_cmp_eq_u32 s51, 0
	s_cbranch_scc0 .LBB170_33
; %bb.34:                               ;   in Loop: Header=BB170_32 Depth=3
	s_cmp_le_i32 s34, s3
	s_cbranch_scc1 .LBB170_46
; %bb.35:                               ;   in Loop: Header=BB170_32 Depth=3
	s_mov_b32 s50, s3
	s_mov_b32 s51, s47
	;; [unrolled: 1-line block ×3, first 2 shown]
	s_branch .LBB170_37
.LBB170_36:                             ;   in Loop: Header=BB170_37 Depth=4
	s_add_co_i32 s52, s52, -1
	s_add_co_i32 s51, s51, -8
	s_cmp_le_i32 s52, s3
	s_cbranch_scc1 .LBB170_46
.LBB170_37:                             ;   Parent Loop BB170_3 Depth=1
                                        ;     Parent Loop BB170_29 Depth=2
                                        ;       Parent Loop BB170_32 Depth=3
                                        ; =>      This Loop Header: Depth=4
                                        ;           Child Loop BB170_39 Depth 5
                                        ;           Child Loop BB170_45 Depth 5
	v_lshl_add_u32 v14, s52, 8, v22
	s_and_b32 vcc_lo, exec_lo, s43
	ds_load_b64 v[14:15], v14
	s_cbranch_vccz .LBB170_41
; %bb.38:                               ;   in Loop: Header=BB170_37 Depth=4
	s_wait_dscnt 0x0
	v_dual_mov_b32 v18, v14 :: v_dual_mov_b32 v19, v14
	v_dual_mov_b32 v16, v15 :: v_dual_mov_b32 v20, v15
	v_mov_b32_e32 v21, v15
	s_lshl_b32 s53, s52, 3
	s_mov_b32 s54, 1
	s_mov_b32 s55, 0
	;; [unrolled: 1-line block ×4, first 2 shown]
.LBB170_39:                             ;   Parent Loop BB170_3 Depth=1
                                        ;     Parent Loop BB170_29 Depth=2
                                        ;       Parent Loop BB170_32 Depth=3
                                        ;         Parent Loop BB170_37 Depth=4
                                        ; =>        This Inner Loop Header: Depth=5
	scratch_load_b128 v[24:27], off, s57 offset:-8
	s_sub_co_i32 s58, s50, s54
	s_sub_co_i32 s59, s3, s55
	s_lshl_b32 s58, s58, 8
	s_lshl_b32 s59, s59, 8
	s_add_co_i32 s58, s53, s58
	s_add_co_i32 s59, s53, s59
	s_delay_alu instid0(SALU_CYCLE_1)
	v_dual_mov_b32 v17, s58 :: v_dual_mov_b32 v30, s59
	s_add_co_i32 s56, s56, -2
	s_add_co_i32 s55, s55, 2
	ds_load_b64 v[28:29], v17
	ds_load_b64 v[30:31], v30
	s_add_co_i32 s54, s54, 2
	s_wait_dscnt 0x0
	v_dual_mov_b32 v33, v28 :: v_dual_mov_b32 v28, v31
	v_mov_b32_e32 v32, v30
	s_delay_alu instid0(VALU_DEP_2) | instskip(SKIP_1) | instid1(VALU_DEP_2)
	v_pk_mul_f32 v[30:31], v[28:29], v[20:21]
	v_pk_mul_f32 v[28:29], v[28:29], v[18:19]
	v_pk_fma_f32 v[30:31], v[32:33], v[18:19], v[30:31] neg_lo:[0,0,1] neg_hi:[0,0,1]
	s_delay_alu instid0(VALU_DEP_2) | instskip(SKIP_3) | instid1(VALU_DEP_2)
	v_pk_fma_f32 v[28:29], v[32:33], v[20:21], v[28:29]
	s_wait_loadcnt 0x0
	v_dual_mov_b32 v32, v24 :: v_dual_mov_b32 v33, v26
	v_mov_b32_e32 v26, v25
	v_pk_add_f32 v[30:31], v[32:33], v[30:31] neg_lo:[0,1] neg_hi:[0,1]
	s_delay_alu instid0(VALU_DEP_2) | instskip(NEXT) | instid1(VALU_DEP_1)
	v_pk_add_f32 v[26:27], v[26:27], v[28:29] neg_lo:[0,1] neg_hi:[0,1]
	v_dual_mov_b32 v24, v30 :: v_dual_mov_b32 v25, v26
	s_delay_alu instid0(VALU_DEP_3)
	v_mov_b32_e32 v26, v31
	scratch_store_b128 off, v[24:27], s57 offset:-8
	s_wait_xcnt 0x0
	s_add_co_i32 s57, s57, 16
	s_cmp_lg_u32 s56, 0
	s_cbranch_scc1 .LBB170_39
; %bb.40:                               ;   in Loop: Header=BB170_37 Depth=4
	s_mov_b32 s53, s45
	s_mov_b32 s54, s44
	s_branch .LBB170_43
.LBB170_41:                             ;   in Loop: Header=BB170_37 Depth=4
	s_wait_dscnt 0x0
	v_mov_b32_e32 v16, v15
	s_mov_b32 s53, 0
	s_mov_b32 s54, s44
	s_cbranch_execz .LBB170_43
; %bb.42:                               ;   in Loop: Header=BB170_37 Depth=4
	s_mov_b32 s53, -1
	s_mov_b32 s54, 0
.LBB170_43:                             ;   in Loop: Header=BB170_37 Depth=4
	s_and_not1_b32 vcc_lo, exec_lo, s53
	s_cbranch_vccnz .LBB170_36
; %bb.44:                               ;   in Loop: Header=BB170_37 Depth=4
	v_dual_mov_b32 v17, v15 :: v_dual_mov_b32 v15, v14
	s_lshl_b32 s55, s54, 8
	s_lshl_b32 s56, s54, 3
	s_sub_co_i32 s53, s42, s54
	s_sub_co_i32 s54, s51, s55
	s_mov_b32 s55, s56
.LBB170_45:                             ;   Parent Loop BB170_3 Depth=1
                                        ;     Parent Loop BB170_29 Depth=2
                                        ;       Parent Loop BB170_32 Depth=3
                                        ;         Parent Loop BB170_37 Depth=4
                                        ; =>        This Inner Loop Header: Depth=5
	scratch_load_b64 v[18:19], off, s55
	v_mov_b32_e32 v20, s54
	s_add_co_i32 s53, s53, -1
	s_addk_co_i32 s54, 0xff00
	ds_load_b64 v[20:21], v20
	s_wait_dscnt 0x0
	v_pk_mul_f32 v[24:25], v[20:21], v[16:17] op_sel:[1,0] op_sel_hi:[0,1]
	s_delay_alu instid0(VALU_DEP_1) | instskip(SKIP_1) | instid1(VALU_DEP_2)
	v_pk_fma_f32 v[26:27], v[20:21], v[14:15], v[24:25]
	v_pk_fma_f32 v[20:21], v[20:21], v[14:15], v[24:25] neg_lo:[0,0,1] neg_hi:[0,0,1]
	v_mov_b32_e32 v21, v27
	s_wait_loadcnt 0x0
	s_delay_alu instid0(VALU_DEP_1)
	v_pk_add_f32 v[18:19], v[18:19], v[20:21] neg_lo:[0,1] neg_hi:[0,1]
	scratch_store_b64 off, v[18:19], s55
	s_wait_xcnt 0x0
	s_add_co_i32 s55, s55, 8
	s_cmp_eq_u32 s53, 0
	s_cbranch_scc0 .LBB170_45
	s_branch .LBB170_36
.LBB170_46:                             ;   in Loop: Header=BB170_32 Depth=3
	s_lshl_b32 s50, s3, 8
	s_mov_b32 s51, 0
	s_mov_b32 s52, s48
	s_branch .LBB170_48
.LBB170_47:                             ;   in Loop: Header=BB170_48 Depth=4
	s_wait_xcnt 0x0
	s_mulk_i32 s54, 0x108
	s_addk_co_i32 s52, 0xff00
	v_mov_b32_e32 v15, s54
	s_lshl_b32 s54, s51, 3
	s_add_co_i32 s51, s51, 1
	s_delay_alu instid0(SALU_CYCLE_1) | instskip(SKIP_3) | instid1(VALU_DEP_1)
	s_cmp_eq_u32 s51, s42
	ds_load_b64 v[18:19], v15
	s_wait_dscnt 0x0
	v_pk_mul_f32 v[16:17], v[18:19], v[16:17] op_sel:[1,0] op_sel_hi:[0,0]
	v_pk_fma_f32 v[20:21], v[18:19], v[14:15], v[16:17] op_sel_hi:[1,0,1]
	v_add_nc_u32_e32 v20, s53, v22
	v_pk_fma_f32 v[14:15], v[18:19], v[14:15], v[16:17] neg_lo:[0,0,1] neg_hi:[0,0,1]
	s_delay_alu instid0(VALU_DEP_3)
	v_mov_b32_e32 v15, v21
	scratch_store_b64 off, v[14:15], s54
	ds_store_b64 v20, v[14:15]
	s_cbranch_scc1 .LBB170_31
.LBB170_48:                             ;   Parent Loop BB170_3 Depth=1
                                        ;     Parent Loop BB170_29 Depth=2
                                        ;       Parent Loop BB170_32 Depth=3
                                        ; =>      This Loop Header: Depth=4
                                        ;           Child Loop BB170_50 Depth 5
	s_cmp_lg_u32 s51, 0
	s_cbranch_scc0 .LBB170_52
; %bb.49:                               ;   in Loop: Header=BB170_48 Depth=4
	s_lshl_b32 s53, s51, 3
	s_wait_xcnt 0x0
	s_mov_b32 s54, 0
	scratch_load_b64 v[14:15], off, s53
	s_mov_b32 s55, s52
	s_mov_b32 s56, s51
.LBB170_50:                             ;   Parent Loop BB170_3 Depth=1
                                        ;     Parent Loop BB170_29 Depth=2
                                        ;       Parent Loop BB170_32 Depth=3
                                        ;         Parent Loop BB170_48 Depth=4
                                        ; =>        This Inner Loop Header: Depth=5
	scratch_load_b64 v[16:17], off, s54
	v_mov_b32_e32 v18, s55
	s_add_co_i32 s56, s56, -1
	s_add_co_i32 s55, s55, -8
	s_wait_xcnt 0x0
	s_add_co_i32 s54, s54, 8
	s_cmp_eq_u32 s56, 0
	ds_load_b64 v[18:19], v18
	s_wait_loadcnt_dscnt 0x0
	v_pk_mul_f32 v[20:21], v[18:19], v[16:17] op_sel:[1,1] op_sel_hi:[0,1]
	s_delay_alu instid0(VALU_DEP_1) | instskip(SKIP_1) | instid1(VALU_DEP_2)
	v_pk_fma_f32 v[24:25], v[18:19], v[16:17], v[20:21] op_sel_hi:[1,0,1]
	v_pk_fma_f32 v[16:17], v[18:19], v[16:17], v[20:21] neg_lo:[0,0,1] neg_hi:[0,0,1]
	v_mov_b32_e32 v17, v25
	s_delay_alu instid0(VALU_DEP_1)
	v_pk_add_f32 v[14:15], v[14:15], v[16:17] neg_lo:[0,1] neg_hi:[0,1]
	scratch_store_b64 off, v[14:15], s53
	s_cbranch_scc0 .LBB170_50
; %bb.51:                               ;   in Loop: Header=BB170_48 Depth=4
	v_mov_b32_e32 v16, v15
	s_sub_co_i32 s54, s3, s51
	s_wait_xcnt 0x0
	s_lshl_b32 s53, s54, 8
	s_branch .LBB170_47
.LBB170_52:                             ;   in Loop: Header=BB170_48 Depth=4
                                        ; implicit-def: $vgpr14
                                        ; implicit-def: $vgpr16
                                        ; implicit-def: $sgpr54
                                        ; implicit-def: $sgpr53
	s_cbranch_execz .LBB170_47
; %bb.53:                               ;   in Loop: Header=BB170_48 Depth=4
	scratch_load_b64 v[14:15], off, off
	s_mov_b32 s53, s50
	s_mov_b32 s54, s3
	s_wait_loadcnt 0x0
	v_mov_b32_e32 v16, v15
	s_branch .LBB170_47
.LBB170_54:                             ;   in Loop: Header=BB170_3 Depth=1
	s_mov_b32 s3, 0
.LBB170_55:                             ;   in Loop: Header=BB170_3 Depth=1
	s_delay_alu instid0(SALU_CYCLE_1)
	s_and_b32 vcc_lo, exec_lo, s3
	s_cbranch_vccz .LBB170_83
; %bb.56:                               ;   in Loop: Header=BB170_3 Depth=1
	s_mov_b32 s14, 0
	s_mov_b32 s3, 0
	s_branch .LBB170_58
.LBB170_57:                             ;   in Loop: Header=BB170_58 Depth=2
	s_cmp_lt_i32 s3, s33
	s_cselect_b32 s28, -1, 0
	s_add_co_i32 s29, s14, 1
	s_cmp_lt_u32 s14, 2
	s_cselect_b32 s14, -1, 0
	s_delay_alu instid0(SALU_CYCLE_1) | instskip(NEXT) | instid1(SALU_CYCLE_1)
	s_and_b32 s14, s28, s14
	s_and_not1_b32 vcc_lo, exec_lo, s14
	s_mov_b32 s14, s29
	s_cbranch_vccnz .LBB170_83
.LBB170_58:                             ;   Parent Loop BB170_3 Depth=1
                                        ; =>  This Loop Header: Depth=2
                                        ;       Child Loop BB170_61 Depth 3
                                        ;         Child Loop BB170_62 Depth 4
                                        ;         Child Loop BB170_66 Depth 4
                                        ;           Child Loop BB170_68 Depth 5
                                        ;           Child Loop BB170_74 Depth 5
                                        ;         Child Loop BB170_77 Depth 4
                                        ;           Child Loop BB170_79 Depth 5
	s_load_b32 s28, s[24:25], s14 offset:0x0 scale_offset
	s_wait_kmcnt 0x0
	s_add_co_i32 s29, s28, -1
	s_delay_alu instid0(SALU_CYCLE_1) | instskip(NEXT) | instid1(SALU_CYCLE_1)
	s_add_co_i32 s42, s29, s3
	s_cmp_ge_i32 s42, s33
	s_cbranch_scc1 .LBB170_57
; %bb.59:                               ;   in Loop: Header=BB170_58 Depth=2
	s_max_i32 s42, s28, 1
	s_cmp_lg_u32 s14, 2
	v_lshl_add_u32 v3, s3, 8, v22
	s_cselect_b32 s43, -1, 0
	s_and_b32 s44, s42, 0x7ffffffe
	s_mul_i32 s49, s3, 0x108
	s_cmp_lg_u32 s42, s44
	s_mul_i32 s50, s28, 0x108
	s_cselect_b32 s45, -1, 0
	s_lshl_b32 s46, s28, 8
	s_lshl_b32 s47, s3, 3
	;; [unrolled: 1-line block ×3, first 2 shown]
	s_branch .LBB170_61
.LBB170_60:                             ;   in Loop: Header=BB170_61 Depth=3
	s_add_co_i32 s3, s3, s28
	v_add_nc_u32_e32 v3, s46, v3
	s_add_co_i32 s51, s29, s3
	s_add_co_i32 s47, s47, s48
	;; [unrolled: 1-line block ×3, first 2 shown]
	s_cmp_ge_i32 s51, s33
	s_cbranch_scc1 .LBB170_57
.LBB170_61:                             ;   Parent Loop BB170_3 Depth=1
                                        ;     Parent Loop BB170_58 Depth=2
                                        ; =>    This Loop Header: Depth=3
                                        ;         Child Loop BB170_62 Depth 4
                                        ;         Child Loop BB170_66 Depth 4
                                        ;           Child Loop BB170_68 Depth 5
                                        ;           Child Loop BB170_74 Depth 5
                                        ;         Child Loop BB170_77 Depth 4
                                        ;           Child Loop BB170_79 Depth 5
	s_wait_xcnt 0x0
	v_mov_b32_e32 v14, v3
	s_mov_b32 s51, 0
	s_mov_b32 s52, s42
.LBB170_62:                             ;   Parent Loop BB170_3 Depth=1
                                        ;     Parent Loop BB170_58 Depth=2
                                        ;       Parent Loop BB170_61 Depth=3
                                        ; =>      This Inner Loop Header: Depth=4
	ds_load_b64 v[16:17], v14
	v_add_nc_u32_e32 v14, 0x100, v14
	s_add_co_i32 s52, s52, -1
	s_wait_dscnt 0x0
	scratch_store_b64 off, v[16:17], s51
	s_wait_xcnt 0x0
	s_add_co_i32 s51, s51, 8
	s_cmp_eq_u32 s52, 0
	s_cbranch_scc0 .LBB170_62
; %bb.63:                               ;   in Loop: Header=BB170_61 Depth=3
	s_cmp_lt_i32 s3, 1
	s_cbranch_scc1 .LBB170_75
; %bb.64:                               ;   in Loop: Header=BB170_61 Depth=3
	s_mov_b32 s51, 0
	s_mov_b32 s52, s47
	s_branch .LBB170_66
.LBB170_65:                             ;   in Loop: Header=BB170_66 Depth=4
	s_add_co_i32 s51, s51, 1
	s_addk_co_i32 s52, 0x100
	s_cmp_eq_u32 s51, s3
	s_cbranch_scc1 .LBB170_75
.LBB170_66:                             ;   Parent Loop BB170_3 Depth=1
                                        ;     Parent Loop BB170_58 Depth=2
                                        ;       Parent Loop BB170_61 Depth=3
                                        ; =>      This Loop Header: Depth=4
                                        ;           Child Loop BB170_68 Depth 5
                                        ;           Child Loop BB170_74 Depth 5
	v_lshl_add_u32 v14, s51, 8, v22
	s_and_b32 vcc_lo, exec_lo, s43
	ds_load_b64 v[14:15], v14
	s_cbranch_vccz .LBB170_70
; %bb.67:                               ;   in Loop: Header=BB170_66 Depth=4
	s_wait_dscnt 0x0
	s_wait_xcnt 0x0
	v_dual_mov_b32 v18, v14 :: v_dual_mov_b32 v19, v14
	v_dual_mov_b32 v16, v15 :: v_dual_mov_b32 v20, v15
	v_mov_b32_e32 v21, v15
	s_mov_b32 s53, s44
	s_mov_b32 s54, s1
	;; [unrolled: 1-line block ×3, first 2 shown]
.LBB170_68:                             ;   Parent Loop BB170_3 Depth=1
                                        ;     Parent Loop BB170_58 Depth=2
                                        ;       Parent Loop BB170_61 Depth=3
                                        ;         Parent Loop BB170_66 Depth=4
                                        ; =>        This Inner Loop Header: Depth=5
	scratch_load_b128 v[24:27], off, s54 offset:-8
	v_mov_b32_e32 v17, s55
	s_add_co_i32 s53, s53, -2
	s_add_co_i32 s55, s55, 16
	ds_load_2addr_b64 v[28:31], v17 offset1:1
	s_wait_dscnt 0x0
	v_dual_mov_b32 v33, v30 :: v_dual_mov_b32 v30, v29
	v_mov_b32_e32 v32, v28
	s_delay_alu instid0(VALU_DEP_2) | instskip(SKIP_1) | instid1(VALU_DEP_2)
	v_pk_mul_f32 v[28:29], v[30:31], v[20:21]
	v_pk_mul_f32 v[30:31], v[30:31], v[18:19]
	v_pk_fma_f32 v[28:29], v[32:33], v[18:19], v[28:29] neg_lo:[0,0,1] neg_hi:[0,0,1]
	s_delay_alu instid0(VALU_DEP_2) | instskip(SKIP_2) | instid1(VALU_DEP_1)
	v_pk_fma_f32 v[30:31], v[32:33], v[20:21], v[30:31]
	s_wait_loadcnt 0x0
	v_dual_mov_b32 v32, v24 :: v_dual_mov_b32 v33, v26
	v_pk_add_f32 v[28:29], v[32:33], v[28:29] neg_lo:[0,1] neg_hi:[0,1]
	s_delay_alu instid0(VALU_DEP_1) | instskip(NEXT) | instid1(VALU_DEP_1)
	v_dual_mov_b32 v26, v25 :: v_dual_mov_b32 v24, v28
	v_pk_add_f32 v[26:27], v[26:27], v[30:31] neg_lo:[0,1] neg_hi:[0,1]
	s_delay_alu instid0(VALU_DEP_1)
	v_dual_mov_b32 v25, v26 :: v_dual_mov_b32 v26, v29
	scratch_store_b128 off, v[24:27], s54 offset:-8
	s_wait_xcnt 0x0
	s_add_co_i32 s54, s54, 16
	s_cmp_lg_u32 s53, 0
	s_cbranch_scc1 .LBB170_68
; %bb.69:                               ;   in Loop: Header=BB170_66 Depth=4
	s_mov_b32 s53, s45
	s_mov_b32 s54, s44
	s_branch .LBB170_72
.LBB170_70:                             ;   in Loop: Header=BB170_66 Depth=4
	s_wait_dscnt 0x0
	v_mov_b32_e32 v16, v15
	s_mov_b32 s53, 0
	s_mov_b32 s54, s44
	s_cbranch_execz .LBB170_72
; %bb.71:                               ;   in Loop: Header=BB170_66 Depth=4
	s_mov_b32 s53, -1
	s_mov_b32 s54, 0
.LBB170_72:                             ;   in Loop: Header=BB170_66 Depth=4
	s_and_not1_b32 vcc_lo, exec_lo, s53
	s_cbranch_vccnz .LBB170_65
; %bb.73:                               ;   in Loop: Header=BB170_66 Depth=4
	v_dual_mov_b32 v17, v15 :: v_dual_mov_b32 v15, v14
	s_sub_co_i32 s53, s42, s54
	s_lshl_b32 s54, s54, 3
.LBB170_74:                             ;   Parent Loop BB170_3 Depth=1
                                        ;     Parent Loop BB170_58 Depth=2
                                        ;       Parent Loop BB170_61 Depth=3
                                        ;         Parent Loop BB170_66 Depth=4
                                        ; =>        This Inner Loop Header: Depth=5
	scratch_load_b64 v[18:19], off, s54
	s_add_co_i32 s56, s52, s54
	s_add_co_i32 s53, s53, -1
	v_mov_b32_e32 v20, s56
	s_mov_b32 s55, s54
	s_wait_xcnt 0x0
	s_add_co_i32 s54, s54, 8
	s_cmp_eq_u32 s53, 0
	ds_load_b64 v[20:21], v20
	s_wait_dscnt 0x0
	v_pk_mul_f32 v[24:25], v[20:21], v[16:17] op_sel:[1,0] op_sel_hi:[0,1]
	s_delay_alu instid0(VALU_DEP_1) | instskip(SKIP_1) | instid1(VALU_DEP_2)
	v_pk_fma_f32 v[26:27], v[20:21], v[14:15], v[24:25]
	v_pk_fma_f32 v[20:21], v[20:21], v[14:15], v[24:25] neg_lo:[0,0,1] neg_hi:[0,0,1]
	v_mov_b32_e32 v21, v27
	s_wait_loadcnt 0x0
	s_delay_alu instid0(VALU_DEP_1)
	v_pk_add_f32 v[18:19], v[18:19], v[20:21] neg_lo:[0,1] neg_hi:[0,1]
	scratch_store_b64 off, v[18:19], s55
	s_cbranch_scc0 .LBB170_74
	s_branch .LBB170_65
.LBB170_75:                             ;   in Loop: Header=BB170_61 Depth=3
	s_mov_b32 s51, 0
	s_mov_b32 s52, s49
	s_branch .LBB170_77
.LBB170_76:                             ;   in Loop: Header=BB170_77 Depth=4
	s_add_co_i32 s53, s51, s3
	s_add_co_i32 s52, s52, 8
	s_wait_xcnt 0x0
	s_mul_i32 s54, s53, 0x108
	s_delay_alu instid0(SALU_CYCLE_1) | instskip(SKIP_2) | instid1(SALU_CYCLE_1)
	v_mov_b32_e32 v15, s54
	s_lshl_b32 s54, s51, 3
	s_add_co_i32 s51, s51, 1
	s_cmp_eq_u32 s51, s42
	s_wait_xcnt 0x0
	ds_load_b64 v[18:19], v15
	s_wait_dscnt 0x0
	v_pk_mul_f32 v[16:17], v[18:19], v[16:17] op_sel:[1,0] op_sel_hi:[0,0]
	s_delay_alu instid0(VALU_DEP_1) | instskip(SKIP_2) | instid1(VALU_DEP_3)
	v_pk_fma_f32 v[20:21], v[18:19], v[14:15], v[16:17] op_sel_hi:[1,0,1]
	v_pk_fma_f32 v[14:15], v[18:19], v[14:15], v[16:17] neg_lo:[0,0,1] neg_hi:[0,0,1]
	v_lshl_add_u32 v16, s53, 8, v22
	v_mov_b32_e32 v15, v21
	scratch_store_b64 off, v[14:15], s54
	ds_store_b64 v16, v[14:15]
	s_cbranch_scc1 .LBB170_60
.LBB170_77:                             ;   Parent Loop BB170_3 Depth=1
                                        ;     Parent Loop BB170_58 Depth=2
                                        ;       Parent Loop BB170_61 Depth=3
                                        ; =>      This Loop Header: Depth=4
                                        ;           Child Loop BB170_79 Depth 5
	s_cmp_lg_u32 s51, 0
	s_cbranch_scc0 .LBB170_81
; %bb.78:                               ;   in Loop: Header=BB170_77 Depth=4
	s_lshl_b32 s53, s51, 3
	s_wait_xcnt 0x0
	s_mov_b32 s54, 0
	scratch_load_b64 v[14:15], off, s53
	s_wait_xcnt 0x1
	s_mov_b32 s55, s52
	s_mov_b32 s56, s51
.LBB170_79:                             ;   Parent Loop BB170_3 Depth=1
                                        ;     Parent Loop BB170_58 Depth=2
                                        ;       Parent Loop BB170_61 Depth=3
                                        ;         Parent Loop BB170_77 Depth=4
                                        ; =>        This Inner Loop Header: Depth=5
	scratch_load_b64 v[16:17], off, s54
	v_mov_b32_e32 v18, s55
	s_add_co_i32 s56, s56, -1
	s_addk_co_i32 s55, 0x100
	s_wait_xcnt 0x0
	s_add_co_i32 s54, s54, 8
	s_cmp_eq_u32 s56, 0
	ds_load_b64 v[18:19], v18
	s_wait_loadcnt_dscnt 0x0
	v_pk_mul_f32 v[20:21], v[18:19], v[16:17] op_sel:[1,1] op_sel_hi:[0,1]
	s_delay_alu instid0(VALU_DEP_1) | instskip(SKIP_1) | instid1(VALU_DEP_2)
	v_pk_fma_f32 v[24:25], v[18:19], v[16:17], v[20:21] op_sel_hi:[1,0,1]
	v_pk_fma_f32 v[16:17], v[18:19], v[16:17], v[20:21] neg_lo:[0,0,1] neg_hi:[0,0,1]
	v_mov_b32_e32 v17, v25
	s_delay_alu instid0(VALU_DEP_1)
	v_pk_add_f32 v[14:15], v[14:15], v[16:17] neg_lo:[0,1] neg_hi:[0,1]
	scratch_store_b64 off, v[14:15], s53
	s_cbranch_scc0 .LBB170_79
; %bb.80:                               ;   in Loop: Header=BB170_77 Depth=4
	v_mov_b32_e32 v16, v15
	s_wait_xcnt 0x0
	s_branch .LBB170_76
.LBB170_81:                             ;   in Loop: Header=BB170_77 Depth=4
                                        ; implicit-def: $vgpr14
                                        ; implicit-def: $vgpr16
	s_cbranch_execz .LBB170_76
; %bb.82:                               ;   in Loop: Header=BB170_77 Depth=4
	scratch_load_b64 v[14:15], off, off
	s_wait_loadcnt 0x0
	v_mov_b32_e32 v16, v15
	s_branch .LBB170_76
.LBB170_83:                             ;   in Loop: Header=BB170_3 Depth=1
	; wave barrier
	s_wait_storecnt_dscnt 0x0
	s_wait_xcnt 0x0
	s_and_saveexec_b32 s3, s37
	s_cbranch_execz .LBB170_2
; %bb.84:                               ;   in Loop: Header=BB170_3 Depth=1
	v_add_nc_u64_e32 v[14:15], s[26:27], v[4:5]
	v_mov_b32_e32 v3, v22
	s_mov_b32 s14, s33
.LBB170_85:                             ;   Parent Loop BB170_3 Depth=1
                                        ; =>  This Inner Loop Header: Depth=2
	ds_load_b64 v[16:17], v3
	v_add_nc_u32_e32 v3, 0x100, v3
	s_add_co_i32 s14, s14, -1
	s_delay_alu instid0(SALU_CYCLE_1)
	s_cmp_lg_u32 s14, 0
	s_wait_dscnt 0x0
	global_store_b64 v[14:15], v[16:17], off
	s_wait_xcnt 0x0
	v_add_nc_u64_e32 v[14:15], 8, v[14:15]
	s_cbranch_scc1 .LBB170_85
	s_branch .LBB170_2
.LBB170_86:
	s_endpgm
	.section	.rodata,"a",@progbits
	.p2align	6, 0x0
	.amdhsa_kernel _ZL38rocblas_trsm_small_left_device_sharedBILi32ELi32ELb1E19rocblas_complex_numIfES1_PKS1_PS1_Ev13rocblas_fill_18rocblas_operation_17rocblas_diagonal_iiT3_T4_lilT5_lili
		.amdhsa_group_segment_fixed_size 16384
		.amdhsa_private_segment_fixed_size 272
		.amdhsa_kernarg_size 360
		.amdhsa_user_sgpr_count 2
		.amdhsa_user_sgpr_dispatch_ptr 0
		.amdhsa_user_sgpr_queue_ptr 0
		.amdhsa_user_sgpr_kernarg_segment_ptr 1
		.amdhsa_user_sgpr_dispatch_id 0
		.amdhsa_user_sgpr_kernarg_preload_length 0
		.amdhsa_user_sgpr_kernarg_preload_offset 0
		.amdhsa_user_sgpr_private_segment_size 0
		.amdhsa_wavefront_size32 1
		.amdhsa_uses_dynamic_stack 0
		.amdhsa_enable_private_segment 1
		.amdhsa_system_sgpr_workgroup_id_x 1
		.amdhsa_system_sgpr_workgroup_id_y 0
		.amdhsa_system_sgpr_workgroup_id_z 1
		.amdhsa_system_sgpr_workgroup_info 0
		.amdhsa_system_vgpr_workitem_id 0
		.amdhsa_next_free_vgpr 161
		.amdhsa_next_free_sgpr 60
		.amdhsa_named_barrier_count 0
		.amdhsa_reserve_vcc 1
		.amdhsa_float_round_mode_32 0
		.amdhsa_float_round_mode_16_64 0
		.amdhsa_float_denorm_mode_32 3
		.amdhsa_float_denorm_mode_16_64 3
		.amdhsa_fp16_overflow 0
		.amdhsa_memory_ordered 1
		.amdhsa_forward_progress 1
		.amdhsa_inst_pref_size 31
		.amdhsa_round_robin_scheduling 0
		.amdhsa_exception_fp_ieee_invalid_op 0
		.amdhsa_exception_fp_denorm_src 0
		.amdhsa_exception_fp_ieee_div_zero 0
		.amdhsa_exception_fp_ieee_overflow 0
		.amdhsa_exception_fp_ieee_underflow 0
		.amdhsa_exception_fp_ieee_inexact 0
		.amdhsa_exception_int_div_zero 0
	.end_amdhsa_kernel
	.section	.text._ZL38rocblas_trsm_small_left_device_sharedBILi32ELi32ELb1E19rocblas_complex_numIfES1_PKS1_PS1_Ev13rocblas_fill_18rocblas_operation_17rocblas_diagonal_iiT3_T4_lilT5_lili,"axG",@progbits,_ZL38rocblas_trsm_small_left_device_sharedBILi32ELi32ELb1E19rocblas_complex_numIfES1_PKS1_PS1_Ev13rocblas_fill_18rocblas_operation_17rocblas_diagonal_iiT3_T4_lilT5_lili,comdat
.Lfunc_end170:
	.size	_ZL38rocblas_trsm_small_left_device_sharedBILi32ELi32ELb1E19rocblas_complex_numIfES1_PKS1_PS1_Ev13rocblas_fill_18rocblas_operation_17rocblas_diagonal_iiT3_T4_lilT5_lili, .Lfunc_end170-_ZL38rocblas_trsm_small_left_device_sharedBILi32ELi32ELb1E19rocblas_complex_numIfES1_PKS1_PS1_Ev13rocblas_fill_18rocblas_operation_17rocblas_diagonal_iiT3_T4_lilT5_lili
                                        ; -- End function
	.set _ZL38rocblas_trsm_small_left_device_sharedBILi32ELi32ELb1E19rocblas_complex_numIfES1_PKS1_PS1_Ev13rocblas_fill_18rocblas_operation_17rocblas_diagonal_iiT3_T4_lilT5_lili.num_vgpr, 34
	.set _ZL38rocblas_trsm_small_left_device_sharedBILi32ELi32ELb1E19rocblas_complex_numIfES1_PKS1_PS1_Ev13rocblas_fill_18rocblas_operation_17rocblas_diagonal_iiT3_T4_lilT5_lili.num_agpr, 0
	.set _ZL38rocblas_trsm_small_left_device_sharedBILi32ELi32ELb1E19rocblas_complex_numIfES1_PKS1_PS1_Ev13rocblas_fill_18rocblas_operation_17rocblas_diagonal_iiT3_T4_lilT5_lili.numbered_sgpr, 60
	.set _ZL38rocblas_trsm_small_left_device_sharedBILi32ELi32ELb1E19rocblas_complex_numIfES1_PKS1_PS1_Ev13rocblas_fill_18rocblas_operation_17rocblas_diagonal_iiT3_T4_lilT5_lili.num_named_barrier, 0
	.set _ZL38rocblas_trsm_small_left_device_sharedBILi32ELi32ELb1E19rocblas_complex_numIfES1_PKS1_PS1_Ev13rocblas_fill_18rocblas_operation_17rocblas_diagonal_iiT3_T4_lilT5_lili.private_seg_size, 272
	.set _ZL38rocblas_trsm_small_left_device_sharedBILi32ELi32ELb1E19rocblas_complex_numIfES1_PKS1_PS1_Ev13rocblas_fill_18rocblas_operation_17rocblas_diagonal_iiT3_T4_lilT5_lili.uses_vcc, 1
	.set _ZL38rocblas_trsm_small_left_device_sharedBILi32ELi32ELb1E19rocblas_complex_numIfES1_PKS1_PS1_Ev13rocblas_fill_18rocblas_operation_17rocblas_diagonal_iiT3_T4_lilT5_lili.uses_flat_scratch, 0
	.set _ZL38rocblas_trsm_small_left_device_sharedBILi32ELi32ELb1E19rocblas_complex_numIfES1_PKS1_PS1_Ev13rocblas_fill_18rocblas_operation_17rocblas_diagonal_iiT3_T4_lilT5_lili.has_dyn_sized_stack, 0
	.set _ZL38rocblas_trsm_small_left_device_sharedBILi32ELi32ELb1E19rocblas_complex_numIfES1_PKS1_PS1_Ev13rocblas_fill_18rocblas_operation_17rocblas_diagonal_iiT3_T4_lilT5_lili.has_recursion, 0
	.set _ZL38rocblas_trsm_small_left_device_sharedBILi32ELi32ELb1E19rocblas_complex_numIfES1_PKS1_PS1_Ev13rocblas_fill_18rocblas_operation_17rocblas_diagonal_iiT3_T4_lilT5_lili.has_indirect_call, 0
	.section	.AMDGPU.csdata,"",@progbits
; Kernel info:
; codeLenInByte = 3900
; TotalNumSgprs: 62
; NumVgprs: 34
; ScratchSize: 272
; MemoryBound: 0
; FloatMode: 240
; IeeeMode: 1
; LDSByteSize: 16384 bytes/workgroup (compile time only)
; SGPRBlocks: 0
; VGPRBlocks: 10
; NumSGPRsForWavesPerEU: 62
; NumVGPRsForWavesPerEU: 161
; NamedBarCnt: 0
; Occupancy: 5
; WaveLimiterHint : 0
; COMPUTE_PGM_RSRC2:SCRATCH_EN: 1
; COMPUTE_PGM_RSRC2:USER_SGPR: 2
; COMPUTE_PGM_RSRC2:TRAP_HANDLER: 0
; COMPUTE_PGM_RSRC2:TGID_X_EN: 1
; COMPUTE_PGM_RSRC2:TGID_Y_EN: 0
; COMPUTE_PGM_RSRC2:TGID_Z_EN: 1
; COMPUTE_PGM_RSRC2:TIDIG_COMP_CNT: 0
	.section	.text._ZL30rocblas_trsm_small_left_deviceILi32ELi32ELb1E19rocblas_complex_numIfES1_PKS1_PS1_Ev13rocblas_fill_18rocblas_operation_17rocblas_diagonal_iiT3_T4_lilT5_lili,"axG",@progbits,_ZL30rocblas_trsm_small_left_deviceILi32ELi32ELb1E19rocblas_complex_numIfES1_PKS1_PS1_Ev13rocblas_fill_18rocblas_operation_17rocblas_diagonal_iiT3_T4_lilT5_lili,comdat
	.globl	_ZL30rocblas_trsm_small_left_deviceILi32ELi32ELb1E19rocblas_complex_numIfES1_PKS1_PS1_Ev13rocblas_fill_18rocblas_operation_17rocblas_diagonal_iiT3_T4_lilT5_lili ; -- Begin function _ZL30rocblas_trsm_small_left_deviceILi32ELi32ELb1E19rocblas_complex_numIfES1_PKS1_PS1_Ev13rocblas_fill_18rocblas_operation_17rocblas_diagonal_iiT3_T4_lilT5_lili
	.p2align	8
	.type	_ZL30rocblas_trsm_small_left_deviceILi32ELi32ELb1E19rocblas_complex_numIfES1_PKS1_PS1_Ev13rocblas_fill_18rocblas_operation_17rocblas_diagonal_iiT3_T4_lilT5_lili,@function
_ZL30rocblas_trsm_small_left_deviceILi32ELi32ELb1E19rocblas_complex_numIfES1_PKS1_PS1_Ev13rocblas_fill_18rocblas_operation_17rocblas_diagonal_iiT3_T4_lilT5_lili: ; @_ZL30rocblas_trsm_small_left_deviceILi32ELi32ELb1E19rocblas_complex_numIfES1_PKS1_PS1_Ev13rocblas_fill_18rocblas_operation_17rocblas_diagonal_iiT3_T4_lilT5_lili
; %bb.0:
	s_load_b32 s33, s[0:1], 0x60
	s_bfe_u32 s2, ttmp6, 0x40014
	s_lshr_b32 s4, ttmp7, 16
	s_add_co_i32 s2, s2, 1
	s_bfe_u32 s5, ttmp6, 0x40008
	s_mul_i32 s2, s4, s2
	s_getreg_b32 s3, hwreg(HW_REG_IB_STS2, 6, 4)
	s_add_co_i32 s5, s5, s2
	s_cmp_eq_u32 s3, 0
	s_mov_b32 s17, 0
	s_cselect_b32 s2, s4, s5
	s_wait_kmcnt 0x0
	s_cmp_ge_u32 s2, s33
	s_cbranch_scc1 .LBB171_88
; %bb.1:
	s_clause 0x5
	s_load_b32 s28, s[0:1], 0x30
	s_load_b96 s[8:10], s[0:1], 0x48
	s_load_b128 s[4:7], s[0:1], 0x4
	s_load_b32 s12, s[0:1], 0x68
	s_load_b64 s[18:19], s[0:1], 0x14
	s_load_b64 s[20:21], s[0:1], 0x58
	v_mov_b64_e32 v[4:5], 0xbf80000000000000
	v_mov_b64_e32 v[10:11], 0x3f800000
	s_mov_b32 s41, 0
	s_get_pc_i64 s[22:23]
	s_add_nc_u64 s[22:23], s[22:23], __const._ZL30rocblas_trsm_small_left_deviceILi32ELi32ELb1E19rocblas_complex_numIfES1_PKS1_PS1_Ev13rocblas_fill_18rocblas_operation_17rocblas_diagonal_iiT3_T4_lilT5_lili.step_sizes@rel64+4
                                        ; implicit-def: $sgpr42
                                        ; implicit-def: $sgpr43
	v_lshlrev_b32_e32 v1, 8, v0
	s_wait_kmcnt 0x0
	s_ashr_i32 s29, s28, 31
	s_ashr_i32 s11, s10, 31
	s_cmp_lg_u32 s4, 0x71
	s_cselect_b32 s34, -1, 0
	s_min_i32 s35, s6, 32
	s_bfe_u32 s6, ttmp6, 0x4000c
	s_lshl_b64 s[30:31], s[8:9], 3
	s_add_co_i32 s6, s6, 1
	s_and_b32 s8, ttmp6, 15
	s_mul_i32 s6, ttmp9, s6
	s_add_co_i32 s16, s12, -1
	s_add_co_i32 s36, s35, -1
	s_add_co_i32 s8, s8, s6
	s_cmp_eq_u32 s3, 0
	s_mov_b32 s24, s18
	s_cselect_b32 s3, ttmp9, s8
	s_mov_b32 s25, s18
	s_lshl_b32 s6, s3, 5
	s_mov_b32 s26, s19
	v_or_b32_e32 v2, s6, v0
	s_mov_b32 s27, s19
	v_mov_b64_e32 v[14:15], s[24:25]
	v_mov_b64_e32 v[12:13], s[26:27]
	s_delay_alu instid0(VALU_DEP_3) | instskip(NEXT) | instid1(VALU_DEP_1)
	v_ashrrev_i32_e32 v3, 31, v2
	v_mul_u64_e32 v[6:7], s[10:11], v[2:3]
	s_clause 0x1
	s_load_b128 s[12:15], s[0:1], 0x20
	s_load_b128 s[8:11], s[0:1], 0x38
	s_wait_xcnt 0x0
	s_sub_co_i32 s0, s7, s6
	s_cmp_ge_u32 s3, s16
	v_lshlrev_b32_e32 v2, 3, v0
	s_cselect_b32 s1, s0, 32
	s_cmp_lg_u32 s5, 0x84
	v_mov_b32_e32 v3, 0
	s_cselect_b32 s37, -1, 0
	s_cmp_lg_u32 s4, 0x6f
	v_add_nc_u32_e32 v28, v2, v1
	s_cselect_b32 s38, -1, 0
	v_cmp_gt_i32_e64 s0, s35, v0
	v_cmp_gt_i32_e64 s1, s1, v0
	s_lshl_b32 s40, s35, 3
	s_mov_b32 s6, s19
	s_mov_b32 s7, s18
	s_or_b32 s39, 0, 8
	s_add_co_i32 s40, s40, -8
	s_wait_kmcnt 0x0
	s_lshl_b64 s[4:5], s[14:15], 3
	s_add_nc_u64 s[10:11], s[10:11], s[30:31]
	s_add_nc_u64 s[4:5], s[12:13], s[4:5]
	s_delay_alu instid0(SALU_CYCLE_1) | instskip(SKIP_3) | instid1(VALU_DEP_2)
	v_add_nc_u64_e32 v[8:9], s[4:5], v[2:3]
	s_lshl_b64 s[4:5], s[8:9], 3
	s_lshl_b64 s[8:9], s[28:29], 3
	v_lshl_add_u64 v[0:1], v[6:7], 3, s[10:11]
	v_add_nc_u64_e32 v[6:7], 4, v[8:9]
	s_lshl_b64 s[10:11], s[20:21], 3
	s_delay_alu instid0(VALU_DEP_2)
	v_add_nc_u64_e32 v[8:9], 4, v[0:1]
	s_branch .LBB171_4
.LBB171_2:                              ;   in Loop: Header=BB171_4 Depth=1
	s_add_co_i32 s2, s2, 0x10000
	s_delay_alu instid0(SALU_CYCLE_1)
	s_cmp_ge_u32 s2, s33
	s_cselect_b32 s3, -1, 0
	s_and_not1_b32 s43, s43, exec_lo
	s_or_not1_b32 s12, s3, exec_lo
.LBB171_3:                              ;   in Loop: Header=BB171_4 Depth=1
	s_wait_xcnt 0x0
	s_or_b32 exec_lo, exec_lo, s44
	s_delay_alu instid0(SALU_CYCLE_1) | instskip(NEXT) | instid1(SALU_CYCLE_1)
	s_and_b32 s3, exec_lo, s12
	s_or_b32 s41, s3, s41
	s_and_not1_b32 s3, s42, exec_lo
	s_and_b32 s12, s43, exec_lo
	s_delay_alu instid0(SALU_CYCLE_1)
	s_or_b32 s42, s3, s12
	s_and_not1_b32 exec_lo, exec_lo, s41
	s_cbranch_execz .LBB171_87
.LBB171_4:                              ; =>This Loop Header: Depth=1
                                        ;     Child Loop BB171_7 Depth 2
                                        ;     Child Loop BB171_23 Depth 2
                                        ;       Child Loop BB171_26 Depth 3
                                        ;         Child Loop BB171_28 Depth 4
                                        ;         Child Loop BB171_32 Depth 4
	;; [unrolled: 1-line block ×3, first 2 shown]
                                        ;           Child Loop BB171_38 Depth 5
                                        ;           Child Loop BB171_44 Depth 5
                                        ;         Child Loop BB171_47 Depth 4
                                        ;           Child Loop BB171_49 Depth 5
                                        ;     Child Loop BB171_57 Depth 2
                                        ;       Child Loop BB171_60 Depth 3
                                        ;         Child Loop BB171_62 Depth 4
                                        ;         Child Loop BB171_66 Depth 4
	;; [unrolled: 1-line block ×3, first 2 shown]
                                        ;           Child Loop BB171_72 Depth 5
                                        ;           Child Loop BB171_78 Depth 5
                                        ;         Child Loop BB171_81 Depth 4
                                        ;           Child Loop BB171_83 Depth 5
	s_mov_b32 s3, s17
	s_and_saveexec_b32 s12, s0
	s_cbranch_execz .LBB171_19
; %bb.5:                                ;   in Loop: Header=BB171_4 Depth=1
	v_mad_nc_u64_u32 v[16:17], s4, s2, v[6:7]
	v_mov_b32_e32 v3, v2
	s_mov_b32 s13, s35
	s_delay_alu instid0(VALU_DEP_2)
	v_mad_u32 v17, s5, s2, v17
	s_branch .LBB171_7
.LBB171_6:                              ;   in Loop: Header=BB171_7 Depth=2
	global_load_b32 v18, v[16:17], off offset:-4
	s_wait_xcnt 0x0
	v_add_nc_u64_e32 v[16:17], s[8:9], v[16:17]
	s_add_co_i32 s13, s13, -1
	s_delay_alu instid0(SALU_CYCLE_1)
	s_cmp_eq_u32 s13, 0
	s_wait_loadcnt 0x0
	ds_store_b64 v3, v[18:19]
	v_add_nc_u32_e32 v3, 0x100, v3
	s_cbranch_scc1 .LBB171_11
.LBB171_7:                              ;   Parent Loop BB171_4 Depth=1
                                        ; =>  This Inner Loop Header: Depth=2
	s_and_b32 vcc_lo, exec_lo, s34
	s_mov_b32 s14, -1
                                        ; implicit-def: $vgpr19
	s_cbranch_vccz .LBB171_9
; %bb.8:                                ;   in Loop: Header=BB171_7 Depth=2
	global_load_b32 v19, v[16:17], off
	s_mov_b32 s14, 0
.LBB171_9:                              ;   in Loop: Header=BB171_7 Depth=2
	s_delay_alu instid0(SALU_CYCLE_1)
	s_and_not1_b32 vcc_lo, exec_lo, s14
	s_cbranch_vccnz .LBB171_6
; %bb.10:                               ;   in Loop: Header=BB171_7 Depth=2
	global_load_b32 v18, v[16:17], off
	s_wait_loadcnt 0x0
	v_xor_b32_e32 v19, 0x80000000, v18
	s_branch .LBB171_6
.LBB171_11:                             ;   in Loop: Header=BB171_4 Depth=1
	s_and_b32 vcc_lo, exec_lo, s37
	s_mov_b32 s13, -1
	s_cbranch_vccz .LBB171_17
; %bb.12:                               ;   in Loop: Header=BB171_4 Depth=1
	ds_load_b64 v[16:17], v28
                                        ; implicit-def: $vgpr18_vgpr19
	s_wait_dscnt 0x0
	v_cmp_ngt_f32_e64 s13, |v16|, |v17|
	s_and_saveexec_b32 s14, s13
	s_delay_alu instid0(SALU_CYCLE_1)
	s_xor_b32 s13, exec_lo, s14
	s_cbranch_execz .LBB171_14
; %bb.13:                               ;   in Loop: Header=BB171_4 Depth=1
	v_div_scale_f32 v3, null, v17, v17, v16
	v_div_scale_f32 v20, vcc_lo, v16, v17, v16
	s_delay_alu instid0(VALU_DEP_2) | instskip(SKIP_1) | instid1(TRANS32_DEP_1)
	v_rcp_f32_e32 v18, v3
	v_nop
	v_fma_f32 v19, -v3, v18, 1.0
	s_delay_alu instid0(VALU_DEP_1) | instskip(NEXT) | instid1(VALU_DEP_1)
	v_fmac_f32_e32 v18, v19, v18
	v_mul_f32_e32 v19, v20, v18
	s_delay_alu instid0(VALU_DEP_1) | instskip(NEXT) | instid1(VALU_DEP_1)
	v_fma_f32 v21, -v3, v19, v20
	v_fmac_f32_e32 v19, v21, v18
	s_delay_alu instid0(VALU_DEP_1) | instskip(NEXT) | instid1(VALU_DEP_1)
	v_fma_f32 v3, -v3, v19, v20
	v_div_fmas_f32 v3, v3, v18, v19
	s_delay_alu instid0(VALU_DEP_1) | instskip(NEXT) | instid1(VALU_DEP_1)
	v_div_fixup_f32 v18, v3, v17, v16
	v_fmac_f32_e32 v17, v16, v18
	s_delay_alu instid0(VALU_DEP_1) | instskip(SKIP_1) | instid1(VALU_DEP_2)
	v_div_scale_f32 v3, null, v17, v17, 1.0
	v_div_scale_f32 v20, vcc_lo, 1.0, v17, 1.0
	v_rcp_f32_e32 v16, v3
	v_nop
	s_delay_alu instid0(TRANS32_DEP_1) | instskip(NEXT) | instid1(VALU_DEP_1)
	v_fma_f32 v19, -v3, v16, 1.0
	v_fmac_f32_e32 v16, v19, v16
	s_delay_alu instid0(VALU_DEP_1) | instskip(NEXT) | instid1(VALU_DEP_1)
	v_mul_f32_e32 v19, v20, v16
	v_fma_f32 v21, -v3, v19, v20
	s_delay_alu instid0(VALU_DEP_1) | instskip(NEXT) | instid1(VALU_DEP_1)
	v_fmac_f32_e32 v19, v21, v16
	v_fma_f32 v3, -v3, v19, v20
	s_delay_alu instid0(VALU_DEP_1) | instskip(SKIP_1) | instid1(VALU_DEP_2)
	v_div_fmas_f32 v3, v3, v16, v19
	v_mul_f32_e32 v19, 0, v18
	v_div_fixup_f32 v16, v3, v17, 1.0
	s_delay_alu instid0(VALU_DEP_2) | instskip(NEXT) | instid1(VALU_DEP_1)
	v_pk_add_f32 v[18:19], v[18:19], v[4:5]
	v_pk_mul_f32 v[18:19], v[18:19], v[16:17] op_sel_hi:[1,0]
                                        ; implicit-def: $vgpr16_vgpr17
.LBB171_14:                             ;   in Loop: Header=BB171_4 Depth=1
	s_and_not1_saveexec_b32 s13, s13
	s_cbranch_execz .LBB171_16
; %bb.15:                               ;   in Loop: Header=BB171_4 Depth=1
	v_div_scale_f32 v3, null, v16, v16, v17
	v_div_scale_f32 v20, vcc_lo, v17, v16, v17
	s_delay_alu instid0(VALU_DEP_2) | instskip(SKIP_1) | instid1(TRANS32_DEP_1)
	v_rcp_f32_e32 v18, v3
	v_nop
	v_fma_f32 v19, -v3, v18, 1.0
	s_delay_alu instid0(VALU_DEP_1) | instskip(NEXT) | instid1(VALU_DEP_1)
	v_fmac_f32_e32 v18, v19, v18
	v_mul_f32_e32 v19, v20, v18
	s_delay_alu instid0(VALU_DEP_1) | instskip(NEXT) | instid1(VALU_DEP_1)
	v_fma_f32 v21, -v3, v19, v20
	v_fmac_f32_e32 v19, v21, v18
	s_delay_alu instid0(VALU_DEP_1) | instskip(NEXT) | instid1(VALU_DEP_1)
	v_fma_f32 v3, -v3, v19, v20
	v_div_fmas_f32 v3, v3, v18, v19
	s_delay_alu instid0(VALU_DEP_1) | instskip(NEXT) | instid1(VALU_DEP_1)
	v_div_fixup_f32 v3, v3, v16, v17
	v_fmac_f32_e32 v16, v17, v3
	s_delay_alu instid0(VALU_DEP_1) | instskip(SKIP_1) | instid1(VALU_DEP_2)
	v_div_scale_f32 v17, null, v16, v16, 1.0
	v_div_scale_f32 v20, vcc_lo, 1.0, v16, 1.0
	v_rcp_f32_e32 v18, v17
	v_nop
	s_delay_alu instid0(TRANS32_DEP_1) | instskip(NEXT) | instid1(VALU_DEP_1)
	v_fma_f32 v19, -v17, v18, 1.0
	v_fmac_f32_e32 v18, v19, v18
	s_delay_alu instid0(VALU_DEP_1) | instskip(NEXT) | instid1(VALU_DEP_1)
	v_mul_f32_e32 v19, v20, v18
	v_fma_f32 v21, -v17, v19, v20
	s_delay_alu instid0(VALU_DEP_1) | instskip(NEXT) | instid1(VALU_DEP_1)
	v_fmac_f32_e32 v19, v21, v18
	v_fma_f32 v17, -v17, v19, v20
	v_mul_f32_e32 v20, 0, v3
	s_delay_alu instid0(VALU_DEP_2) | instskip(NEXT) | instid1(VALU_DEP_2)
	v_div_fmas_f32 v17, v17, v18, v19
	v_dual_add_f32 v18, 1.0, v20 :: v_dual_sub_f32 v19, 0, v3
	s_delay_alu instid0(VALU_DEP_2) | instskip(NEXT) | instid1(VALU_DEP_1)
	v_div_fixup_f32 v16, v17, v16, 1.0
	v_pk_mul_f32 v[18:19], v[18:19], v[16:17] op_sel_hi:[1,0]
.LBB171_16:                             ;   in Loop: Header=BB171_4 Depth=1
	s_or_b32 exec_lo, exec_lo, s13
	s_mov_b32 s13, 0
	ds_store_b64 v28, v[18:19]
.LBB171_17:                             ;   in Loop: Header=BB171_4 Depth=1
	s_and_b32 vcc_lo, exec_lo, s13
	s_cbranch_vccz .LBB171_19
; %bb.18:                               ;   in Loop: Header=BB171_4 Depth=1
	ds_store_b64 v28, v[10:11]
.LBB171_19:                             ;   in Loop: Header=BB171_4 Depth=1
	s_or_b32 exec_lo, exec_lo, s12
	s_mov_b32 s12, -1
	s_or_b32 s43, s43, exec_lo
	s_wait_dscnt 0x0
	; wave barrier
	s_and_saveexec_b32 s44, s1
	s_cbranch_execz .LBB171_3
; %bb.20:                               ;   in Loop: Header=BB171_4 Depth=1
	s_mul_u64 s[12:13], s[20:21], s[2:3]
	s_and_not1_b32 vcc_lo, exec_lo, s38
	v_lshl_add_u64 v[16:17], s[12:13], 3, v[0:1]
	s_mul_u64 s[12:13], s[10:11], s[2:3]
	s_mov_b32 s3, -1
	s_cbranch_vccnz .LBB171_54
; %bb.21:                               ;   in Loop: Header=BB171_4 Depth=1
	v_add_nc_u64_e32 v[18:19], s[12:13], v[8:9]
	s_mov_b32 s3, 0
	s_mov_b32 s14, s36
	s_branch .LBB171_23
.LBB171_22:                             ;   in Loop: Header=BB171_23 Depth=2
	s_cmp_gt_i32 s14, -1
	s_cselect_b32 s15, -1, 0
	s_add_co_i32 s16, s3, 1
	s_cmp_lt_u32 s3, 2
	s_wait_xcnt 0x0
	s_cselect_b32 s3, -1, 0
	s_delay_alu instid0(SALU_CYCLE_1) | instskip(NEXT) | instid1(SALU_CYCLE_1)
	s_and_b32 s3, s15, s3
	s_and_b32 vcc_lo, exec_lo, s3
	s_mov_b32 s3, s16
	s_cbranch_vccz .LBB171_53
.LBB171_23:                             ;   Parent Loop BB171_4 Depth=1
                                        ; =>  This Loop Header: Depth=2
                                        ;       Child Loop BB171_26 Depth 3
                                        ;         Child Loop BB171_28 Depth 4
                                        ;         Child Loop BB171_32 Depth 4
	;; [unrolled: 1-line block ×3, first 2 shown]
                                        ;           Child Loop BB171_38 Depth 5
                                        ;           Child Loop BB171_44 Depth 5
                                        ;         Child Loop BB171_47 Depth 4
                                        ;           Child Loop BB171_49 Depth 5
	s_load_b32 s45, s[22:23], s3 offset:0x0 scale_offset
	s_wait_kmcnt 0x0
	s_add_co_i32 s46, s45, -1
	s_delay_alu instid0(SALU_CYCLE_1)
	s_cmp_lt_i32 s14, s46
	s_cbranch_scc1 .LBB171_22
; %bb.24:                               ;   in Loop: Header=BB171_23 Depth=2
	s_max_i32 s47, s45, 1
	s_cmp_lg_u32 s3, 2
	s_mul_i32 s53, s14, 0x108
	s_cselect_b32 s48, -1, 0
	s_and_b32 s49, s47, 0x7ffffffe
	s_mul_i32 s54, s45, 0xfffffef8
	s_cmp_lg_u32 s47, s49
	s_cselect_b32 s50, -1, 0
	s_lshl_b32 s15, s14, 8
	s_lshl_b32 s16, s45, 8
	s_add_co_i32 s51, s40, s15
	s_sub_co_i32 s52, 0, s16
	s_branch .LBB171_26
.LBB171_25:                             ;   in Loop: Header=BB171_26 Depth=3
	s_sub_co_i32 s14, s14, s45
	s_add_co_i32 s51, s51, s52
	s_add_co_i32 s53, s53, s54
	s_cmp_lt_i32 s14, s46
	s_cbranch_scc1 .LBB171_22
.LBB171_26:                             ;   Parent Loop BB171_4 Depth=1
                                        ;     Parent Loop BB171_23 Depth=2
                                        ; =>    This Loop Header: Depth=3
                                        ;         Child Loop BB171_28 Depth 4
                                        ;         Child Loop BB171_32 Depth 4
	;; [unrolled: 1-line block ×3, first 2 shown]
                                        ;           Child Loop BB171_38 Depth 5
                                        ;           Child Loop BB171_44 Depth 5
                                        ;         Child Loop BB171_47 Depth 4
                                        ;           Child Loop BB171_49 Depth 5
	s_and_not1_b32 vcc_lo, exec_lo, s48
	s_cbranch_vccnz .LBB171_30
; %bb.27:                               ;   in Loop: Header=BB171_26 Depth=3
	s_mov_b32 s15, s14
	s_mov_b32 s28, 1
	;; [unrolled: 1-line block ×3, first 2 shown]
	s_wait_xcnt 0x0
	s_mov_b32 s30, s49
	s_mov_b32 s31, s39
.LBB171_28:                             ;   Parent Loop BB171_4 Depth=1
                                        ;     Parent Loop BB171_23 Depth=2
                                        ;       Parent Loop BB171_26 Depth=3
                                        ; =>      This Inner Loop Header: Depth=4
	s_sub_co_i32 s56, s15, s28
	s_sub_co_i32 s58, s14, s29
	s_ashr_i32 s57, s56, 31
	s_ashr_i32 s59, s58, 31
	v_lshl_add_u64 v[20:21], s[56:57], 3, v[16:17]
	v_lshl_add_u64 v[22:23], s[58:59], 3, v[16:17]
	s_add_co_i32 s30, s30, -2
	s_add_co_i32 s29, s29, 2
	s_add_co_i32 s28, s28, 2
	s_clause 0x1
	global_load_b64 v[20:21], v[20:21], off
	global_load_b64 v[22:23], v[22:23], off
	s_mov_b32 s16, s49
	s_mov_b32 s55, s50
	s_wait_loadcnt 0x0
	s_wait_xcnt 0x1
	v_dual_mov_b32 v25, v20 :: v_dual_mov_b32 v20, v23
	v_mov_b32_e32 v24, v22
	s_wait_xcnt 0x0
	s_delay_alu instid0(VALU_DEP_2) | instskip(SKIP_1) | instid1(VALU_DEP_2)
	v_pk_mul_f32 v[22:23], v[20:21], v[12:13]
	v_pk_mul_f32 v[20:21], v[20:21], v[14:15]
	v_pk_fma_f32 v[26:27], v[24:25], v[14:15], v[22:23] neg_lo:[0,0,1] neg_hi:[0,0,1]
	s_delay_alu instid0(VALU_DEP_2) | instskip(NEXT) | instid1(VALU_DEP_1)
	v_pk_fma_f32 v[22:23], v[24:25], v[12:13], v[20:21]
	v_dual_mov_b32 v20, v26 :: v_dual_mov_b32 v21, v22
	s_delay_alu instid0(VALU_DEP_3)
	v_mov_b32_e32 v22, v27
	scratch_store_b128 off, v[20:23], s31 offset:-8
	s_wait_xcnt 0x0
	s_add_co_i32 s31, s31, 16
	s_cmp_lg_u32 s30, 0
	s_cbranch_scc1 .LBB171_28
; %bb.29:                               ;   in Loop: Header=BB171_26 Depth=3
	s_and_b32 vcc_lo, exec_lo, s55
	s_ashr_i32 s15, s14, 31
	s_cbranch_vccnz .LBB171_31
	s_branch .LBB171_33
.LBB171_30:                             ;   in Loop: Header=BB171_26 Depth=3
	s_mov_b32 s16, 0
	s_ashr_i32 s15, s14, 31
	s_cbranch_execz .LBB171_33
.LBB171_31:                             ;   in Loop: Header=BB171_26 Depth=3
	s_lshl_b64 s[28:29], s[14:15], 3
	s_wait_xcnt 0x0
	s_lshl_b64 s[30:31], s[16:17], 3
	s_delay_alu instid0(SALU_CYCLE_1) | instskip(NEXT) | instid1(SALU_CYCLE_1)
	s_sub_nc_u64 s[28:29], s[28:29], s[30:31]
	v_add_nc_u64_e32 v[20:21], s[28:29], v[18:19]
	s_lshl_b32 s28, s16, 3
	s_sub_co_i32 s16, s47, s16
.LBB171_32:                             ;   Parent Loop BB171_4 Depth=1
                                        ;     Parent Loop BB171_23 Depth=2
                                        ;       Parent Loop BB171_26 Depth=3
                                        ; =>      This Inner Loop Header: Depth=4
	global_load_b64 v[22:23], v[20:21], off offset:-4
	v_mov_b64_e32 v[24:25], s[6:7]
	v_mov_b64_e32 v[26:27], s[18:19]
	s_wait_xcnt 0x0
	v_add_nc_u64_e32 v[20:21], -8, v[20:21]
	s_add_co_i32 s16, s16, -1
	s_wait_loadcnt 0x0
	s_delay_alu instid0(VALU_DEP_3) | instskip(NEXT) | instid1(VALU_DEP_1)
	v_pk_mul_f32 v[24:25], v[22:23], v[24:25] op_sel:[1,0]
	v_pk_fma_f32 v[30:31], v[22:23], v[26:27], v[24:25] op_sel_hi:[0,1,1]
	v_pk_fma_f32 v[22:23], v[22:23], v[26:27], v[24:25] neg_lo:[0,0,1] neg_hi:[0,0,1]
	s_delay_alu instid0(VALU_DEP_2)
	v_mov_b32_e32 v23, v31
	scratch_store_b64 off, v[22:23], s28
	s_wait_xcnt 0x0
	s_add_co_i32 s28, s28, 8
	s_cmp_eq_u32 s16, 0
	s_cbranch_scc0 .LBB171_32
.LBB171_33:                             ;   in Loop: Header=BB171_26 Depth=3
	s_cmp_le_i32 s36, s14
	s_cbranch_scc1 .LBB171_45
; %bb.34:                               ;   in Loop: Header=BB171_26 Depth=3
	s_mov_b32 s16, s14
	s_wait_xcnt 0x0
	s_mov_b32 s30, s14
	s_mov_b32 s31, s51
	;; [unrolled: 1-line block ×3, first 2 shown]
	s_branch .LBB171_36
.LBB171_35:                             ;   in Loop: Header=BB171_36 Depth=4
	s_add_co_i32 s28, s28, -1
	s_add_co_i32 s31, s31, -8
	s_cmp_le_i32 s28, s14
	s_cbranch_scc1 .LBB171_45
.LBB171_36:                             ;   Parent Loop BB171_4 Depth=1
                                        ;     Parent Loop BB171_23 Depth=2
                                        ;       Parent Loop BB171_26 Depth=3
                                        ; =>      This Loop Header: Depth=4
                                        ;           Child Loop BB171_38 Depth 5
                                        ;           Child Loop BB171_44 Depth 5
	s_ashr_i32 s29, s28, 31
	s_and_b32 vcc_lo, exec_lo, s48
	s_wait_xcnt 0x0
	v_lshl_add_u64 v[20:21], s[28:29], 3, v[16:17]
	global_load_b64 v[20:21], v[20:21], off
	s_cbranch_vccz .LBB171_40
; %bb.37:                               ;   in Loop: Header=BB171_36 Depth=4
	s_wait_loadcnt 0x0
	v_dual_mov_b32 v24, v20 :: v_dual_mov_b32 v25, v20
	v_dual_mov_b32 v22, v21 :: v_dual_mov_b32 v26, v21
	v_mov_b32_e32 v27, v21
	s_lshl_b32 s29, s28, 3
	s_mov_b32 s55, 1
	s_mov_b32 s56, 0
	;; [unrolled: 1-line block ×4, first 2 shown]
.LBB171_38:                             ;   Parent Loop BB171_4 Depth=1
                                        ;     Parent Loop BB171_23 Depth=2
                                        ;       Parent Loop BB171_26 Depth=3
                                        ;         Parent Loop BB171_36 Depth=4
                                        ; =>        This Inner Loop Header: Depth=5
	scratch_load_b128 v[30:33], off, s58 offset:-8
	s_sub_co_i32 s59, s30, s55
	s_sub_co_i32 s60, s16, s56
	s_lshl_b32 s59, s59, 8
	s_lshl_b32 s60, s60, 8
	s_add_co_i32 s59, s29, s59
	s_add_co_i32 s60, s29, s60
	s_delay_alu instid0(SALU_CYCLE_1)
	v_dual_mov_b32 v3, s59 :: v_dual_mov_b32 v23, s60
	s_add_co_i32 s57, s57, -2
	s_add_co_i32 s56, s56, 2
	ds_load_b64 v[34:35], v3
	ds_load_b64 v[36:37], v23
	s_add_co_i32 s55, s55, 2
	s_wait_dscnt 0x0
	v_dual_mov_b32 v39, v34 :: v_dual_mov_b32 v34, v37
	v_mov_b32_e32 v38, v36
	s_delay_alu instid0(VALU_DEP_2) | instskip(SKIP_1) | instid1(VALU_DEP_2)
	v_pk_mul_f32 v[36:37], v[34:35], v[26:27]
	v_pk_mul_f32 v[34:35], v[34:35], v[24:25]
	v_pk_fma_f32 v[36:37], v[38:39], v[24:25], v[36:37] neg_lo:[0,0,1] neg_hi:[0,0,1]
	s_delay_alu instid0(VALU_DEP_2) | instskip(SKIP_3) | instid1(VALU_DEP_2)
	v_pk_fma_f32 v[34:35], v[38:39], v[26:27], v[34:35]
	s_wait_loadcnt 0x0
	v_dual_mov_b32 v38, v30 :: v_dual_mov_b32 v39, v32
	v_mov_b32_e32 v32, v31
	v_pk_add_f32 v[36:37], v[38:39], v[36:37] neg_lo:[0,1] neg_hi:[0,1]
	s_delay_alu instid0(VALU_DEP_2) | instskip(NEXT) | instid1(VALU_DEP_1)
	v_pk_add_f32 v[32:33], v[32:33], v[34:35] neg_lo:[0,1] neg_hi:[0,1]
	v_dual_mov_b32 v30, v36 :: v_dual_mov_b32 v31, v32
	s_delay_alu instid0(VALU_DEP_3)
	v_mov_b32_e32 v32, v37
	scratch_store_b128 off, v[30:33], s58 offset:-8
	s_wait_xcnt 0x0
	s_add_co_i32 s58, s58, 16
	s_cmp_lg_u32 s57, 0
	s_cbranch_scc1 .LBB171_38
; %bb.39:                               ;   in Loop: Header=BB171_36 Depth=4
	s_mov_b32 s29, s50
	s_mov_b32 s55, s49
	s_branch .LBB171_42
.LBB171_40:                             ;   in Loop: Header=BB171_36 Depth=4
	s_wait_loadcnt 0x0
	v_mov_b32_e32 v22, v21
	s_mov_b32 s29, 0
	s_mov_b32 s55, s49
	s_cbranch_execz .LBB171_42
; %bb.41:                               ;   in Loop: Header=BB171_36 Depth=4
	s_mov_b32 s29, -1
	s_mov_b32 s55, 0
.LBB171_42:                             ;   in Loop: Header=BB171_36 Depth=4
	s_and_not1_b32 vcc_lo, exec_lo, s29
	s_cbranch_vccnz .LBB171_35
; %bb.43:                               ;   in Loop: Header=BB171_36 Depth=4
	s_wait_xcnt 0x0
	v_dual_mov_b32 v23, v21 :: v_dual_mov_b32 v21, v20
	s_lshl_b32 s56, s55, 8
	s_lshl_b32 s57, s55, 3
	s_sub_co_i32 s29, s47, s55
	s_sub_co_i32 s55, s31, s56
	s_mov_b32 s56, s57
.LBB171_44:                             ;   Parent Loop BB171_4 Depth=1
                                        ;     Parent Loop BB171_23 Depth=2
                                        ;       Parent Loop BB171_26 Depth=3
                                        ;         Parent Loop BB171_36 Depth=4
                                        ; =>        This Inner Loop Header: Depth=5
	scratch_load_b64 v[24:25], off, s56
	v_mov_b32_e32 v3, s55
	s_add_co_i32 s29, s29, -1
	s_addk_co_i32 s55, 0xff00
	ds_load_b64 v[26:27], v3
	s_wait_dscnt 0x0
	v_pk_mul_f32 v[30:31], v[26:27], v[22:23] op_sel:[1,0] op_sel_hi:[0,1]
	s_delay_alu instid0(VALU_DEP_1) | instskip(SKIP_1) | instid1(VALU_DEP_2)
	v_pk_fma_f32 v[32:33], v[26:27], v[20:21], v[30:31]
	v_pk_fma_f32 v[26:27], v[26:27], v[20:21], v[30:31] neg_lo:[0,0,1] neg_hi:[0,0,1]
	v_mov_b32_e32 v27, v33
	s_wait_loadcnt 0x0
	s_delay_alu instid0(VALU_DEP_1)
	v_pk_add_f32 v[24:25], v[24:25], v[26:27] neg_lo:[0,1] neg_hi:[0,1]
	scratch_store_b64 off, v[24:25], s56
	s_wait_xcnt 0x0
	s_add_co_i32 s56, s56, 8
	s_cmp_eq_u32 s29, 0
	s_cbranch_scc0 .LBB171_44
	s_branch .LBB171_35
.LBB171_45:                             ;   in Loop: Header=BB171_26 Depth=3
	s_mov_b32 s16, 0
	s_mov_b32 s55, s53
	s_branch .LBB171_47
.LBB171_46:                             ;   in Loop: Header=BB171_47 Depth=4
	s_wait_xcnt 0x0
	s_mulk_i32 s30, 0x108
	v_lshl_add_u64 v[30:31], s[28:29], 3, v[16:17]
	v_mov_b32_e32 v3, s30
	s_lshl_b32 s30, s16, 3
	s_add_co_i32 s16, s16, 1
	s_addk_co_i32 s55, 0xff00
	s_cmp_eq_u32 s16, s47
	ds_load_b64 v[24:25], v3
	s_wait_dscnt 0x0
	v_pk_mul_f32 v[22:23], v[24:25], v[22:23] op_sel:[1,0] op_sel_hi:[0,0]
	s_delay_alu instid0(VALU_DEP_1) | instskip(SKIP_2) | instid1(VALU_DEP_2)
	v_pk_fma_f32 v[26:27], v[24:25], v[20:21], v[22:23] op_sel_hi:[1,0,1]
	s_wait_xcnt 0x0
	v_pk_fma_f32 v[20:21], v[24:25], v[20:21], v[22:23] neg_lo:[0,0,1] neg_hi:[0,0,1]
	v_mov_b32_e32 v21, v27
	scratch_store_b64 off, v[20:21], s30
	global_store_b64 v[30:31], v[20:21], off
	s_cbranch_scc1 .LBB171_25
.LBB171_47:                             ;   Parent Loop BB171_4 Depth=1
                                        ;     Parent Loop BB171_23 Depth=2
                                        ;       Parent Loop BB171_26 Depth=3
                                        ; =>      This Loop Header: Depth=4
                                        ;           Child Loop BB171_49 Depth 5
	s_cmp_lg_u32 s16, 0
	s_cbranch_scc0 .LBB171_51
; %bb.48:                               ;   in Loop: Header=BB171_47 Depth=4
	s_lshl_b32 s28, s16, 3
	s_mov_b32 s29, 0
	scratch_load_b64 v[20:21], off, s28
	s_mov_b32 s30, s55
	s_mov_b32 s31, s16
.LBB171_49:                             ;   Parent Loop BB171_4 Depth=1
                                        ;     Parent Loop BB171_23 Depth=2
                                        ;       Parent Loop BB171_26 Depth=3
                                        ;         Parent Loop BB171_47 Depth=4
                                        ; =>        This Inner Loop Header: Depth=5
	scratch_load_b64 v[22:23], off, s29
	v_mov_b32_e32 v3, s30
	s_add_co_i32 s31, s31, -1
	s_add_co_i32 s30, s30, -8
	s_wait_xcnt 0x0
	s_add_co_i32 s29, s29, 8
	s_cmp_eq_u32 s31, 0
	ds_load_b64 v[24:25], v3
	s_wait_loadcnt_dscnt 0x0
	v_pk_mul_f32 v[26:27], v[24:25], v[22:23] op_sel:[1,1] op_sel_hi:[0,1]
	s_delay_alu instid0(VALU_DEP_1) | instskip(SKIP_1) | instid1(VALU_DEP_2)
	v_pk_fma_f32 v[30:31], v[24:25], v[22:23], v[26:27] op_sel_hi:[1,0,1]
	v_pk_fma_f32 v[22:23], v[24:25], v[22:23], v[26:27] neg_lo:[0,0,1] neg_hi:[0,0,1]
	v_mov_b32_e32 v23, v31
	s_delay_alu instid0(VALU_DEP_1)
	v_pk_add_f32 v[20:21], v[20:21], v[22:23] neg_lo:[0,1] neg_hi:[0,1]
	scratch_store_b64 off, v[20:21], s28
	s_cbranch_scc0 .LBB171_49
; %bb.50:                               ;   in Loop: Header=BB171_47 Depth=4
	s_sub_co_i32 s30, s14, s16
	v_mov_b32_e32 v22, v21
	s_ashr_i32 s31, s30, 31
	s_wait_xcnt 0x0
	s_mov_b64 s[28:29], s[30:31]
	s_branch .LBB171_46
.LBB171_51:                             ;   in Loop: Header=BB171_47 Depth=4
                                        ; implicit-def: $vgpr20
                                        ; implicit-def: $vgpr22
                                        ; implicit-def: $sgpr30
                                        ; implicit-def: $sgpr28_sgpr29
	s_cbranch_execz .LBB171_46
; %bb.52:                               ;   in Loop: Header=BB171_47 Depth=4
	scratch_load_b64 v[20:21], off, off
	s_mov_b64 s[28:29], s[14:15]
	s_mov_b32 s30, s14
	s_wait_loadcnt 0x0
	v_mov_b32_e32 v22, v21
	s_branch .LBB171_46
.LBB171_53:                             ;   in Loop: Header=BB171_4 Depth=1
	s_mov_b32 s3, 0
.LBB171_54:                             ;   in Loop: Header=BB171_4 Depth=1
	s_delay_alu instid0(SALU_CYCLE_1)
	s_and_b32 vcc_lo, exec_lo, s3
	s_cbranch_vccz .LBB171_2
; %bb.55:                               ;   in Loop: Header=BB171_4 Depth=1
	v_add_nc_u64_e32 v[18:19], s[12:13], v[8:9]
	s_mov_b32 s12, 0
	s_mov_b32 s3, 0
	s_branch .LBB171_57
.LBB171_56:                             ;   in Loop: Header=BB171_57 Depth=2
	s_cmp_lt_i32 s12, s35
	s_cselect_b32 s13, -1, 0
	s_add_co_i32 s14, s3, 1
	s_cmp_lt_u32 s3, 2
	s_wait_xcnt 0x0
	s_cselect_b32 s3, -1, 0
	s_delay_alu instid0(SALU_CYCLE_1) | instskip(NEXT) | instid1(SALU_CYCLE_1)
	s_and_b32 s3, s13, s3
	s_and_not1_b32 vcc_lo, exec_lo, s3
	s_mov_b32 s3, s14
	s_cbranch_vccnz .LBB171_2
.LBB171_57:                             ;   Parent Loop BB171_4 Depth=1
                                        ; =>  This Loop Header: Depth=2
                                        ;       Child Loop BB171_60 Depth 3
                                        ;         Child Loop BB171_62 Depth 4
                                        ;         Child Loop BB171_66 Depth 4
	;; [unrolled: 1-line block ×3, first 2 shown]
                                        ;           Child Loop BB171_72 Depth 5
                                        ;           Child Loop BB171_78 Depth 5
                                        ;         Child Loop BB171_81 Depth 4
                                        ;           Child Loop BB171_83 Depth 5
	s_load_b32 s14, s[22:23], s3 offset:0x0 scale_offset
	s_wait_kmcnt 0x0
	s_add_co_i32 s28, s14, -1
	s_delay_alu instid0(SALU_CYCLE_1) | instskip(NEXT) | instid1(SALU_CYCLE_1)
	s_add_co_i32 s13, s28, s12
	s_cmp_ge_i32 s13, s35
	s_cbranch_scc1 .LBB171_56
; %bb.58:                               ;   in Loop: Header=BB171_57 Depth=2
	s_max_i32 s29, s14, 1
	s_cmp_lg_u32 s3, 2
	s_mul_i32 s48, s12, 0x108
	s_cselect_b32 s30, -1, 0
	s_and_b32 s31, s29, 0x7ffffffe
	s_mul_i32 s49, s14, 0x108
	s_cmp_lg_u32 s29, s31
	s_cselect_b32 s45, -1, 0
	s_ashr_i32 s13, s12, 31
	s_ashr_i32 s15, s14, 31
	s_lshl_b32 s46, s12, 3
	s_lshl_b32 s47, s14, 3
	s_branch .LBB171_60
.LBB171_59:                             ;   in Loop: Header=BB171_60 Depth=3
	s_add_nc_u64 s[12:13], s[12:13], s[14:15]
	s_add_co_i32 s46, s46, s47
	s_add_co_i32 s16, s28, s12
	;; [unrolled: 1-line block ×3, first 2 shown]
	s_cmp_ge_i32 s16, s35
	s_cbranch_scc1 .LBB171_56
.LBB171_60:                             ;   Parent Loop BB171_4 Depth=1
                                        ;     Parent Loop BB171_57 Depth=2
                                        ; =>    This Loop Header: Depth=3
                                        ;         Child Loop BB171_62 Depth 4
                                        ;         Child Loop BB171_66 Depth 4
                                        ;         Child Loop BB171_70 Depth 4
                                        ;           Child Loop BB171_72 Depth 5
                                        ;           Child Loop BB171_78 Depth 5
                                        ;         Child Loop BB171_81 Depth 4
                                        ;           Child Loop BB171_83 Depth 5
	s_and_not1_b32 vcc_lo, exec_lo, s30
	s_cbranch_vccnz .LBB171_64
; %bb.61:                               ;   in Loop: Header=BB171_60 Depth=3
	s_mov_b32 s50, s12
	s_wait_xcnt 0x0
	s_mov_b32 s51, s12
	s_mov_b32 s52, 1
	;; [unrolled: 1-line block ×5, first 2 shown]
.LBB171_62:                             ;   Parent Loop BB171_4 Depth=1
                                        ;     Parent Loop BB171_57 Depth=2
                                        ;       Parent Loop BB171_60 Depth=3
                                        ; =>      This Inner Loop Header: Depth=4
	s_add_co_i32 s56, s52, s51
	s_add_co_i32 s58, s53, s50
	s_ashr_i32 s57, s56, 31
	s_ashr_i32 s59, s58, 31
	v_lshl_add_u64 v[20:21], s[56:57], 3, v[16:17]
	v_lshl_add_u64 v[22:23], s[58:59], 3, v[16:17]
	v_mov_b64_e32 v[24:25], s[26:27]
	v_mov_b64_e32 v[26:27], s[24:25]
	s_add_co_i32 s54, s54, -2
	s_clause 0x1
	global_load_b64 v[20:21], v[20:21], off
	global_load_b64 v[22:23], v[22:23], off
	s_add_co_i32 s53, s53, 2
	s_add_co_i32 s52, s52, 2
	s_mov_b32 s16, s31
	s_mov_b32 s56, s45
	s_wait_loadcnt 0x0
	s_wait_xcnt 0x1
	v_dual_mov_b32 v31, v20 :: v_dual_mov_b32 v20, v23
	v_mov_b32_e32 v30, v22
	s_wait_xcnt 0x0
	s_delay_alu instid0(VALU_DEP_2) | instskip(SKIP_1) | instid1(VALU_DEP_2)
	v_pk_mul_f32 v[22:23], v[20:21], v[24:25]
	v_pk_mul_f32 v[20:21], v[20:21], v[26:27]
	v_pk_fma_f32 v[26:27], v[30:31], v[26:27], v[22:23] neg_lo:[0,0,1] neg_hi:[0,0,1]
	s_delay_alu instid0(VALU_DEP_2) | instskip(NEXT) | instid1(VALU_DEP_1)
	v_pk_fma_f32 v[22:23], v[30:31], v[24:25], v[20:21]
	v_dual_mov_b32 v20, v26 :: v_dual_mov_b32 v21, v22
	s_delay_alu instid0(VALU_DEP_3)
	v_mov_b32_e32 v22, v27
	scratch_store_b128 off, v[20:23], s55 offset:-8
	s_wait_xcnt 0x0
	s_add_co_i32 s55, s55, 16
	s_cmp_lg_u32 s54, 0
	s_cbranch_scc1 .LBB171_62
; %bb.63:                               ;   in Loop: Header=BB171_60 Depth=3
	s_and_b32 vcc_lo, exec_lo, s56
	s_cbranch_vccnz .LBB171_65
	s_branch .LBB171_67
.LBB171_64:                             ;   in Loop: Header=BB171_60 Depth=3
	s_mov_b32 s16, 0
	s_cbranch_execz .LBB171_67
.LBB171_65:                             ;   in Loop: Header=BB171_60 Depth=3
	s_wait_xcnt 0x0
	s_add_nc_u64 s[50:51], s[12:13], s[16:17]
	s_delay_alu instid0(SALU_CYCLE_1)
	v_lshl_add_u64 v[20:21], s[50:51], 3, v[18:19]
	s_lshl_b32 s50, s16, 3
	s_sub_co_i32 s16, s29, s16
.LBB171_66:                             ;   Parent Loop BB171_4 Depth=1
                                        ;     Parent Loop BB171_57 Depth=2
                                        ;       Parent Loop BB171_60 Depth=3
                                        ; =>      This Inner Loop Header: Depth=4
	global_load_b64 v[22:23], v[20:21], off offset:-4
	v_mov_b64_e32 v[24:25], s[6:7]
	v_mov_b64_e32 v[26:27], s[18:19]
	s_wait_xcnt 0x0
	v_add_nc_u64_e32 v[20:21], 8, v[20:21]
	s_add_co_i32 s16, s16, -1
	s_wait_loadcnt 0x0
	s_delay_alu instid0(VALU_DEP_3) | instskip(NEXT) | instid1(VALU_DEP_1)
	v_pk_mul_f32 v[24:25], v[22:23], v[24:25] op_sel:[1,0]
	v_pk_fma_f32 v[30:31], v[22:23], v[26:27], v[24:25] op_sel_hi:[0,1,1]
	v_pk_fma_f32 v[22:23], v[22:23], v[26:27], v[24:25] neg_lo:[0,0,1] neg_hi:[0,0,1]
	s_delay_alu instid0(VALU_DEP_2)
	v_mov_b32_e32 v23, v31
	scratch_store_b64 off, v[22:23], s50
	s_wait_xcnt 0x0
	s_add_co_i32 s50, s50, 8
	s_cmp_eq_u32 s16, 0
	s_cbranch_scc0 .LBB171_66
.LBB171_67:                             ;   in Loop: Header=BB171_60 Depth=3
	s_cmp_lt_i32 s12, 1
	s_cbranch_scc1 .LBB171_79
; %bb.68:                               ;   in Loop: Header=BB171_60 Depth=3
	s_mov_b32 s16, 0
	s_mov_b32 s50, s46
	s_branch .LBB171_70
.LBB171_69:                             ;   in Loop: Header=BB171_70 Depth=4
	s_add_co_i32 s16, s16, 1
	s_addk_co_i32 s50, 0x100
	s_cmp_eq_u32 s16, s12
	s_cbranch_scc1 .LBB171_79
.LBB171_70:                             ;   Parent Loop BB171_4 Depth=1
                                        ;     Parent Loop BB171_57 Depth=2
                                        ;       Parent Loop BB171_60 Depth=3
                                        ; =>      This Loop Header: Depth=4
                                        ;           Child Loop BB171_72 Depth 5
                                        ;           Child Loop BB171_78 Depth 5
	s_wait_xcnt 0x0
	v_lshl_add_u64 v[20:21], s[16:17], 3, v[16:17]
	s_and_b32 vcc_lo, exec_lo, s30
	global_load_b64 v[20:21], v[20:21], off
	s_cbranch_vccz .LBB171_74
; %bb.71:                               ;   in Loop: Header=BB171_70 Depth=4
	s_wait_loadcnt 0x0
	v_dual_mov_b32 v24, v20 :: v_dual_mov_b32 v25, v20
	v_dual_mov_b32 v22, v21 :: v_dual_mov_b32 v26, v21
	v_mov_b32_e32 v27, v21
	s_mov_b32 s51, s31
	s_mov_b32 s52, s39
	s_mov_b32 s53, s50
.LBB171_72:                             ;   Parent Loop BB171_4 Depth=1
                                        ;     Parent Loop BB171_57 Depth=2
                                        ;       Parent Loop BB171_60 Depth=3
                                        ;         Parent Loop BB171_70 Depth=4
                                        ; =>        This Inner Loop Header: Depth=5
	scratch_load_b128 v[30:33], off, s52 offset:-8
	v_mov_b32_e32 v3, s53
	s_add_co_i32 s51, s51, -2
	s_add_co_i32 s53, s53, 16
	ds_load_2addr_b64 v[34:37], v3 offset1:1
	s_wait_dscnt 0x0
	v_dual_mov_b32 v39, v36 :: v_dual_mov_b32 v36, v35
	v_mov_b32_e32 v38, v34
	s_delay_alu instid0(VALU_DEP_2) | instskip(SKIP_1) | instid1(VALU_DEP_2)
	v_pk_mul_f32 v[34:35], v[36:37], v[26:27]
	v_pk_mul_f32 v[36:37], v[36:37], v[24:25]
	v_pk_fma_f32 v[34:35], v[38:39], v[24:25], v[34:35] neg_lo:[0,0,1] neg_hi:[0,0,1]
	s_delay_alu instid0(VALU_DEP_2) | instskip(SKIP_2) | instid1(VALU_DEP_1)
	v_pk_fma_f32 v[36:37], v[38:39], v[26:27], v[36:37]
	s_wait_loadcnt 0x0
	v_dual_mov_b32 v38, v30 :: v_dual_mov_b32 v39, v32
	v_pk_add_f32 v[34:35], v[38:39], v[34:35] neg_lo:[0,1] neg_hi:[0,1]
	s_delay_alu instid0(VALU_DEP_1) | instskip(NEXT) | instid1(VALU_DEP_1)
	v_dual_mov_b32 v32, v31 :: v_dual_mov_b32 v30, v34
	v_pk_add_f32 v[32:33], v[32:33], v[36:37] neg_lo:[0,1] neg_hi:[0,1]
	s_delay_alu instid0(VALU_DEP_1)
	v_dual_mov_b32 v31, v32 :: v_dual_mov_b32 v32, v35
	scratch_store_b128 off, v[30:33], s52 offset:-8
	s_wait_xcnt 0x0
	s_add_co_i32 s52, s52, 16
	s_cmp_lg_u32 s51, 0
	s_cbranch_scc1 .LBB171_72
; %bb.73:                               ;   in Loop: Header=BB171_70 Depth=4
	s_mov_b32 s51, s45
	s_mov_b32 s52, s31
	s_branch .LBB171_76
.LBB171_74:                             ;   in Loop: Header=BB171_70 Depth=4
	s_wait_loadcnt 0x0
	v_mov_b32_e32 v22, v21
	s_mov_b32 s51, 0
	s_mov_b32 s52, s31
	s_cbranch_execz .LBB171_76
; %bb.75:                               ;   in Loop: Header=BB171_70 Depth=4
	s_mov_b32 s51, -1
	s_mov_b32 s52, 0
.LBB171_76:                             ;   in Loop: Header=BB171_70 Depth=4
	s_and_not1_b32 vcc_lo, exec_lo, s51
	s_cbranch_vccnz .LBB171_69
; %bb.77:                               ;   in Loop: Header=BB171_70 Depth=4
	s_wait_xcnt 0x0
	v_dual_mov_b32 v23, v21 :: v_dual_mov_b32 v21, v20
	s_sub_co_i32 s51, s29, s52
	s_lshl_b32 s52, s52, 3
.LBB171_78:                             ;   Parent Loop BB171_4 Depth=1
                                        ;     Parent Loop BB171_57 Depth=2
                                        ;       Parent Loop BB171_60 Depth=3
                                        ;         Parent Loop BB171_70 Depth=4
                                        ; =>        This Inner Loop Header: Depth=5
	scratch_load_b64 v[24:25], off, s52
	s_add_co_i32 s54, s50, s52
	s_add_co_i32 s51, s51, -1
	v_mov_b32_e32 v3, s54
	s_mov_b32 s53, s52
	s_wait_xcnt 0x0
	s_add_co_i32 s52, s52, 8
	s_cmp_eq_u32 s51, 0
	ds_load_b64 v[26:27], v3
	s_wait_dscnt 0x0
	v_pk_mul_f32 v[30:31], v[26:27], v[22:23] op_sel:[1,0] op_sel_hi:[0,1]
	s_delay_alu instid0(VALU_DEP_1) | instskip(SKIP_1) | instid1(VALU_DEP_2)
	v_pk_fma_f32 v[32:33], v[26:27], v[20:21], v[30:31]
	v_pk_fma_f32 v[26:27], v[26:27], v[20:21], v[30:31] neg_lo:[0,0,1] neg_hi:[0,0,1]
	v_mov_b32_e32 v27, v33
	s_wait_loadcnt 0x0
	s_delay_alu instid0(VALU_DEP_1)
	v_pk_add_f32 v[24:25], v[24:25], v[26:27] neg_lo:[0,1] neg_hi:[0,1]
	scratch_store_b64 off, v[24:25], s53
	s_cbranch_scc0 .LBB171_78
	s_branch .LBB171_69
.LBB171_79:                             ;   in Loop: Header=BB171_60 Depth=3
	s_mov_b32 s16, 0
	s_mov_b32 s50, s48
	s_branch .LBB171_81
.LBB171_80:                             ;   in Loop: Header=BB171_81 Depth=4
	s_add_co_i32 s52, s16, s12
	s_add_co_i32 s50, s50, 8
	s_mul_i32 s51, s52, 0x108
	s_wait_xcnt 0x0
	s_ashr_i32 s53, s52, 31
	v_mov_b32_e32 v3, s51
	s_lshl_b32 s51, s16, 3
	s_add_co_i32 s16, s16, 1
	s_delay_alu instid0(SALU_CYCLE_1) | instskip(SKIP_3) | instid1(VALU_DEP_1)
	s_cmp_eq_u32 s16, s29
	ds_load_b64 v[24:25], v3
	s_wait_dscnt 0x0
	v_pk_mul_f32 v[22:23], v[24:25], v[22:23] op_sel:[1,0] op_sel_hi:[0,0]
	v_pk_fma_f32 v[26:27], v[24:25], v[20:21], v[22:23] op_sel_hi:[1,0,1]
	v_pk_fma_f32 v[20:21], v[24:25], v[20:21], v[22:23] neg_lo:[0,0,1] neg_hi:[0,0,1]
	v_lshl_add_u64 v[22:23], s[52:53], 3, v[16:17]
	s_delay_alu instid0(VALU_DEP_3)
	v_mov_b32_e32 v21, v27
	scratch_store_b64 off, v[20:21], s51
	global_store_b64 v[22:23], v[20:21], off
	s_cbranch_scc1 .LBB171_59
.LBB171_81:                             ;   Parent Loop BB171_4 Depth=1
                                        ;     Parent Loop BB171_57 Depth=2
                                        ;       Parent Loop BB171_60 Depth=3
                                        ; =>      This Loop Header: Depth=4
                                        ;           Child Loop BB171_83 Depth 5
	s_cmp_lg_u32 s16, 0
	s_cbranch_scc0 .LBB171_85
; %bb.82:                               ;   in Loop: Header=BB171_81 Depth=4
	s_wait_xcnt 0x0
	s_lshl_b32 s51, s16, 3
	s_mov_b32 s52, 0
	scratch_load_b64 v[20:21], off, s51
	s_mov_b32 s53, s50
	s_mov_b32 s54, s16
.LBB171_83:                             ;   Parent Loop BB171_4 Depth=1
                                        ;     Parent Loop BB171_57 Depth=2
                                        ;       Parent Loop BB171_60 Depth=3
                                        ;         Parent Loop BB171_81 Depth=4
                                        ; =>        This Inner Loop Header: Depth=5
	scratch_load_b64 v[22:23], off, s52
	v_mov_b32_e32 v3, s53
	s_add_co_i32 s54, s54, -1
	s_addk_co_i32 s53, 0x100
	s_wait_xcnt 0x0
	s_add_co_i32 s52, s52, 8
	s_cmp_eq_u32 s54, 0
	ds_load_b64 v[24:25], v3
	s_wait_loadcnt_dscnt 0x0
	v_pk_mul_f32 v[26:27], v[24:25], v[22:23] op_sel:[1,1] op_sel_hi:[0,1]
	s_delay_alu instid0(VALU_DEP_1) | instskip(SKIP_1) | instid1(VALU_DEP_2)
	v_pk_fma_f32 v[30:31], v[24:25], v[22:23], v[26:27] op_sel_hi:[1,0,1]
	v_pk_fma_f32 v[22:23], v[24:25], v[22:23], v[26:27] neg_lo:[0,0,1] neg_hi:[0,0,1]
	v_mov_b32_e32 v23, v31
	s_delay_alu instid0(VALU_DEP_1)
	v_pk_add_f32 v[20:21], v[20:21], v[22:23] neg_lo:[0,1] neg_hi:[0,1]
	scratch_store_b64 off, v[20:21], s51
	s_cbranch_scc0 .LBB171_83
; %bb.84:                               ;   in Loop: Header=BB171_81 Depth=4
	v_mov_b32_e32 v22, v21
	s_wait_xcnt 0x0
	s_branch .LBB171_80
.LBB171_85:                             ;   in Loop: Header=BB171_81 Depth=4
	s_wait_xcnt 0x0
                                        ; implicit-def: $vgpr20
                                        ; implicit-def: $vgpr22
	s_cbranch_execz .LBB171_80
; %bb.86:                               ;   in Loop: Header=BB171_81 Depth=4
	scratch_load_b64 v[20:21], off, off
	s_wait_loadcnt 0x0
	v_mov_b32_e32 v22, v21
	s_branch .LBB171_80
.LBB171_87:
	s_or_b32 exec_lo, exec_lo, s41
	s_and_saveexec_b32 s0, s42
	s_delay_alu instid0(SALU_CYCLE_1)
	s_xor_b32 s0, exec_lo, s0
.LBB171_88:
	s_endpgm
	.section	.rodata,"a",@progbits
	.p2align	6, 0x0
	.amdhsa_kernel _ZL30rocblas_trsm_small_left_deviceILi32ELi32ELb1E19rocblas_complex_numIfES1_PKS1_PS1_Ev13rocblas_fill_18rocblas_operation_17rocblas_diagonal_iiT3_T4_lilT5_lili
		.amdhsa_group_segment_fixed_size 8192
		.amdhsa_private_segment_fixed_size 272
		.amdhsa_kernarg_size 360
		.amdhsa_user_sgpr_count 2
		.amdhsa_user_sgpr_dispatch_ptr 0
		.amdhsa_user_sgpr_queue_ptr 0
		.amdhsa_user_sgpr_kernarg_segment_ptr 1
		.amdhsa_user_sgpr_dispatch_id 0
		.amdhsa_user_sgpr_kernarg_preload_length 0
		.amdhsa_user_sgpr_kernarg_preload_offset 0
		.amdhsa_user_sgpr_private_segment_size 0
		.amdhsa_wavefront_size32 1
		.amdhsa_uses_dynamic_stack 0
		.amdhsa_enable_private_segment 1
		.amdhsa_system_sgpr_workgroup_id_x 1
		.amdhsa_system_sgpr_workgroup_id_y 0
		.amdhsa_system_sgpr_workgroup_id_z 1
		.amdhsa_system_sgpr_workgroup_info 0
		.amdhsa_system_vgpr_workitem_id 0
		.amdhsa_next_free_vgpr 81
		.amdhsa_next_free_sgpr 61
		.amdhsa_named_barrier_count 0
		.amdhsa_reserve_vcc 1
		.amdhsa_float_round_mode_32 0
		.amdhsa_float_round_mode_16_64 0
		.amdhsa_float_denorm_mode_32 3
		.amdhsa_float_denorm_mode_16_64 3
		.amdhsa_fp16_overflow 0
		.amdhsa_memory_ordered 1
		.amdhsa_forward_progress 1
		.amdhsa_inst_pref_size 32
		.amdhsa_round_robin_scheduling 0
		.amdhsa_exception_fp_ieee_invalid_op 0
		.amdhsa_exception_fp_denorm_src 0
		.amdhsa_exception_fp_ieee_div_zero 0
		.amdhsa_exception_fp_ieee_overflow 0
		.amdhsa_exception_fp_ieee_underflow 0
		.amdhsa_exception_fp_ieee_inexact 0
		.amdhsa_exception_int_div_zero 0
	.end_amdhsa_kernel
	.section	.text._ZL30rocblas_trsm_small_left_deviceILi32ELi32ELb1E19rocblas_complex_numIfES1_PKS1_PS1_Ev13rocblas_fill_18rocblas_operation_17rocblas_diagonal_iiT3_T4_lilT5_lili,"axG",@progbits,_ZL30rocblas_trsm_small_left_deviceILi32ELi32ELb1E19rocblas_complex_numIfES1_PKS1_PS1_Ev13rocblas_fill_18rocblas_operation_17rocblas_diagonal_iiT3_T4_lilT5_lili,comdat
.Lfunc_end171:
	.size	_ZL30rocblas_trsm_small_left_deviceILi32ELi32ELb1E19rocblas_complex_numIfES1_PKS1_PS1_Ev13rocblas_fill_18rocblas_operation_17rocblas_diagonal_iiT3_T4_lilT5_lili, .Lfunc_end171-_ZL30rocblas_trsm_small_left_deviceILi32ELi32ELb1E19rocblas_complex_numIfES1_PKS1_PS1_Ev13rocblas_fill_18rocblas_operation_17rocblas_diagonal_iiT3_T4_lilT5_lili
                                        ; -- End function
	.set _ZL30rocblas_trsm_small_left_deviceILi32ELi32ELb1E19rocblas_complex_numIfES1_PKS1_PS1_Ev13rocblas_fill_18rocblas_operation_17rocblas_diagonal_iiT3_T4_lilT5_lili.num_vgpr, 40
	.set _ZL30rocblas_trsm_small_left_deviceILi32ELi32ELb1E19rocblas_complex_numIfES1_PKS1_PS1_Ev13rocblas_fill_18rocblas_operation_17rocblas_diagonal_iiT3_T4_lilT5_lili.num_agpr, 0
	.set _ZL30rocblas_trsm_small_left_deviceILi32ELi32ELb1E19rocblas_complex_numIfES1_PKS1_PS1_Ev13rocblas_fill_18rocblas_operation_17rocblas_diagonal_iiT3_T4_lilT5_lili.numbered_sgpr, 61
	.set _ZL30rocblas_trsm_small_left_deviceILi32ELi32ELb1E19rocblas_complex_numIfES1_PKS1_PS1_Ev13rocblas_fill_18rocblas_operation_17rocblas_diagonal_iiT3_T4_lilT5_lili.num_named_barrier, 0
	.set _ZL30rocblas_trsm_small_left_deviceILi32ELi32ELb1E19rocblas_complex_numIfES1_PKS1_PS1_Ev13rocblas_fill_18rocblas_operation_17rocblas_diagonal_iiT3_T4_lilT5_lili.private_seg_size, 272
	.set _ZL30rocblas_trsm_small_left_deviceILi32ELi32ELb1E19rocblas_complex_numIfES1_PKS1_PS1_Ev13rocblas_fill_18rocblas_operation_17rocblas_diagonal_iiT3_T4_lilT5_lili.uses_vcc, 1
	.set _ZL30rocblas_trsm_small_left_deviceILi32ELi32ELb1E19rocblas_complex_numIfES1_PKS1_PS1_Ev13rocblas_fill_18rocblas_operation_17rocblas_diagonal_iiT3_T4_lilT5_lili.uses_flat_scratch, 0
	.set _ZL30rocblas_trsm_small_left_deviceILi32ELi32ELb1E19rocblas_complex_numIfES1_PKS1_PS1_Ev13rocblas_fill_18rocblas_operation_17rocblas_diagonal_iiT3_T4_lilT5_lili.has_dyn_sized_stack, 0
	.set _ZL30rocblas_trsm_small_left_deviceILi32ELi32ELb1E19rocblas_complex_numIfES1_PKS1_PS1_Ev13rocblas_fill_18rocblas_operation_17rocblas_diagonal_iiT3_T4_lilT5_lili.has_recursion, 0
	.set _ZL30rocblas_trsm_small_left_deviceILi32ELi32ELb1E19rocblas_complex_numIfES1_PKS1_PS1_Ev13rocblas_fill_18rocblas_operation_17rocblas_diagonal_iiT3_T4_lilT5_lili.has_indirect_call, 0
	.section	.AMDGPU.csdata,"",@progbits
; Kernel info:
; codeLenInByte = 4092
; TotalNumSgprs: 63
; NumVgprs: 40
; ScratchSize: 272
; MemoryBound: 0
; FloatMode: 240
; IeeeMode: 1
; LDSByteSize: 8192 bytes/workgroup (compile time only)
; SGPRBlocks: 0
; VGPRBlocks: 5
; NumSGPRsForWavesPerEU: 63
; NumVGPRsForWavesPerEU: 81
; NamedBarCnt: 0
; Occupancy: 10
; WaveLimiterHint : 1
; COMPUTE_PGM_RSRC2:SCRATCH_EN: 1
; COMPUTE_PGM_RSRC2:USER_SGPR: 2
; COMPUTE_PGM_RSRC2:TRAP_HANDLER: 0
; COMPUTE_PGM_RSRC2:TGID_X_EN: 1
; COMPUTE_PGM_RSRC2:TGID_Y_EN: 0
; COMPUTE_PGM_RSRC2:TGID_Z_EN: 1
; COMPUTE_PGM_RSRC2:TIDIG_COMP_CNT: 0
	.section	.text._ZL31rocblas_trsm_small_right_deviceI19rocblas_complex_numIfES1_PKS1_PS1_Li32EEv13rocblas_fill_18rocblas_operation_17rocblas_diagonal_iiT0_T1_lilT2_lili,"axG",@progbits,_ZL31rocblas_trsm_small_right_deviceI19rocblas_complex_numIfES1_PKS1_PS1_Li32EEv13rocblas_fill_18rocblas_operation_17rocblas_diagonal_iiT0_T1_lilT2_lili,comdat
	.globl	_ZL31rocblas_trsm_small_right_deviceI19rocblas_complex_numIfES1_PKS1_PS1_Li32EEv13rocblas_fill_18rocblas_operation_17rocblas_diagonal_iiT0_T1_lilT2_lili ; -- Begin function _ZL31rocblas_trsm_small_right_deviceI19rocblas_complex_numIfES1_PKS1_PS1_Li32EEv13rocblas_fill_18rocblas_operation_17rocblas_diagonal_iiT0_T1_lilT2_lili
	.p2align	8
	.type	_ZL31rocblas_trsm_small_right_deviceI19rocblas_complex_numIfES1_PKS1_PS1_Li32EEv13rocblas_fill_18rocblas_operation_17rocblas_diagonal_iiT0_T1_lilT2_lili,@function
_ZL31rocblas_trsm_small_right_deviceI19rocblas_complex_numIfES1_PKS1_PS1_Li32EEv13rocblas_fill_18rocblas_operation_17rocblas_diagonal_iiT0_T1_lilT2_lili: ; @_ZL31rocblas_trsm_small_right_deviceI19rocblas_complex_numIfES1_PKS1_PS1_Li32EEv13rocblas_fill_18rocblas_operation_17rocblas_diagonal_iiT0_T1_lilT2_lili
; %bb.0:
	s_load_b32 s33, s[0:1], 0x60
	s_bfe_u32 s2, ttmp6, 0x40014
	s_lshr_b32 s4, ttmp7, 16
	s_add_co_i32 s2, s2, 1
	s_bfe_u32 s5, ttmp6, 0x40008
	s_mul_i32 s2, s4, s2
	s_getreg_b32 s3, hwreg(HW_REG_IB_STS2, 6, 4)
	s_add_co_i32 s5, s5, s2
	s_cmp_eq_u32 s3, 0
	s_mov_b32 s19, 0
	s_cselect_b32 s2, s4, s5
	s_wait_kmcnt 0x0
	s_cmp_ge_u32 s2, s33
	s_cbranch_scc1 .LBB172_155
; %bb.1:
	s_clause 0x7
	s_load_b96 s[20:22], s[0:1], 0x48
	s_load_b32 s26, s[0:1], 0x30
	s_load_b128 s[12:15], s[0:1], 0x0
	s_load_b96 s[16:18], s[0:1], 0x10
	s_load_b32 s23, s[0:1], 0x68
	s_load_b128 s[8:11], s[0:1], 0x20
	s_load_b128 s[4:7], s[0:1], 0x38
	s_load_b64 s[24:25], s[0:1], 0x58
	v_dual_mov_b32 v7, 0 :: v_dual_lshlrev_b32 v4, 3, v0
	v_lshlrev_b32_e32 v1, 8, v0
	v_mov_b64_e32 v[14:15], 0x3f800000
	v_lshlrev_b32_e32 v6, 3, v0
	s_delay_alu instid0(VALU_DEP_4) | instskip(NEXT) | instid1(VALU_DEP_4)
	v_or_b32_e32 v24, 0x2000, v4
	v_dual_mov_b32 v5, v7 :: v_dual_add_nc_u32 v26, v4, v1
	s_wait_kmcnt 0x0
	s_ashr_i32 s29, s22, 31
	s_mov_b32 s28, s22
	s_ashr_i32 s27, s26, 31
	s_cmp_eq_u64 s[28:29], 1
	s_mov_b32 s22, s17
	s_cselect_b32 s34, -1, 0
	s_lshl_b64 s[0:1], s[20:21], 3
	s_cmp_lg_u32 s12, 0x7a
	s_cselect_b32 s35, -1, 0
	s_cmp_lg_u32 s13, 0x71
	s_cselect_b32 s36, -1, 0
	s_bfe_u32 s20, ttmp6, 0x4000c
	s_min_i32 s37, s16, 32
	s_add_co_i32 s20, s20, 1
	s_and_b32 s21, ttmp6, 15
	s_mul_i32 s20, ttmp9, s20
	s_add_co_i32 s23, s23, -1
	s_add_co_i32 s38, s37, -1
	s_add_co_i32 s21, s21, s20
	s_cmp_eq_u32 s3, 0
	s_mov_b32 s20, s17
	s_cselect_b32 s30, ttmp9, s21
	s_mov_b32 s21, s18
	s_lshl_b32 s3, s30, 5
	s_delay_alu instid0(SALU_CYCLE_1)
	s_sub_co_i32 s3, s15, s3
	s_cmp_ge_u32 s30, s23
	s_mov_b32 s23, s17
	s_cselect_b32 s3, s3, 32
	s_ashr_i32 s31, s30, 31
	v_cmp_gt_i32_e32 vcc_lo, s3, v0
	s_lshl_b64 s[30:31], s[30:31], 8
	s_cmp_eq_u32 s14, 0x84
	s_mov_b32 s14, s18
	s_cselect_b32 s39, -1, 0
	s_cmp_gt_i32 s16, 0
	s_mov_b32 s15, s18
	s_cselect_b32 s43, -1, 0
	s_cmp_lg_u32 s13, 0x6f
	s_cselect_b32 s13, -1, 0
	s_cmp_lg_u32 s12, 0x79
	s_mov_b32 s12, s18
	s_cselect_b32 s3, -1, 0
	s_or_b32 s40, s35, s13
	s_or_b32 s41, s3, s13
	s_cmp_gt_i32 s16, 3
	v_cndmask_b32_e64 v25, 0, 1, s3
	s_cselect_b32 s42, -1, 0
	s_and_b32 s43, vcc_lo, s43
	s_cmp_gt_u32 s16, 1
	s_mov_b32 s13, s17
	s_cselect_b32 s3, -1, 0
	s_and_b32 s17, s16, 0x7ffffffe
	s_and_b32 s44, s3, s34
	s_cmp_lg_u32 s16, s17
	s_add_nc_u64 s[34:35], s[6:7], s[0:1]
	s_cselect_b32 s45, -1, 0
	s_lshl_b64 s[10:11], s[10:11], 3
	s_add_nc_u64 s[0:1], s[30:31], s[0:1]
	s_add_nc_u64 s[8:9], s[8:9], s[10:11]
	;; [unrolled: 1-line block ×3, first 2 shown]
	v_add_nc_u64_e32 v[2:3], s[8:9], v[4:5]
	v_add_nc_u64_e32 v[8:9], s[6:7], v[4:5]
	s_lshl_b32 s46, s37, 8
	v_cmp_gt_i32_e64 s0, s37, v0
	s_mul_i32 s1, s37, 0x108
	s_lshl_b32 s48, s37, 3
	s_add_nc_u64 s[6:7], s[34:35], s[30:31]
	v_add_nc_u64_e32 v[10:11], 4, v[2:3]
	v_or_b32_e32 v2, s46, v4
	v_add_nc_u64_e32 v[12:13], 4, v[8:9]
	s_lshl_b64 s[4:5], s[4:5], 3
	s_lshl_b64 s[8:9], s[26:27], 3
	;; [unrolled: 1-line block ×3, first 2 shown]
	v_add_nc_u32_e32 v5, 0x1f00, v2
	s_lshl_b64 s[26:27], s[24:25], 3
	s_addk_co_i32 s46, 0xff00
	s_add_co_i32 s47, s1, 0xfffffbf8
	s_add_co_i32 s48, s48, -8
	s_branch .LBB172_3
.LBB172_2:                              ;   in Loop: Header=BB172_3 Depth=1
	s_or_b32 exec_lo, exec_lo, s3
	s_add_co_i32 s2, s2, 0x10000
	s_delay_alu instid0(SALU_CYCLE_1)
	s_cmp_lt_u32 s2, s33
	s_cbranch_scc0 .LBB172_155
.LBB172_3:                              ; =>This Loop Header: Depth=1
                                        ;     Child Loop BB172_6 Depth 2
                                        ;     Child Loop BB172_15 Depth 2
                                        ;     Child Loop BB172_19 Depth 2
                                        ;     Child Loop BB172_25 Depth 2
                                        ;       Child Loop BB172_26 Depth 3
                                        ;     Child Loop BB172_48 Depth 2
                                        ;       Child Loop BB172_49 Depth 3
                                        ;     Child Loop BB172_57 Depth 2
	;; [unrolled: 2-line block ×8, first 2 shown]
	s_mov_b32 s3, s19
	s_and_saveexec_b32 s18, s0
	s_cbranch_execz .LBB172_12
; %bb.4:                                ;   in Loop: Header=BB172_3 Depth=1
	v_mad_nc_u64_u32 v[0:1], s4, s2, v[10:11]
	v_mov_b32_e32 v16, v4
	s_mov_b32 s28, s37
	s_delay_alu instid0(VALU_DEP_2)
	v_mad_u32 v1, s5, s2, v1
	s_branch .LBB172_6
.LBB172_5:                              ;   in Loop: Header=BB172_6 Depth=2
	global_load_b32 v2, v[0:1], off offset:-4
	s_wait_xcnt 0x0
	v_add_nc_u64_e32 v[0:1], s[8:9], v[0:1]
	s_add_co_i32 s28, s28, -1
	s_delay_alu instid0(SALU_CYCLE_1)
	s_cmp_eq_u32 s28, 0
	s_wait_loadcnt 0x0
	ds_store_b64 v16, v[2:3]
	v_add_nc_u32_e32 v16, 0x100, v16
	s_cbranch_scc1 .LBB172_10
.LBB172_6:                              ;   Parent Loop BB172_3 Depth=1
                                        ; =>  This Inner Loop Header: Depth=2
	s_and_b32 vcc_lo, exec_lo, s36
	s_mov_b32 s29, -1
                                        ; implicit-def: $vgpr3
	s_cbranch_vccz .LBB172_8
; %bb.7:                                ;   in Loop: Header=BB172_6 Depth=2
	global_load_b32 v3, v[0:1], off
	s_mov_b32 s29, 0
.LBB172_8:                              ;   in Loop: Header=BB172_6 Depth=2
	s_delay_alu instid0(SALU_CYCLE_1)
	s_and_not1_b32 vcc_lo, exec_lo, s29
	s_cbranch_vccnz .LBB172_5
; %bb.9:                                ;   in Loop: Header=BB172_6 Depth=2
	global_load_b32 v2, v[0:1], off
	s_wait_loadcnt 0x0
	v_xor_b32_e32 v3, 0x80000000, v2
	s_branch .LBB172_5
.LBB172_10:                             ;   in Loop: Header=BB172_3 Depth=1
	s_and_b32 vcc_lo, exec_lo, s39
	s_cbranch_vccz .LBB172_12
; %bb.11:                               ;   in Loop: Header=BB172_3 Depth=1
	ds_store_b64 v26, v[14:15]
.LBB172_12:                             ;   in Loop: Header=BB172_3 Depth=1
	s_or_b32 exec_lo, exec_lo, s18
	s_mul_u64 s[28:29], s[26:27], s[2:3]
	s_and_saveexec_b32 s49, s43
	s_cbranch_execz .LBB172_20
; %bb.13:                               ;   in Loop: Header=BB172_3 Depth=1
	s_and_not1_b32 vcc_lo, exec_lo, s44
	s_cbranch_vccnz .LBB172_17
; %bb.14:                               ;   in Loop: Header=BB172_3 Depth=1
	s_mul_u64 s[30:31], s[24:25], s[2:3]
	s_mov_b32 s18, 0
	s_lshl_b64 s[30:31], s[30:31], 3
	s_mov_b32 s3, s17
	s_add_nc_u64 s[30:31], s[6:7], s[30:31]
	s_delay_alu instid0(SALU_CYCLE_1)
	v_add_nc_u64_e32 v[0:1], s[30:31], v[6:7]
	s_mov_b32 s30, 1
.LBB172_15:                             ;   Parent Loop BB172_3 Depth=1
                                        ; =>  This Inner Loop Header: Depth=2
	s_mov_b32 s31, s19
	s_delay_alu instid0(VALU_DEP_1)
	v_lshl_add_u64 v[2:3], s[18:19], 3, v[0:1]
	v_lshl_add_u64 v[16:17], s[30:31], 3, v[0:1]
	v_lshl_add_u32 v27, s18, 8, v24
	v_lshl_add_u32 v28, s30, 8, v24
	s_add_co_i32 s3, s3, -2
	s_clause 0x1
	global_load_b64 v[18:19], v[2:3], off
	global_load_b64 v[20:21], v[16:17], off
	s_wait_xcnt 0x1
	v_mov_b64_e32 v[2:3], s[14:15]
	s_wait_xcnt 0x0
	v_mov_b64_e32 v[16:17], s[22:23]
	s_add_co_i32 s18, s18, 2
	s_add_co_i32 s30, s30, 2
	s_mov_b32 s34, s17
	s_mov_b32 s31, s45
	s_cmp_lg_u32 s3, 0
	s_wait_loadcnt 0x0
	v_dual_mov_b32 v22, v18 :: v_dual_mov_b32 v23, v20
	v_mov_b32_e32 v20, v19
	s_delay_alu instid0(VALU_DEP_1) | instskip(SKIP_1) | instid1(VALU_DEP_2)
	v_pk_mul_f32 v[18:19], v[2:3], v[20:21]
	v_pk_mul_f32 v[20:21], v[16:17], v[20:21]
	v_pk_fma_f32 v[16:17], v[16:17], v[22:23], v[18:19] neg_lo:[0,0,1] neg_hi:[0,0,1]
	s_delay_alu instid0(VALU_DEP_2)
	v_pk_fma_f32 v[2:3], v[2:3], v[22:23], v[20:21]
	ds_store_b32 v27, v16
	ds_store_b32 v28, v17
	ds_store_b32 v27, v2 offset:4
	ds_store_b32 v28, v3 offset:4
	s_cbranch_scc1 .LBB172_15
; %bb.16:                               ;   in Loop: Header=BB172_3 Depth=1
	s_and_b32 vcc_lo, exec_lo, s31
	s_cbranch_vccnz .LBB172_18
	s_branch .LBB172_20
.LBB172_17:                             ;   in Loop: Header=BB172_3 Depth=1
	s_mov_b32 s34, 0
	s_cbranch_execz .LBB172_20
.LBB172_18:                             ;   in Loop: Header=BB172_3 Depth=1
	s_mov_b32 s35, s19
	v_lshl_add_u32 v2, s34, 8, v24
	s_mul_u64 s[30:31], s[10:11], s[34:35]
	s_sub_co_i32 s3, s16, s34
	s_add_nc_u64 s[30:31], s[30:31], s[28:29]
	s_delay_alu instid0(SALU_CYCLE_1)
	v_add_nc_u64_e32 v[0:1], s[30:31], v[12:13]
.LBB172_19:                             ;   Parent Loop BB172_3 Depth=1
                                        ; =>  This Inner Loop Header: Depth=2
	global_load_b64 v[16:17], v[0:1], off offset:-4
	v_mov_b64_e32 v[18:19], s[12:13]
	v_mov_b64_e32 v[20:21], s[20:21]
	s_wait_xcnt 0x0
	v_add_nc_u64_e32 v[0:1], s[10:11], v[0:1]
	s_add_co_i32 s3, s3, -1
	s_delay_alu instid0(SALU_CYCLE_1) | instskip(SKIP_2) | instid1(VALU_DEP_1)
	s_cmp_lg_u32 s3, 0
	s_wait_loadcnt 0x0
	v_pk_mul_f32 v[18:19], v[18:19], v[16:17] op_sel:[0,1]
	v_pk_fma_f32 v[22:23], v[20:21], v[16:17], v[18:19] op_sel_hi:[1,0,1]
	v_pk_fma_f32 v[16:17], v[20:21], v[16:17], v[18:19] neg_lo:[0,0,1] neg_hi:[0,0,1]
	s_delay_alu instid0(VALU_DEP_2)
	v_mov_b32_e32 v17, v23
	ds_store_b64 v2, v[16:17]
	v_add_nc_u32_e32 v2, 0x100, v2
	s_cbranch_scc1 .LBB172_19
.LBB172_20:                             ;   in Loop: Header=BB172_3 Depth=1
	s_or_b32 exec_lo, exec_lo, s49
	s_delay_alu instid0(SALU_CYCLE_1)
	s_and_b32 vcc_lo, exec_lo, s41
	s_mov_b32 s3, -1
	s_wait_dscnt 0x0
	; wave barrier
	s_cbranch_vccz .LBB172_120
; %bb.21:                               ;   in Loop: Header=BB172_3 Depth=1
	s_and_b32 vcc_lo, exec_lo, s40
	s_cbranch_vccz .LBB172_87
; %bb.22:                               ;   in Loop: Header=BB172_3 Depth=1
	v_cmp_ne_u32_e32 vcc_lo, 1, v25
	s_cbranch_vccnz .LBB172_55
; %bb.23:                               ;   in Loop: Header=BB172_3 Depth=1
	s_and_not1_b32 vcc_lo, exec_lo, s42
	s_mov_b32 s30, 0
	s_cbranch_vccnz .LBB172_45
; %bb.24:                               ;   in Loop: Header=BB172_3 Depth=1
	s_mov_b32 s3, 0
	s_mov_b32 s18, 0
.LBB172_25:                             ;   Parent Loop BB172_3 Depth=1
                                        ; =>  This Loop Header: Depth=2
                                        ;       Child Loop BB172_26 Depth 3
	s_delay_alu instid0(SALU_CYCLE_1) | instskip(SKIP_3) | instid1(SALU_CYCLE_1)
	s_lshl_b32 s34, s18, 8
	s_or_b32 s35, s18, 1
	s_or_b32 s30, s18, 2
	;; [unrolled: 1-line block ×3, first 2 shown]
	v_dual_add_nc_u32 v30, s34, v24 :: v_dual_add_nc_u32 v27, s31, v24
	v_lshl_add_u32 v29, s35, 8, v24
	v_lshl_add_u32 v28, s30, 8, v24
	ds_load_b64 v[0:1], v30
	ds_load_b64 v[22:23], v29
	;; [unrolled: 1-line block ×4, first 2 shown]
	v_mov_b32_e32 v2, v24
	s_cmp_eq_u32 s18, 0
	s_mov_b32 s31, s3
	s_mov_b32 s49, s18
	s_cbranch_scc1 .LBB172_27
.LBB172_26:                             ;   Parent Loop BB172_3 Depth=1
                                        ;     Parent Loop BB172_25 Depth=2
                                        ; =>    This Inner Loop Header: Depth=3
	v_mov_b32_e32 v3, s31
	s_add_co_i32 s49, s49, -1
	s_addk_co_i32 s31, 0x100
	s_cmp_eq_u32 s49, 0
	ds_load_b64 v[20:21], v2
	ds_load_b128 v[32:35], v3
	ds_load_b128 v[36:39], v3 offset:16
	s_wait_dscnt 0x1
	v_dual_mul_f32 v3, v33, v21 :: v_dual_add_nc_u32 v2, 0x100, v2
	v_dual_mul_f32 v31, v32, v21 :: v_dual_mul_f32 v44, v35, v21
	v_mul_f32_e32 v45, v35, v20
	s_wait_dscnt 0x0
	v_pk_mul_f32 v[40:41], v[36:37], v[20:21] op_sel:[0,1]
	v_pk_mul_f32 v[42:43], v[38:39], v[20:21] op_sel:[0,1]
	v_dual_fma_f32 v3, v32, v20, -v3 :: v_dual_fma_f32 v44, v34, v20, -v44
	v_dual_fmac_f32 v31, v33, v20 :: v_dual_fmac_f32 v45, v34, v21
	s_delay_alu instid0(VALU_DEP_4) | instskip(NEXT) | instid1(VALU_DEP_4)
	v_pk_fma_f32 v[32:33], v[36:37], v[20:21], v[40:41] op_sel:[0,0,1] op_sel_hi:[1,0,0]
	v_pk_fma_f32 v[34:35], v[38:39], v[20:21], v[42:43] op_sel:[0,0,1] op_sel_hi:[1,0,0]
	v_pk_fma_f32 v[36:37], v[36:37], v[20:21], v[40:41] op_sel:[0,0,1] op_sel_hi:[1,1,0] neg_lo:[0,0,1] neg_hi:[0,0,1]
	v_pk_fma_f32 v[20:21], v[38:39], v[20:21], v[42:43] op_sel:[0,0,1] op_sel_hi:[1,1,0] neg_lo:[0,0,1] neg_hi:[0,0,1]
	s_delay_alu instid0(VALU_DEP_4) | instskip(NEXT) | instid1(VALU_DEP_4)
	v_dual_sub_f32 v0, v0, v3 :: v_dual_mov_b32 v37, v33
	v_dual_mov_b32 v21, v35 :: v_dual_sub_f32 v1, v1, v31
	v_dual_sub_f32 v22, v22, v44 :: v_dual_sub_f32 v23, v23, v45
	s_delay_alu instid0(VALU_DEP_3) | instskip(NEXT) | instid1(VALU_DEP_3)
	v_pk_add_f32 v[18:19], v[18:19], v[36:37] neg_lo:[0,1] neg_hi:[0,1]
	v_pk_add_f32 v[16:17], v[16:17], v[20:21] neg_lo:[0,1] neg_hi:[0,1]
	s_cbranch_scc0 .LBB172_26
.LBB172_27:                             ;   in Loop: Header=BB172_25 Depth=2
	s_lshl_b32 s31, s18, 3
	s_mov_b32 s49, -1
	s_add_co_i32 s34, s31, s34
	s_delay_alu instid0(SALU_CYCLE_1) | instskip(SKIP_4) | instid1(VALU_DEP_1)
	v_mov_b32_e32 v2, s34
	ds_load_b64 v[2:3], v2
	s_wait_dscnt 0x0
	v_and_b32_e32 v20, 0x7fffffff, v2
	v_and_b32_e32 v21, 0x7fffffff, v3
	v_cmp_ngt_f32_e32 vcc_lo, v20, v21
                                        ; implicit-def: $vgpr21
	s_cbranch_vccz .LBB172_29
; %bb.28:                               ;   in Loop: Header=BB172_25 Depth=2
	v_div_scale_f32 v20, null, v3, v3, v2
	v_div_scale_f32 v32, vcc_lo, v2, v3, v2
	s_mov_b32 s49, 0
	v_rcp_f32_e32 v21, v20
	v_nop
	v_xor_b32_e32 v20, 0x80000000, v20
	s_delay_alu instid0(TRANS32_DEP_1) | instid1(VALU_DEP_1)
	v_fma_f32 v31, v20, v21, 1.0
	s_delay_alu instid0(VALU_DEP_1) | instskip(NEXT) | instid1(VALU_DEP_1)
	v_fmac_f32_e32 v21, v31, v21
	v_mul_f32_e32 v31, v32, v21
	s_delay_alu instid0(VALU_DEP_1) | instskip(NEXT) | instid1(VALU_DEP_1)
	v_fma_f32 v33, v20, v31, v32
	v_fmac_f32_e32 v31, v33, v21
	s_delay_alu instid0(VALU_DEP_1) | instskip(NEXT) | instid1(VALU_DEP_1)
	v_fmac_f32_e32 v32, v20, v31
	v_div_fmas_f32 v20, v32, v21, v31
	s_delay_alu instid0(VALU_DEP_1) | instskip(NEXT) | instid1(VALU_DEP_1)
	v_div_fixup_f32 v20, v20, v3, v2
	v_fma_f32 v21, v2, v20, v3
	s_delay_alu instid0(VALU_DEP_1) | instskip(SKIP_1) | instid1(VALU_DEP_2)
	v_div_scale_f32 v31, null, v21, v21, 1.0
	v_div_scale_f32 v34, vcc_lo, 1.0, v21, 1.0
	v_rcp_f32_e32 v32, v31
	v_nop
	v_xor_b32_e32 v31, 0x80000000, v31
	s_delay_alu instid0(TRANS32_DEP_1) | instid1(VALU_DEP_1)
	v_fma_f32 v33, v31, v32, 1.0
	s_delay_alu instid0(VALU_DEP_1) | instskip(NEXT) | instid1(VALU_DEP_1)
	v_fmac_f32_e32 v32, v33, v32
	v_mul_f32_e32 v33, v34, v32
	s_delay_alu instid0(VALU_DEP_1) | instskip(NEXT) | instid1(VALU_DEP_1)
	v_fma_f32 v35, v31, v33, v34
	v_fmac_f32_e32 v33, v35, v32
	s_delay_alu instid0(VALU_DEP_1) | instskip(NEXT) | instid1(VALU_DEP_1)
	v_fmac_f32_e32 v34, v31, v33
	v_div_fmas_f32 v31, v34, v32, v33
	v_fma_f32 v32, v0, v20, v1
	s_delay_alu instid0(VALU_DEP_2) | instskip(NEXT) | instid1(VALU_DEP_1)
	v_div_fixup_f32 v21, v31, v21, 1.0
	v_dual_fma_f32 v31, v1, v20, -v0 :: v_dual_mul_f32 v20, v32, v21
	s_delay_alu instid0(VALU_DEP_1)
	v_mul_f32_e32 v21, v31, v21
.LBB172_29:                             ;   in Loop: Header=BB172_25 Depth=2
	s_and_not1_b32 vcc_lo, exec_lo, s49
	s_cbranch_vccnz .LBB172_31
; %bb.30:                               ;   in Loop: Header=BB172_25 Depth=2
	v_div_scale_f32 v20, null, v2, v2, v3
	v_div_scale_f32 v32, vcc_lo, v3, v2, v3
	s_delay_alu instid0(VALU_DEP_2)
	v_rcp_f32_e32 v21, v20
	v_nop
	v_xor_b32_e32 v20, 0x80000000, v20
	s_delay_alu instid0(TRANS32_DEP_1) | instid1(VALU_DEP_1)
	v_fma_f32 v31, v20, v21, 1.0
	s_delay_alu instid0(VALU_DEP_1) | instskip(NEXT) | instid1(VALU_DEP_1)
	v_fmac_f32_e32 v21, v31, v21
	v_mul_f32_e32 v31, v32, v21
	s_delay_alu instid0(VALU_DEP_1) | instskip(NEXT) | instid1(VALU_DEP_1)
	v_fma_f32 v33, v20, v31, v32
	v_fmac_f32_e32 v31, v33, v21
	s_delay_alu instid0(VALU_DEP_1) | instskip(NEXT) | instid1(VALU_DEP_1)
	v_fmac_f32_e32 v32, v20, v31
	v_div_fmas_f32 v20, v32, v21, v31
	s_delay_alu instid0(VALU_DEP_1) | instskip(NEXT) | instid1(VALU_DEP_1)
	v_div_fixup_f32 v20, v20, v2, v3
	v_fmac_f32_e32 v2, v3, v20
	s_delay_alu instid0(VALU_DEP_1) | instskip(SKIP_1) | instid1(VALU_DEP_2)
	v_div_scale_f32 v3, null, v2, v2, 1.0
	v_div_scale_f32 v32, vcc_lo, 1.0, v2, 1.0
	v_rcp_f32_e32 v21, v3
	v_nop
	v_xor_b32_e32 v3, 0x80000000, v3
	s_delay_alu instid0(TRANS32_DEP_1) | instid1(VALU_DEP_1)
	v_fma_f32 v31, v3, v21, 1.0
	s_delay_alu instid0(VALU_DEP_1) | instskip(NEXT) | instid1(VALU_DEP_1)
	v_fmac_f32_e32 v21, v31, v21
	v_mul_f32_e32 v31, v32, v21
	s_delay_alu instid0(VALU_DEP_1) | instskip(NEXT) | instid1(VALU_DEP_1)
	v_fma_f32 v33, v3, v31, v32
	v_fmac_f32_e32 v31, v33, v21
	s_delay_alu instid0(VALU_DEP_1) | instskip(NEXT) | instid1(VALU_DEP_1)
	v_fmac_f32_e32 v32, v3, v31
	v_div_fmas_f32 v3, v32, v21, v31
	v_dual_fma_f32 v21, v1, v20, v0 :: v_dual_fma_f32 v0, -v0, v20, v1
	s_delay_alu instid0(VALU_DEP_2) | instskip(NEXT) | instid1(VALU_DEP_1)
	v_div_fixup_f32 v2, v3, v2, 1.0
	v_dual_mul_f32 v20, v21, v2 :: v_dual_mul_f32 v21, v0, v2
.LBB172_31:                             ;   in Loop: Header=BB172_25 Depth=2
	v_mov_b32_e32 v0, s34
	s_mov_b32 s49, -1
	ds_store_b64 v30, v[20:21]
	ds_load_2addr_b64 v[0:3], v0 offset0:1 offset1:33
	s_wait_dscnt 0x0
	v_dual_mul_f32 v31, v21, v1 :: v_dual_mul_f32 v1, v20, v1
	v_and_b32_e32 v32, 0x7fffffff, v2
	v_and_b32_e32 v33, 0x7fffffff, v3
	s_delay_alu instid0(VALU_DEP_3) | instskip(NEXT) | instid1(VALU_DEP_2)
	v_dual_fma_f32 v31, v20, v0, -v31 :: v_dual_fmac_f32 v1, v21, v0
	v_cmp_ngt_f32_e32 vcc_lo, v32, v33
	s_delay_alu instid0(VALU_DEP_2)
	v_dual_sub_f32 v0, v22, v31 :: v_dual_sub_f32 v1, v23, v1
                                        ; implicit-def: $vgpr23
	s_cbranch_vccz .LBB172_33
; %bb.32:                               ;   in Loop: Header=BB172_25 Depth=2
	v_div_scale_f32 v22, null, v3, v3, v2
	v_div_scale_f32 v31, vcc_lo, v2, v3, v2
	s_mov_b32 s49, 0
	v_rcp_f32_e32 v23, v22
	v_nop
	v_xor_b32_e32 v22, 0x80000000, v22
	s_delay_alu instid0(TRANS32_DEP_1) | instid1(VALU_DEP_1)
	v_fma_f32 v30, v22, v23, 1.0
	s_delay_alu instid0(VALU_DEP_1) | instskip(NEXT) | instid1(VALU_DEP_1)
	v_fmac_f32_e32 v23, v30, v23
	v_mul_f32_e32 v30, v31, v23
	s_delay_alu instid0(VALU_DEP_1) | instskip(NEXT) | instid1(VALU_DEP_1)
	v_fma_f32 v32, v22, v30, v31
	v_fmac_f32_e32 v30, v32, v23
	s_delay_alu instid0(VALU_DEP_1) | instskip(NEXT) | instid1(VALU_DEP_1)
	v_fmac_f32_e32 v31, v22, v30
	v_div_fmas_f32 v22, v31, v23, v30
	s_delay_alu instid0(VALU_DEP_1) | instskip(NEXT) | instid1(VALU_DEP_1)
	v_div_fixup_f32 v22, v22, v3, v2
	v_fma_f32 v23, v2, v22, v3
	s_delay_alu instid0(VALU_DEP_1) | instskip(SKIP_1) | instid1(VALU_DEP_2)
	v_div_scale_f32 v30, null, v23, v23, 1.0
	v_div_scale_f32 v33, vcc_lo, 1.0, v23, 1.0
	v_rcp_f32_e32 v31, v30
	v_nop
	v_xor_b32_e32 v30, 0x80000000, v30
	s_delay_alu instid0(TRANS32_DEP_1) | instid1(VALU_DEP_1)
	v_fma_f32 v32, v30, v31, 1.0
	s_delay_alu instid0(VALU_DEP_1) | instskip(NEXT) | instid1(VALU_DEP_1)
	v_fmac_f32_e32 v31, v32, v31
	v_mul_f32_e32 v32, v33, v31
	s_delay_alu instid0(VALU_DEP_1) | instskip(NEXT) | instid1(VALU_DEP_1)
	v_fma_f32 v34, v30, v32, v33
	v_fmac_f32_e32 v32, v34, v31
	s_delay_alu instid0(VALU_DEP_1) | instskip(NEXT) | instid1(VALU_DEP_1)
	v_fmac_f32_e32 v33, v30, v32
	v_div_fmas_f32 v30, v33, v31, v32
	v_fma_f32 v31, v22, v0, v1
	s_delay_alu instid0(VALU_DEP_2) | instskip(NEXT) | instid1(VALU_DEP_1)
	v_div_fixup_f32 v23, v30, v23, 1.0
	v_dual_fma_f32 v30, v22, v1, -v0 :: v_dual_mul_f32 v22, v31, v23
	s_delay_alu instid0(VALU_DEP_1)
	v_mul_f32_e32 v23, v30, v23
.LBB172_33:                             ;   in Loop: Header=BB172_25 Depth=2
	s_and_not1_b32 vcc_lo, exec_lo, s49
	s_cbranch_vccnz .LBB172_35
; %bb.34:                               ;   in Loop: Header=BB172_25 Depth=2
	v_div_scale_f32 v22, null, v2, v2, v3
	v_div_scale_f32 v31, vcc_lo, v3, v2, v3
	s_delay_alu instid0(VALU_DEP_2)
	v_rcp_f32_e32 v23, v22
	v_nop
	v_xor_b32_e32 v22, 0x80000000, v22
	s_delay_alu instid0(TRANS32_DEP_1) | instid1(VALU_DEP_1)
	v_fma_f32 v30, v22, v23, 1.0
	s_delay_alu instid0(VALU_DEP_1) | instskip(NEXT) | instid1(VALU_DEP_1)
	v_fmac_f32_e32 v23, v30, v23
	v_mul_f32_e32 v30, v31, v23
	s_delay_alu instid0(VALU_DEP_1) | instskip(NEXT) | instid1(VALU_DEP_1)
	v_fma_f32 v32, v22, v30, v31
	v_fmac_f32_e32 v30, v32, v23
	s_delay_alu instid0(VALU_DEP_1) | instskip(NEXT) | instid1(VALU_DEP_1)
	v_fmac_f32_e32 v31, v22, v30
	v_div_fmas_f32 v22, v31, v23, v30
	s_delay_alu instid0(VALU_DEP_1) | instskip(NEXT) | instid1(VALU_DEP_1)
	v_div_fixup_f32 v22, v22, v2, v3
	v_fmac_f32_e32 v2, v3, v22
	s_delay_alu instid0(VALU_DEP_1) | instskip(SKIP_1) | instid1(VALU_DEP_2)
	v_div_scale_f32 v3, null, v2, v2, 1.0
	v_div_scale_f32 v31, vcc_lo, 1.0, v2, 1.0
	v_rcp_f32_e32 v23, v3
	v_nop
	v_xor_b32_e32 v3, 0x80000000, v3
	s_delay_alu instid0(TRANS32_DEP_1) | instid1(VALU_DEP_1)
	v_fma_f32 v30, v3, v23, 1.0
	s_delay_alu instid0(VALU_DEP_1) | instskip(NEXT) | instid1(VALU_DEP_1)
	v_fmac_f32_e32 v23, v30, v23
	v_mul_f32_e32 v30, v31, v23
	s_delay_alu instid0(VALU_DEP_1) | instskip(NEXT) | instid1(VALU_DEP_1)
	v_fma_f32 v32, v3, v30, v31
	v_fmac_f32_e32 v30, v32, v23
	s_delay_alu instid0(VALU_DEP_1) | instskip(NEXT) | instid1(VALU_DEP_1)
	v_fmac_f32_e32 v31, v3, v30
	v_div_fmas_f32 v3, v31, v23, v30
	v_dual_fma_f32 v23, v22, v1, v0 :: v_dual_fma_f32 v0, -v22, v0, v1
	s_delay_alu instid0(VALU_DEP_2) | instskip(NEXT) | instid1(VALU_DEP_1)
	v_div_fixup_f32 v2, v3, v2, 1.0
	v_dual_mul_f32 v22, v23, v2 :: v_dual_mul_f32 v23, v0, v2
.LBB172_35:                             ;   in Loop: Header=BB172_25 Depth=2
	s_add_co_i32 s49, s34, 0x108
	s_lshl_b32 s35, s35, 3
	s_delay_alu instid0(VALU_DEP_1) | instskip(SKIP_3) | instid1(SALU_CYCLE_1)
	v_dual_mov_b32 v32, v21 :: v_dual_mov_b32 v34, v23
	s_sub_co_i32 s35, s49, s35
	s_mov_b32 s50, -1
	s_add_co_i32 s35, s35, s31
	v_dual_mov_b32 v0, s34 :: v_dual_mov_b32 v30, s35
	ds_store_b64 v29, v[22:23]
	ds_load_2addr_b64 v[0:3], v0 offset0:2 offset1:66
	ds_load_b64 v[30:31], v30 offset:16
	s_wait_dscnt 0x1
	v_pk_mul_f32 v[32:33], v[32:33], v[0:1] op_sel_hi:[0,1]
	s_wait_dscnt 0x0
	v_pk_mul_f32 v[34:35], v[34:35], v[30:31] op_sel_hi:[0,1]
	s_delay_alu instid0(VALU_DEP_2) | instskip(SKIP_1) | instid1(VALU_DEP_3)
	v_pk_fma_f32 v[36:37], v[20:21], v[0:1], v[32:33] op_sel:[0,0,1] op_sel_hi:[0,1,0]
	v_pk_fma_f32 v[0:1], v[20:21], v[0:1], v[32:33] op_sel:[0,0,1] op_sel_hi:[1,1,0] neg_lo:[0,0,1] neg_hi:[0,0,1]
	v_pk_fma_f32 v[32:33], v[22:23], v[30:31], v[34:35] op_sel:[0,0,1] op_sel_hi:[0,1,0]
	v_and_b32_e32 v32, 0x7fffffff, v2
	v_and_b32_e32 v36, 0x7fffffff, v3
	v_mov_b32_e32 v1, v37
	s_delay_alu instid0(VALU_DEP_2) | instskip(NEXT) | instid1(VALU_DEP_2)
	v_cmp_ngt_f32_e32 vcc_lo, v32, v36
	v_pk_add_f32 v[0:1], v[18:19], v[0:1] neg_lo:[0,1] neg_hi:[0,1]
	v_pk_fma_f32 v[18:19], v[22:23], v[30:31], v[34:35] op_sel:[0,0,1] op_sel_hi:[1,1,0] neg_lo:[0,0,1] neg_hi:[0,0,1]
	v_mov_b32_e32 v19, v33
	s_delay_alu instid0(VALU_DEP_1)
	v_pk_add_f32 v[0:1], v[0:1], v[18:19] neg_lo:[0,1] neg_hi:[0,1]
                                        ; implicit-def: $vgpr18_vgpr19
	s_cbranch_vccz .LBB172_37
; %bb.36:                               ;   in Loop: Header=BB172_25 Depth=2
	v_div_scale_f32 v18, null, v3, v3, v2
	v_div_scale_f32 v30, vcc_lo, v2, v3, v2
	s_mov_b32 s50, 0
	v_rcp_f32_e32 v19, v18
	v_nop
	v_xor_b32_e32 v18, 0x80000000, v18
	s_delay_alu instid0(TRANS32_DEP_1) | instid1(VALU_DEP_1)
	v_fma_f32 v29, v18, v19, 1.0
	s_delay_alu instid0(VALU_DEP_1) | instskip(NEXT) | instid1(VALU_DEP_1)
	v_fmac_f32_e32 v19, v29, v19
	v_mul_f32_e32 v29, v30, v19
	s_delay_alu instid0(VALU_DEP_1) | instskip(NEXT) | instid1(VALU_DEP_1)
	v_fma_f32 v31, v18, v29, v30
	v_fmac_f32_e32 v29, v31, v19
	s_delay_alu instid0(VALU_DEP_1) | instskip(NEXT) | instid1(VALU_DEP_1)
	v_fmac_f32_e32 v30, v18, v29
	v_div_fmas_f32 v18, v30, v19, v29
	s_delay_alu instid0(VALU_DEP_1) | instskip(NEXT) | instid1(VALU_DEP_1)
	v_div_fixup_f32 v18, v18, v3, v2
	v_fma_f32 v19, v2, v18, v3
	s_delay_alu instid0(VALU_DEP_1) | instskip(SKIP_1) | instid1(VALU_DEP_2)
	v_div_scale_f32 v29, null, v19, v19, 1.0
	v_div_scale_f32 v32, vcc_lo, 1.0, v19, 1.0
	v_rcp_f32_e32 v31, v29
	v_nop
	v_xor_b32_e32 v29, 0x80000000, v29
	s_delay_alu instid0(TRANS32_DEP_1) | instid1(VALU_DEP_1)
	v_fma_f32 v30, v29, v31, 1.0
	s_delay_alu instid0(VALU_DEP_1) | instskip(NEXT) | instid1(VALU_DEP_1)
	v_fmac_f32_e32 v31, v30, v31
	v_mul_f32_e32 v33, v32, v31
	s_delay_alu instid0(VALU_DEP_1) | instskip(NEXT) | instid1(VALU_DEP_1)
	v_fma_f32 v30, v29, v33, v32
	v_dual_fmac_f32 v33, v30, v31 :: v_dual_mov_b32 v30, v1
	s_delay_alu instid0(VALU_DEP_1) | instskip(NEXT) | instid1(VALU_DEP_1)
	v_fmac_f32_e32 v32, v29, v33
	v_div_fmas_f32 v29, v32, v31, v33
	s_delay_alu instid0(VALU_DEP_3) | instskip(NEXT) | instid1(VALU_DEP_2)
	v_pk_fma_f32 v[30:31], v[18:19], v[0:1], v[30:31]
	v_div_fixup_f32 v31, v29, v19, 1.0
	s_delay_alu instid0(VALU_DEP_1) | instskip(NEXT) | instid1(VALU_DEP_1)
	v_dual_fma_f32 v19, v18, v1, -v0 :: v_dual_mov_b32 v18, v31
	v_pk_mul_f32 v[18:19], v[30:31], v[18:19]
.LBB172_37:                             ;   in Loop: Header=BB172_25 Depth=2
	s_and_not1_b32 vcc_lo, exec_lo, s50
	s_cbranch_vccnz .LBB172_39
; %bb.38:                               ;   in Loop: Header=BB172_25 Depth=2
	v_div_scale_f32 v18, null, v2, v2, v3
	v_div_scale_f32 v30, vcc_lo, v3, v2, v3
	s_delay_alu instid0(VALU_DEP_2)
	v_rcp_f32_e32 v19, v18
	v_nop
	v_xor_b32_e32 v18, 0x80000000, v18
	s_delay_alu instid0(TRANS32_DEP_1) | instid1(VALU_DEP_1)
	v_fma_f32 v29, v18, v19, 1.0
	s_delay_alu instid0(VALU_DEP_1) | instskip(NEXT) | instid1(VALU_DEP_1)
	v_fmac_f32_e32 v19, v29, v19
	v_mul_f32_e32 v29, v30, v19
	s_delay_alu instid0(VALU_DEP_1) | instskip(NEXT) | instid1(VALU_DEP_1)
	v_fma_f32 v31, v18, v29, v30
	v_fmac_f32_e32 v29, v31, v19
	s_delay_alu instid0(VALU_DEP_1) | instskip(NEXT) | instid1(VALU_DEP_1)
	v_fmac_f32_e32 v30, v18, v29
	v_div_fmas_f32 v18, v30, v19, v29
	s_delay_alu instid0(VALU_DEP_1) | instskip(NEXT) | instid1(VALU_DEP_1)
	v_div_fixup_f32 v18, v18, v2, v3
	v_fma_f32 v19, v3, v18, v2
	s_delay_alu instid0(VALU_DEP_1) | instskip(SKIP_1) | instid1(VALU_DEP_2)
	v_div_scale_f32 v2, null, v19, v19, 1.0
	v_div_scale_f32 v30, vcc_lo, 1.0, v19, 1.0
	v_rcp_f32_e32 v3, v2
	v_nop
	v_xor_b32_e32 v2, 0x80000000, v2
	s_delay_alu instid0(TRANS32_DEP_1) | instid1(VALU_DEP_1)
	v_fma_f32 v29, v2, v3, 1.0
	s_delay_alu instid0(VALU_DEP_1) | instskip(NEXT) | instid1(VALU_DEP_1)
	v_fmac_f32_e32 v3, v29, v3
	v_mul_f32_e32 v29, v30, v3
	s_delay_alu instid0(VALU_DEP_1) | instskip(NEXT) | instid1(VALU_DEP_1)
	v_fma_f32 v31, v2, v29, v30
	v_fmac_f32_e32 v29, v31, v3
	s_delay_alu instid0(VALU_DEP_1) | instskip(NEXT) | instid1(VALU_DEP_1)
	v_fmac_f32_e32 v30, v2, v29
	v_div_fmas_f32 v29, v30, v3, v29
	v_pk_fma_f32 v[2:3], v[18:19], v[0:1], v[0:1] op_sel:[0,1,0] op_sel_hi:[0,0,1] neg_lo:[1,0,0] neg_hi:[1,0,0]
	v_pk_fma_f32 v[0:1], v[18:19], v[0:1], v[0:1] op_sel:[0,1,0] op_sel_hi:[1,0,1]
	s_delay_alu instid0(VALU_DEP_3) | instskip(NEXT) | instid1(VALU_DEP_3)
	v_div_fixup_f32 v2, v29, v19, 1.0
	v_mov_b32_e32 v1, v3
	s_delay_alu instid0(VALU_DEP_1)
	v_pk_mul_f32 v[18:19], v[0:1], v[2:3] op_sel_hi:[1,0]
.LBB172_39:                             ;   in Loop: Header=BB172_25 Depth=2
	v_dual_mov_b32 v0, s34 :: v_dual_mov_b32 v29, s35
	s_lshl_b32 s30, s30, 3
	v_mov_b32_e32 v35, v21
	s_sub_co_i32 s30, s49, s30
	ds_load_2addr_b64 v[0:3], v0 offset0:3 offset1:99
	s_add_co_i32 s30, s30, s31
	ds_load_b64 v[30:31], v29 offset:24
	v_dual_mov_b32 v29, s30 :: v_dual_mov_b32 v34, v21
	v_dual_mov_b32 v21, v20 :: v_dual_mov_b32 v36, v23
	v_mov_b32_e32 v37, v23
	ds_load_b64 v[32:33], v29 offset:288
	s_mov_b32 s30, -1
	ds_store_b64 v28, v[18:19]
	s_wait_dscnt 0x3
	v_pk_mul_f32 v[34:35], v[34:35], v[0:1]
	v_and_b32_e32 v29, 0x7fffffff, v3
	s_wait_dscnt 0x2
	v_pk_mul_f32 v[36:37], v[36:37], v[30:31]
	s_delay_alu instid0(VALU_DEP_3)
	v_pk_fma_f32 v[38:39], v[20:21], v[0:1], v[34:35] op_sel:[0,0,1] op_sel_hi:[1,1,0]
	v_mov_b32_e32 v23, v22
	v_pk_fma_f32 v[0:1], v[20:21], v[0:1], v[34:35] op_sel:[0,0,1] op_sel_hi:[1,1,0] neg_lo:[0,0,1] neg_hi:[0,0,1]
	s_wait_dscnt 0x1
	v_pk_mul_f32 v[34:35], v[18:19], v[32:33] op_sel:[1,1] op_sel_hi:[1,0]
	v_mov_b32_e32 v1, v39
	v_pk_fma_f32 v[20:21], v[22:23], v[30:31], v[36:37] op_sel:[0,0,1] op_sel_hi:[1,1,0]
	v_pk_fma_f32 v[22:23], v[22:23], v[30:31], v[36:37] op_sel:[0,0,1] op_sel_hi:[1,1,0] neg_lo:[0,0,1] neg_hi:[0,0,1]
	s_delay_alu instid0(VALU_DEP_3) | instskip(SKIP_1) | instid1(VALU_DEP_4)
	v_pk_add_f32 v[0:1], v[16:17], v[0:1] neg_lo:[0,1] neg_hi:[0,1]
	v_pk_fma_f32 v[16:17], v[18:19], v[32:33], v[34:35] op_sel_hi:[0,1,1]
	v_mov_b32_e32 v23, v21
	v_and_b32_e32 v16, 0x7fffffff, v2
	v_pk_fma_f32 v[20:21], v[18:19], v[32:33], v[34:35] neg_lo:[0,0,1] neg_hi:[0,0,1]
	s_delay_alu instid0(VALU_DEP_4) | instskip(NEXT) | instid1(VALU_DEP_4)
	v_mov_b32_e32 v21, v17
	v_pk_add_f32 v[0:1], v[0:1], v[22:23] neg_lo:[0,1] neg_hi:[0,1]
	s_delay_alu instid0(VALU_DEP_4) | instskip(NEXT) | instid1(VALU_DEP_2)
	v_cmp_ngt_f32_e32 vcc_lo, v16, v29
                                        ; implicit-def: $vgpr16_vgpr17
	v_pk_add_f32 v[0:1], v[0:1], v[20:21] neg_lo:[0,1] neg_hi:[0,1]
	s_cbranch_vccz .LBB172_41
; %bb.40:                               ;   in Loop: Header=BB172_25 Depth=2
	v_div_scale_f32 v16, null, v3, v3, v2
	v_div_scale_f32 v19, vcc_lo, v2, v3, v2
	s_mov_b32 s30, 0
	v_rcp_f32_e32 v17, v16
	v_nop
	v_xor_b32_e32 v16, 0x80000000, v16
	s_delay_alu instid0(TRANS32_DEP_1) | instid1(VALU_DEP_1)
	v_fma_f32 v18, v16, v17, 1.0
	s_delay_alu instid0(VALU_DEP_1) | instskip(NEXT) | instid1(VALU_DEP_1)
	v_fmac_f32_e32 v17, v18, v17
	v_mul_f32_e32 v18, v19, v17
	s_delay_alu instid0(VALU_DEP_1) | instskip(NEXT) | instid1(VALU_DEP_1)
	v_fma_f32 v20, v16, v18, v19
	v_fmac_f32_e32 v18, v20, v17
	s_delay_alu instid0(VALU_DEP_1) | instskip(NEXT) | instid1(VALU_DEP_1)
	v_fmac_f32_e32 v19, v16, v18
	v_div_fmas_f32 v16, v19, v17, v18
	s_delay_alu instid0(VALU_DEP_1) | instskip(NEXT) | instid1(VALU_DEP_1)
	v_div_fixup_f32 v16, v16, v3, v2
	v_fma_f32 v17, v2, v16, v3
	s_delay_alu instid0(VALU_DEP_1) | instskip(NEXT) | instid1(VALU_DEP_1)
	v_div_scale_f32 v18, null, v17, v17, 1.0
	v_rcp_f32_e32 v19, v18
	v_nop
	v_xor_b32_e32 v18, 0x80000000, v18
	s_delay_alu instid0(TRANS32_DEP_1) | instid1(VALU_DEP_1)
	v_fma_f32 v20, v18, v19, 1.0
	s_delay_alu instid0(VALU_DEP_1) | instskip(SKIP_1) | instid1(VALU_DEP_1)
	v_fmac_f32_e32 v19, v20, v19
	v_div_scale_f32 v20, vcc_lo, 1.0, v17, 1.0
	v_mul_f32_e32 v21, v20, v19
	s_delay_alu instid0(VALU_DEP_1) | instskip(NEXT) | instid1(VALU_DEP_1)
	v_fma_f32 v22, v18, v21, v20
	v_fmac_f32_e32 v21, v22, v19
	s_delay_alu instid0(VALU_DEP_1) | instskip(NEXT) | instid1(VALU_DEP_1)
	v_dual_fmac_f32 v20, v18, v21 :: v_dual_mov_b32 v18, v1
	v_div_fmas_f32 v20, v20, v19, v21
	s_delay_alu instid0(VALU_DEP_2) | instskip(NEXT) | instid1(VALU_DEP_2)
	v_pk_fma_f32 v[18:19], v[16:17], v[0:1], v[18:19]
	v_div_fixup_f32 v19, v20, v17, 1.0
	s_delay_alu instid0(VALU_DEP_1) | instskip(NEXT) | instid1(VALU_DEP_1)
	v_dual_fma_f32 v17, v16, v1, -v0 :: v_dual_mov_b32 v16, v19
	v_pk_mul_f32 v[16:17], v[18:19], v[16:17]
.LBB172_41:                             ;   in Loop: Header=BB172_25 Depth=2
	s_and_not1_b32 vcc_lo, exec_lo, s30
	s_cbranch_vccnz .LBB172_43
; %bb.42:                               ;   in Loop: Header=BB172_25 Depth=2
	v_div_scale_f32 v16, null, v2, v2, v3
	v_div_scale_f32 v19, vcc_lo, v3, v2, v3
	s_delay_alu instid0(VALU_DEP_2)
	v_rcp_f32_e32 v17, v16
	v_nop
	v_xor_b32_e32 v16, 0x80000000, v16
	s_delay_alu instid0(TRANS32_DEP_1) | instid1(VALU_DEP_1)
	v_fma_f32 v18, v16, v17, 1.0
	s_delay_alu instid0(VALU_DEP_1) | instskip(NEXT) | instid1(VALU_DEP_1)
	v_fmac_f32_e32 v17, v18, v17
	v_mul_f32_e32 v18, v19, v17
	s_delay_alu instid0(VALU_DEP_1) | instskip(NEXT) | instid1(VALU_DEP_1)
	v_fma_f32 v20, v16, v18, v19
	v_fmac_f32_e32 v18, v20, v17
	s_delay_alu instid0(VALU_DEP_1) | instskip(NEXT) | instid1(VALU_DEP_1)
	v_fmac_f32_e32 v19, v16, v18
	v_div_fmas_f32 v16, v19, v17, v18
	s_delay_alu instid0(VALU_DEP_1) | instskip(NEXT) | instid1(VALU_DEP_1)
	v_div_fixup_f32 v16, v16, v2, v3
	v_fma_f32 v17, v3, v16, v2
	s_delay_alu instid0(VALU_DEP_1) | instskip(SKIP_1) | instid1(VALU_DEP_2)
	v_div_scale_f32 v2, null, v17, v17, 1.0
	v_div_scale_f32 v19, vcc_lo, 1.0, v17, 1.0
	v_rcp_f32_e32 v3, v2
	v_nop
	v_xor_b32_e32 v2, 0x80000000, v2
	s_delay_alu instid0(TRANS32_DEP_1) | instid1(VALU_DEP_1)
	v_fma_f32 v18, v2, v3, 1.0
	s_delay_alu instid0(VALU_DEP_1) | instskip(NEXT) | instid1(VALU_DEP_1)
	v_fmac_f32_e32 v3, v18, v3
	v_mul_f32_e32 v18, v19, v3
	s_delay_alu instid0(VALU_DEP_1) | instskip(NEXT) | instid1(VALU_DEP_1)
	v_fma_f32 v20, v2, v18, v19
	v_fmac_f32_e32 v18, v20, v3
	s_delay_alu instid0(VALU_DEP_1) | instskip(NEXT) | instid1(VALU_DEP_1)
	v_fmac_f32_e32 v19, v2, v18
	v_div_fmas_f32 v18, v19, v3, v18
	v_pk_fma_f32 v[2:3], v[16:17], v[0:1], v[0:1] op_sel:[0,1,0] op_sel_hi:[0,0,1] neg_lo:[1,0,0] neg_hi:[1,0,0]
	v_pk_fma_f32 v[0:1], v[16:17], v[0:1], v[0:1] op_sel:[0,1,0] op_sel_hi:[1,0,1]
	s_delay_alu instid0(VALU_DEP_3) | instskip(NEXT) | instid1(VALU_DEP_3)
	v_div_fixup_f32 v2, v18, v17, 1.0
	v_mov_b32_e32 v1, v3
	s_delay_alu instid0(VALU_DEP_1)
	v_pk_mul_f32 v[16:17], v[0:1], v[2:3] op_sel_hi:[1,0]
.LBB172_43:                             ;   in Loop: Header=BB172_25 Depth=2
	s_add_co_i32 s30, s18, 4
	s_add_co_i32 s18, s18, 7
	;; [unrolled: 1-line block ×3, first 2 shown]
	s_cmp_ge_i32 s18, s37
	ds_store_b64 v27, v[16:17]
	s_cbranch_scc1 .LBB172_45
; %bb.44:                               ;   in Loop: Header=BB172_25 Depth=2
	s_mov_b32 s18, s30
	s_branch .LBB172_25
.LBB172_45:                             ;   in Loop: Header=BB172_3 Depth=1
	s_cmp_ge_i32 s30, s37
	s_cbranch_scc1 .LBB172_54
; %bb.46:                               ;   in Loop: Header=BB172_3 Depth=1
	s_lshl_b32 s3, s30, 3
	s_branch .LBB172_48
.LBB172_47:                             ;   in Loop: Header=BB172_48 Depth=2
	s_add_co_i32 s30, s30, 1
	s_add_co_i32 s3, s3, 8
	s_cmp_ge_i32 s30, s37
	ds_store_b64 v18, v[16:17]
	s_cbranch_scc1 .LBB172_54
.LBB172_48:                             ;   Parent Loop BB172_3 Depth=1
                                        ; =>  This Loop Header: Depth=2
                                        ;       Child Loop BB172_49 Depth 3
	s_lshl_b32 s18, s30, 8
	s_cmp_eq_u32 s30, 0
	v_dual_add_nc_u32 v18, s18, v24 :: v_dual_mov_b32 v2, v24
	s_mov_b32 s31, s3
	s_mov_b32 s34, s30
	ds_load_b64 v[0:1], v18
	s_cbranch_scc1 .LBB172_50
.LBB172_49:                             ;   Parent Loop BB172_3 Depth=1
                                        ;     Parent Loop BB172_48 Depth=2
                                        ; =>    This Inner Loop Header: Depth=3
	v_mov_b32_e32 v3, s31
	s_add_co_i32 s34, s34, -1
	s_addk_co_i32 s31, 0x100
	s_cmp_eq_u32 s34, 0
	ds_load_b64 v[16:17], v2
	ds_load_b64 v[20:21], v3
	v_add_nc_u32_e32 v2, 0x100, v2
	s_wait_dscnt 0x0
	v_pk_mul_f32 v[22:23], v[20:21], v[16:17] op_sel:[1,1] op_sel_hi:[0,1]
	s_delay_alu instid0(VALU_DEP_1) | instskip(SKIP_1) | instid1(VALU_DEP_2)
	v_pk_fma_f32 v[28:29], v[20:21], v[16:17], v[22:23] op_sel_hi:[1,0,1]
	v_pk_fma_f32 v[16:17], v[20:21], v[16:17], v[22:23] op_sel_hi:[1,0,1] neg_lo:[0,0,1] neg_hi:[0,0,1]
	v_mov_b32_e32 v17, v29
	s_delay_alu instid0(VALU_DEP_1)
	v_pk_add_f32 v[0:1], v[0:1], v[16:17] neg_lo:[0,1] neg_hi:[0,1]
	s_cbranch_scc0 .LBB172_49
.LBB172_50:                             ;   in Loop: Header=BB172_48 Depth=2
	s_lshl_b32 s31, s30, 3
	s_delay_alu instid0(SALU_CYCLE_1) | instskip(NEXT) | instid1(SALU_CYCLE_1)
	s_add_co_i32 s18, s31, s18
	v_mov_b32_e32 v2, s18
	s_mov_b32 s18, -1
	ds_load_b64 v[2:3], v2
	s_wait_dscnt 0x0
	v_and_b32_e32 v16, 0x7fffffff, v2
	v_and_b32_e32 v17, 0x7fffffff, v3
	s_delay_alu instid0(VALU_DEP_1)
	v_cmp_ngt_f32_e32 vcc_lo, v16, v17
                                        ; implicit-def: $vgpr16_vgpr17
	s_cbranch_vccz .LBB172_52
; %bb.51:                               ;   in Loop: Header=BB172_48 Depth=2
	v_div_scale_f32 v16, null, v3, v3, v2
	v_div_scale_f32 v20, vcc_lo, v2, v3, v2
	s_mov_b32 s18, 0
	v_rcp_f32_e32 v17, v16
	v_nop
	v_xor_b32_e32 v16, 0x80000000, v16
	s_delay_alu instid0(TRANS32_DEP_1) | instid1(VALU_DEP_1)
	v_fma_f32 v19, v16, v17, 1.0
	s_delay_alu instid0(VALU_DEP_1) | instskip(NEXT) | instid1(VALU_DEP_1)
	v_fmac_f32_e32 v17, v19, v17
	v_mul_f32_e32 v19, v20, v17
	s_delay_alu instid0(VALU_DEP_1) | instskip(NEXT) | instid1(VALU_DEP_1)
	v_fma_f32 v21, v16, v19, v20
	v_fmac_f32_e32 v19, v21, v17
	s_delay_alu instid0(VALU_DEP_1) | instskip(NEXT) | instid1(VALU_DEP_1)
	v_fmac_f32_e32 v20, v16, v19
	v_div_fmas_f32 v16, v20, v17, v19
	s_delay_alu instid0(VALU_DEP_1) | instskip(NEXT) | instid1(VALU_DEP_1)
	v_div_fixup_f32 v16, v16, v3, v2
	v_fma_f32 v19, v2, v16, v3
	s_delay_alu instid0(VALU_DEP_1) | instskip(SKIP_1) | instid1(VALU_DEP_2)
	v_div_scale_f32 v17, null, v19, v19, 1.0
	v_div_scale_f32 v22, vcc_lo, 1.0, v19, 1.0
	v_rcp_f32_e32 v20, v17
	v_nop
	v_xor_b32_e32 v17, 0x80000000, v17
	s_delay_alu instid0(TRANS32_DEP_1) | instid1(VALU_DEP_1)
	v_fma_f32 v21, v17, v20, 1.0
	s_delay_alu instid0(VALU_DEP_1) | instskip(NEXT) | instid1(VALU_DEP_1)
	v_fmac_f32_e32 v20, v21, v20
	v_mul_f32_e32 v21, v22, v20
	s_delay_alu instid0(VALU_DEP_1) | instskip(NEXT) | instid1(VALU_DEP_1)
	v_fma_f32 v23, v17, v21, v22
	v_fmac_f32_e32 v21, v23, v20
	s_delay_alu instid0(VALU_DEP_1) | instskip(NEXT) | instid1(VALU_DEP_1)
	v_fmac_f32_e32 v22, v17, v21
	v_div_fmas_f32 v22, v22, v20, v21
	v_pk_fma_f32 v[20:21], v[0:1], v[16:17], v[0:1] op_sel:[0,0,1] op_sel_hi:[1,0,0] neg_lo:[0,0,1] neg_hi:[0,0,1]
	v_pk_fma_f32 v[16:17], v[0:1], v[16:17], v[0:1] op_sel:[0,0,1] op_sel_hi:[1,0,0]
	s_delay_alu instid0(VALU_DEP_3) | instskip(NEXT) | instid1(VALU_DEP_3)
	v_div_fixup_f32 v20, v22, v19, 1.0
	v_mov_b32_e32 v17, v21
	s_delay_alu instid0(VALU_DEP_1)
	v_pk_mul_f32 v[16:17], v[16:17], v[20:21] op_sel_hi:[1,0]
.LBB172_52:                             ;   in Loop: Header=BB172_48 Depth=2
	s_and_not1_b32 vcc_lo, exec_lo, s18
	s_cbranch_vccnz .LBB172_47
; %bb.53:                               ;   in Loop: Header=BB172_48 Depth=2
	v_div_scale_f32 v16, null, v2, v2, v3
	v_div_scale_f32 v20, vcc_lo, v3, v2, v3
	s_delay_alu instid0(VALU_DEP_2)
	v_rcp_f32_e32 v17, v16
	v_nop
	v_xor_b32_e32 v16, 0x80000000, v16
	s_delay_alu instid0(TRANS32_DEP_1) | instid1(VALU_DEP_1)
	v_fma_f32 v19, v16, v17, 1.0
	s_delay_alu instid0(VALU_DEP_1) | instskip(NEXT) | instid1(VALU_DEP_1)
	v_fmac_f32_e32 v17, v19, v17
	v_mul_f32_e32 v19, v20, v17
	s_delay_alu instid0(VALU_DEP_1) | instskip(NEXT) | instid1(VALU_DEP_1)
	v_fma_f32 v21, v16, v19, v20
	v_fmac_f32_e32 v19, v21, v17
	s_delay_alu instid0(VALU_DEP_1) | instskip(NEXT) | instid1(VALU_DEP_1)
	v_fmac_f32_e32 v20, v16, v19
	v_div_fmas_f32 v16, v20, v17, v19
	s_delay_alu instid0(VALU_DEP_1) | instskip(NEXT) | instid1(VALU_DEP_1)
	v_div_fixup_f32 v16, v16, v2, v3
	v_fmac_f32_e32 v2, v3, v16
	s_delay_alu instid0(VALU_DEP_1) | instskip(SKIP_1) | instid1(VALU_DEP_2)
	v_div_scale_f32 v3, null, v2, v2, 1.0
	v_div_scale_f32 v20, vcc_lo, 1.0, v2, 1.0
	v_rcp_f32_e32 v17, v3
	v_nop
	v_xor_b32_e32 v3, 0x80000000, v3
	s_delay_alu instid0(TRANS32_DEP_1) | instid1(VALU_DEP_1)
	v_fma_f32 v19, v3, v17, 1.0
	s_delay_alu instid0(VALU_DEP_1) | instskip(NEXT) | instid1(VALU_DEP_1)
	v_fmac_f32_e32 v17, v19, v17
	v_mul_f32_e32 v19, v20, v17
	s_delay_alu instid0(VALU_DEP_1) | instskip(NEXT) | instid1(VALU_DEP_1)
	v_fma_f32 v21, v3, v19, v20
	v_fmac_f32_e32 v19, v21, v17
	s_delay_alu instid0(VALU_DEP_1) | instskip(NEXT) | instid1(VALU_DEP_1)
	v_fmac_f32_e32 v20, v3, v19
	v_div_fmas_f32 v3, v20, v17, v19
	v_pk_fma_f32 v[20:21], v[0:1], v[16:17], v[0:1] op_sel:[1,0,0] op_sel_hi:[0,0,1] neg_lo:[1,0,0] neg_hi:[1,0,0]
	v_pk_fma_f32 v[0:1], v[0:1], v[16:17], v[0:1] op_sel:[1,0,0] op_sel_hi:[0,0,1]
	s_delay_alu instid0(VALU_DEP_3) | instskip(NEXT) | instid1(VALU_DEP_3)
	v_div_fixup_f32 v2, v3, v2, 1.0
	v_mov_b32_e32 v1, v21
	s_delay_alu instid0(VALU_DEP_1)
	v_pk_mul_f32 v[16:17], v[0:1], v[2:3] op_sel_hi:[1,0]
	s_branch .LBB172_47
.LBB172_54:                             ;   in Loop: Header=BB172_3 Depth=1
	s_mov_b32 s3, 0
.LBB172_55:                             ;   in Loop: Header=BB172_3 Depth=1
	s_delay_alu instid0(SALU_CYCLE_1)
	s_and_b32 vcc_lo, exec_lo, s3
	s_cbranch_vccz .LBB172_86
; %bb.56:                               ;   in Loop: Header=BB172_3 Depth=1
	s_mov_b32 s30, s38
	s_and_not1_b32 vcc_lo, exec_lo, s42
	s_mov_b32 s3, s1
	s_mov_b32 s18, s38
	s_cbranch_vccnz .LBB172_77
.LBB172_57:                             ;   Parent Loop BB172_3 Depth=1
                                        ; =>  This Loop Header: Depth=2
                                        ;       Child Loop BB172_58 Depth 3
	s_add_co_i32 s50, s18, -1
	s_add_co_i32 s31, s18, -3
	v_lshl_add_u32 v30, s18, 8, v24
	s_add_co_i32 s49, s18, -2
	v_lshl_add_u32 v29, s50, 8, v24
	s_lshl_b32 s30, s31, 8
	v_lshl_add_u32 v28, s49, 8, v24
	v_dual_mov_b32 v16, v5 :: v_dual_add_nc_u32 v27, s30, v24
	ds_load_b64 v[20:21], v30
	ds_load_b64 v[18:19], v29
	;; [unrolled: 1-line block ×4, first 2 shown]
	s_cmp_le_i32 s38, s18
	s_mov_b32 s34, s3
	s_mov_b32 s35, s38
	s_cbranch_scc1 .LBB172_59
.LBB172_58:                             ;   Parent Loop BB172_3 Depth=1
                                        ;     Parent Loop BB172_57 Depth=2
                                        ; =>    This Inner Loop Header: Depth=3
	s_add_co_i32 s51, s34, 0xfffffef0
	s_add_co_i32 s52, s34, 0xfffffee0
	s_delay_alu instid0(SALU_CYCLE_1)
	v_dual_mov_b32 v17, s51 :: v_dual_mov_b32 v31, s52
	ds_load_b64 v[22:23], v16
	s_add_co_i32 s35, s35, -1
	s_addk_co_i32 s34, 0xff00
	ds_load_2addr_b64 v[32:35], v17 offset1:1
	ds_load_2addr_b64 v[36:39], v31 offset1:1
	v_add_nc_u32_e32 v16, 0xffffff00, v16
	s_cmp_le_i32 s35, s18
	s_wait_dscnt 0x1
	v_dual_mul_f32 v17, v35, v23 :: v_dual_mul_f32 v31, v34, v23
	v_dual_mul_f32 v44, v33, v23 :: v_dual_mul_f32 v45, v33, v22
	s_wait_dscnt 0x0
	v_pk_mul_f32 v[40:41], v[38:39], v[22:23] op_sel:[0,1]
	v_pk_mul_f32 v[42:43], v[36:37], v[22:23] op_sel:[0,1]
	v_dual_fma_f32 v17, v34, v22, -v17 :: v_dual_fmac_f32 v31, v35, v22
	v_dual_fma_f32 v44, v32, v22, -v44 :: v_dual_fmac_f32 v45, v32, v23
	s_delay_alu instid0(VALU_DEP_4) | instskip(NEXT) | instid1(VALU_DEP_4)
	v_pk_fma_f32 v[32:33], v[38:39], v[22:23], v[40:41] op_sel:[0,0,1] op_sel_hi:[1,0,0]
	v_pk_fma_f32 v[34:35], v[36:37], v[22:23], v[42:43] op_sel:[0,0,1] op_sel_hi:[1,0,0]
	v_pk_fma_f32 v[38:39], v[38:39], v[22:23], v[40:41] op_sel:[0,0,1] op_sel_hi:[1,1,0] neg_lo:[0,0,1] neg_hi:[0,0,1]
	v_pk_fma_f32 v[22:23], v[36:37], v[22:23], v[42:43] op_sel:[0,0,1] op_sel_hi:[1,1,0] neg_lo:[0,0,1] neg_hi:[0,0,1]
	s_delay_alu instid0(VALU_DEP_4) | instskip(NEXT) | instid1(VALU_DEP_4)
	v_dual_sub_f32 v20, v20, v17 :: v_dual_mov_b32 v39, v33
	v_dual_mov_b32 v23, v35 :: v_dual_sub_f32 v21, v21, v31
	v_dual_sub_f32 v18, v18, v44 :: v_dual_sub_f32 v19, v19, v45
	s_delay_alu instid0(VALU_DEP_3) | instskip(NEXT) | instid1(VALU_DEP_3)
	v_pk_add_f32 v[2:3], v[2:3], v[38:39] neg_lo:[0,1] neg_hi:[0,1]
	v_pk_add_f32 v[0:1], v[0:1], v[22:23] neg_lo:[0,1] neg_hi:[0,1]
	s_cbranch_scc0 .LBB172_58
.LBB172_59:                             ;   in Loop: Header=BB172_57 Depth=2
	s_lshl_b32 s34, s18, 3
	s_lshl_b32 s35, s18, 8
	s_mov_b32 s51, -1
	s_add_co_i32 s35, s34, s35
	s_delay_alu instid0(SALU_CYCLE_1) | instskip(SKIP_4) | instid1(VALU_DEP_1)
	v_mov_b32_e32 v16, s35
	ds_load_b64 v[22:23], v16
	s_wait_dscnt 0x0
	v_and_b32_e32 v16, 0x7fffffff, v22
	v_and_b32_e32 v17, 0x7fffffff, v23
	v_cmp_ngt_f32_e32 vcc_lo, v16, v17
                                        ; implicit-def: $vgpr17
	s_cbranch_vccz .LBB172_61
; %bb.60:                               ;   in Loop: Header=BB172_57 Depth=2
	v_div_scale_f32 v16, null, v23, v23, v22
	v_div_scale_f32 v32, vcc_lo, v22, v23, v22
	s_mov_b32 s51, 0
	v_rcp_f32_e32 v17, v16
	v_nop
	v_xor_b32_e32 v16, 0x80000000, v16
	s_delay_alu instid0(TRANS32_DEP_1) | instid1(VALU_DEP_1)
	v_fma_f32 v31, v16, v17, 1.0
	s_delay_alu instid0(VALU_DEP_1) | instskip(NEXT) | instid1(VALU_DEP_1)
	v_fmac_f32_e32 v17, v31, v17
	v_mul_f32_e32 v31, v32, v17
	s_delay_alu instid0(VALU_DEP_1) | instskip(NEXT) | instid1(VALU_DEP_1)
	v_fma_f32 v33, v16, v31, v32
	v_fmac_f32_e32 v31, v33, v17
	s_delay_alu instid0(VALU_DEP_1) | instskip(NEXT) | instid1(VALU_DEP_1)
	v_fmac_f32_e32 v32, v16, v31
	v_div_fmas_f32 v16, v32, v17, v31
	s_delay_alu instid0(VALU_DEP_1) | instskip(NEXT) | instid1(VALU_DEP_1)
	v_div_fixup_f32 v16, v16, v23, v22
	v_fma_f32 v17, v22, v16, v23
	s_delay_alu instid0(VALU_DEP_1) | instskip(SKIP_1) | instid1(VALU_DEP_2)
	v_div_scale_f32 v31, null, v17, v17, 1.0
	v_div_scale_f32 v34, vcc_lo, 1.0, v17, 1.0
	v_rcp_f32_e32 v32, v31
	v_nop
	v_xor_b32_e32 v31, 0x80000000, v31
	s_delay_alu instid0(TRANS32_DEP_1) | instid1(VALU_DEP_1)
	v_fma_f32 v33, v31, v32, 1.0
	s_delay_alu instid0(VALU_DEP_1) | instskip(NEXT) | instid1(VALU_DEP_1)
	v_fmac_f32_e32 v32, v33, v32
	v_mul_f32_e32 v33, v34, v32
	s_delay_alu instid0(VALU_DEP_1) | instskip(NEXT) | instid1(VALU_DEP_1)
	v_fma_f32 v35, v31, v33, v34
	v_fmac_f32_e32 v33, v35, v32
	s_delay_alu instid0(VALU_DEP_1) | instskip(NEXT) | instid1(VALU_DEP_1)
	v_fmac_f32_e32 v34, v31, v33
	v_div_fmas_f32 v31, v34, v32, v33
	v_fma_f32 v32, v20, v16, v21
	s_delay_alu instid0(VALU_DEP_2) | instskip(NEXT) | instid1(VALU_DEP_1)
	v_div_fixup_f32 v17, v31, v17, 1.0
	v_dual_fma_f32 v31, v21, v16, -v20 :: v_dual_mul_f32 v16, v32, v17
	s_delay_alu instid0(VALU_DEP_1)
	v_mul_f32_e32 v17, v31, v17
.LBB172_61:                             ;   in Loop: Header=BB172_57 Depth=2
	s_and_not1_b32 vcc_lo, exec_lo, s51
	s_cbranch_vccnz .LBB172_63
; %bb.62:                               ;   in Loop: Header=BB172_57 Depth=2
	v_div_scale_f32 v16, null, v22, v22, v23
	v_div_scale_f32 v32, vcc_lo, v23, v22, v23
	s_delay_alu instid0(VALU_DEP_2)
	v_rcp_f32_e32 v17, v16
	v_nop
	v_xor_b32_e32 v16, 0x80000000, v16
	s_delay_alu instid0(TRANS32_DEP_1) | instid1(VALU_DEP_1)
	v_fma_f32 v31, v16, v17, 1.0
	s_delay_alu instid0(VALU_DEP_1) | instskip(NEXT) | instid1(VALU_DEP_1)
	v_fmac_f32_e32 v17, v31, v17
	v_mul_f32_e32 v31, v32, v17
	s_delay_alu instid0(VALU_DEP_1) | instskip(NEXT) | instid1(VALU_DEP_1)
	v_fma_f32 v33, v16, v31, v32
	v_fmac_f32_e32 v31, v33, v17
	s_delay_alu instid0(VALU_DEP_1) | instskip(NEXT) | instid1(VALU_DEP_1)
	v_fmac_f32_e32 v32, v16, v31
	v_div_fmas_f32 v16, v32, v17, v31
	s_delay_alu instid0(VALU_DEP_1) | instskip(NEXT) | instid1(VALU_DEP_1)
	v_div_fixup_f32 v16, v16, v22, v23
	v_fmac_f32_e32 v22, v23, v16
	s_delay_alu instid0(VALU_DEP_1) | instskip(SKIP_1) | instid1(VALU_DEP_2)
	v_div_scale_f32 v17, null, v22, v22, 1.0
	v_div_scale_f32 v32, vcc_lo, 1.0, v22, 1.0
	v_rcp_f32_e32 v23, v17
	v_nop
	v_xor_b32_e32 v17, 0x80000000, v17
	s_delay_alu instid0(TRANS32_DEP_1) | instid1(VALU_DEP_1)
	v_fma_f32 v31, v17, v23, 1.0
	s_delay_alu instid0(VALU_DEP_1) | instskip(NEXT) | instid1(VALU_DEP_1)
	v_fmac_f32_e32 v23, v31, v23
	v_mul_f32_e32 v31, v32, v23
	s_delay_alu instid0(VALU_DEP_1) | instskip(NEXT) | instid1(VALU_DEP_1)
	v_fma_f32 v33, v17, v31, v32
	v_fmac_f32_e32 v31, v33, v23
	s_delay_alu instid0(VALU_DEP_1) | instskip(NEXT) | instid1(VALU_DEP_1)
	v_fmac_f32_e32 v32, v17, v31
	v_div_fmas_f32 v17, v32, v23, v31
	v_dual_fma_f32 v23, v21, v16, v20 :: v_dual_fma_f32 v20, -v20, v16, v21
	s_delay_alu instid0(VALU_DEP_2) | instskip(NEXT) | instid1(VALU_DEP_1)
	v_div_fixup_f32 v17, v17, v22, 1.0
	v_dual_mul_f32 v16, v23, v17 :: v_dual_mul_f32 v17, v20, v17
.LBB172_63:                             ;   in Loop: Header=BB172_57 Depth=2
	s_lshl_b32 s51, s50, 8
	s_add_co_i32 s52, s35, -8
	s_add_co_i32 s51, s34, s51
	s_delay_alu instid0(SALU_CYCLE_1) | instskip(NEXT) | instid1(SALU_CYCLE_1)
	s_add_co_i32 s51, s51, -8
	v_dual_mov_b32 v20, s52 :: v_dual_mov_b32 v21, s51
	s_mov_b32 s52, -1
	ds_load_b64 v[22:23], v20
	ds_load_b64 v[20:21], v21
	ds_store_b64 v30, v[16:17]
	s_wait_dscnt 0x2
	v_dual_mul_f32 v31, v17, v23 :: v_dual_mul_f32 v23, v16, v23
	s_wait_dscnt 0x1
	v_and_b32_e32 v32, 0x7fffffff, v20
	v_and_b32_e32 v33, 0x7fffffff, v21
	s_delay_alu instid0(VALU_DEP_3) | instskip(SKIP_1) | instid1(VALU_DEP_3)
	v_fmac_f32_e32 v23, v17, v22
	v_fma_f32 v31, v16, v22, -v31
	v_cmp_ngt_f32_e32 vcc_lo, v32, v33
	s_delay_alu instid0(VALU_DEP_3) | instskip(NEXT) | instid1(VALU_DEP_3)
	v_sub_f32_e32 v23, v19, v23
	v_sub_f32_e32 v22, v18, v31
                                        ; implicit-def: $vgpr19
	s_cbranch_vccz .LBB172_65
; %bb.64:                               ;   in Loop: Header=BB172_57 Depth=2
	v_div_scale_f32 v18, null, v21, v21, v20
	v_div_scale_f32 v31, vcc_lo, v20, v21, v20
	s_mov_b32 s52, 0
	v_rcp_f32_e32 v19, v18
	v_nop
	v_xor_b32_e32 v18, 0x80000000, v18
	s_delay_alu instid0(TRANS32_DEP_1) | instid1(VALU_DEP_1)
	v_fma_f32 v30, v18, v19, 1.0
	s_delay_alu instid0(VALU_DEP_1) | instskip(NEXT) | instid1(VALU_DEP_1)
	v_fmac_f32_e32 v19, v30, v19
	v_mul_f32_e32 v30, v31, v19
	s_delay_alu instid0(VALU_DEP_1) | instskip(NEXT) | instid1(VALU_DEP_1)
	v_fma_f32 v32, v18, v30, v31
	v_fmac_f32_e32 v30, v32, v19
	s_delay_alu instid0(VALU_DEP_1) | instskip(NEXT) | instid1(VALU_DEP_1)
	v_fmac_f32_e32 v31, v18, v30
	v_div_fmas_f32 v18, v31, v19, v30
	s_delay_alu instid0(VALU_DEP_1) | instskip(NEXT) | instid1(VALU_DEP_1)
	v_div_fixup_f32 v18, v18, v21, v20
	v_fma_f32 v19, v20, v18, v21
	s_delay_alu instid0(VALU_DEP_1) | instskip(SKIP_1) | instid1(VALU_DEP_2)
	v_div_scale_f32 v30, null, v19, v19, 1.0
	v_div_scale_f32 v33, vcc_lo, 1.0, v19, 1.0
	v_rcp_f32_e32 v31, v30
	v_nop
	v_xor_b32_e32 v30, 0x80000000, v30
	s_delay_alu instid0(TRANS32_DEP_1) | instid1(VALU_DEP_1)
	v_fma_f32 v32, v30, v31, 1.0
	s_delay_alu instid0(VALU_DEP_1) | instskip(NEXT) | instid1(VALU_DEP_1)
	v_fmac_f32_e32 v31, v32, v31
	v_mul_f32_e32 v32, v33, v31
	s_delay_alu instid0(VALU_DEP_1) | instskip(NEXT) | instid1(VALU_DEP_1)
	v_fma_f32 v34, v30, v32, v33
	v_fmac_f32_e32 v32, v34, v31
	s_delay_alu instid0(VALU_DEP_1) | instskip(NEXT) | instid1(VALU_DEP_1)
	v_fmac_f32_e32 v33, v30, v32
	v_div_fmas_f32 v30, v33, v31, v32
	v_fma_f32 v31, v18, v22, v23
	s_delay_alu instid0(VALU_DEP_2) | instskip(SKIP_1) | instid1(VALU_DEP_1)
	v_div_fixup_f32 v19, v30, v19, 1.0
	v_fma_f32 v30, v18, v23, -v22
	v_dual_mul_f32 v18, v31, v19 :: v_dual_mul_f32 v19, v30, v19
.LBB172_65:                             ;   in Loop: Header=BB172_57 Depth=2
	s_and_not1_b32 vcc_lo, exec_lo, s52
	s_cbranch_vccnz .LBB172_67
; %bb.66:                               ;   in Loop: Header=BB172_57 Depth=2
	v_div_scale_f32 v18, null, v20, v20, v21
	v_div_scale_f32 v31, vcc_lo, v21, v20, v21
	s_delay_alu instid0(VALU_DEP_2)
	v_rcp_f32_e32 v19, v18
	v_nop
	v_xor_b32_e32 v18, 0x80000000, v18
	s_delay_alu instid0(TRANS32_DEP_1) | instid1(VALU_DEP_1)
	v_fma_f32 v30, v18, v19, 1.0
	s_delay_alu instid0(VALU_DEP_1) | instskip(NEXT) | instid1(VALU_DEP_1)
	v_fmac_f32_e32 v19, v30, v19
	v_mul_f32_e32 v30, v31, v19
	s_delay_alu instid0(VALU_DEP_1) | instskip(NEXT) | instid1(VALU_DEP_1)
	v_fma_f32 v32, v18, v30, v31
	v_fmac_f32_e32 v30, v32, v19
	s_delay_alu instid0(VALU_DEP_1) | instskip(NEXT) | instid1(VALU_DEP_1)
	v_fmac_f32_e32 v31, v18, v30
	v_div_fmas_f32 v18, v31, v19, v30
	s_delay_alu instid0(VALU_DEP_1) | instskip(NEXT) | instid1(VALU_DEP_1)
	v_div_fixup_f32 v18, v18, v20, v21
	v_fmac_f32_e32 v20, v21, v18
	s_delay_alu instid0(VALU_DEP_1) | instskip(SKIP_1) | instid1(VALU_DEP_2)
	v_div_scale_f32 v19, null, v20, v20, 1.0
	v_div_scale_f32 v31, vcc_lo, 1.0, v20, 1.0
	v_rcp_f32_e32 v21, v19
	v_nop
	v_xor_b32_e32 v19, 0x80000000, v19
	s_delay_alu instid0(TRANS32_DEP_1) | instid1(VALU_DEP_1)
	v_fma_f32 v30, v19, v21, 1.0
	s_delay_alu instid0(VALU_DEP_1) | instskip(NEXT) | instid1(VALU_DEP_1)
	v_fmac_f32_e32 v21, v30, v21
	v_mul_f32_e32 v30, v31, v21
	s_delay_alu instid0(VALU_DEP_1) | instskip(NEXT) | instid1(VALU_DEP_1)
	v_fma_f32 v32, v19, v30, v31
	v_fmac_f32_e32 v30, v32, v21
	s_delay_alu instid0(VALU_DEP_1) | instskip(NEXT) | instid1(VALU_DEP_1)
	v_fmac_f32_e32 v31, v19, v30
	v_div_fmas_f32 v19, v31, v21, v30
	v_fma_f32 v21, v18, v23, v22
	s_delay_alu instid0(VALU_DEP_2) | instskip(NEXT) | instid1(VALU_DEP_1)
	v_div_fixup_f32 v19, v19, v20, 1.0
	v_dual_fma_f32 v20, -v18, v22, v23 :: v_dual_mul_f32 v18, v21, v19
	s_delay_alu instid0(VALU_DEP_1)
	v_mul_f32_e32 v19, v20, v19
.LBB172_67:                             ;   in Loop: Header=BB172_57 Depth=2
	s_add_co_i32 s52, s35, -16
	s_lshl_b32 s50, s50, 3
	v_mov_b32_e32 v20, s52
	s_sub_co_i32 s51, s51, s50
	s_lshl_b32 s50, s49, 3
	s_lshl_b32 s49, s49, 8
	s_add_co_i32 s52, s51, s50
	s_add_co_i32 s49, s34, s49
	v_mov_b32_e32 v21, s52
	ds_load_b64 v[22:23], v20
	s_add_co_i32 s49, s49, -16
	v_mov_b32_e32 v32, v17
	s_mov_b32 s52, -1
	ds_load_b64 v[30:31], v21
	v_mov_b32_e32 v20, s49
	ds_store_b64 v29, v[18:19]
	ds_load_b64 v[20:21], v20
	s_wait_dscnt 0x3
	v_pk_mul_f32 v[32:33], v[32:33], v[22:23] op_sel_hi:[0,1]
	s_delay_alu instid0(VALU_DEP_1) | instskip(SKIP_2) | instid1(VALU_DEP_3)
	v_pk_fma_f32 v[36:37], v[16:17], v[22:23], v[32:33] op_sel:[0,0,1] op_sel_hi:[0,1,0]
	v_mov_b32_e32 v34, v19
	v_pk_fma_f32 v[22:23], v[16:17], v[22:23], v[32:33] op_sel:[0,0,1] op_sel_hi:[1,1,0] neg_lo:[0,0,1] neg_hi:[0,0,1]
	v_mov_b32_e32 v23, v37
	s_wait_dscnt 0x2
	s_delay_alu instid0(VALU_DEP_3) | instskip(SKIP_3) | instid1(VALU_DEP_3)
	v_pk_mul_f32 v[34:35], v[34:35], v[30:31] op_sel_hi:[0,1]
	s_wait_dscnt 0x0
	v_and_b32_e32 v36, 0x7fffffff, v21
	v_pk_add_f32 v[2:3], v[2:3], v[22:23] neg_lo:[0,1] neg_hi:[0,1]
	v_pk_fma_f32 v[32:33], v[18:19], v[30:31], v[34:35] op_sel:[0,0,1] op_sel_hi:[0,1,0]
	v_and_b32_e32 v32, 0x7fffffff, v20
	v_pk_fma_f32 v[30:31], v[18:19], v[30:31], v[34:35] op_sel:[0,0,1] op_sel_hi:[1,1,0] neg_lo:[0,0,1] neg_hi:[0,0,1]
                                        ; implicit-def: $vgpr22_vgpr23
	s_delay_alu instid0(VALU_DEP_3) | instskip(NEXT) | instid1(VALU_DEP_3)
	v_mov_b32_e32 v31, v33
	v_cmp_ngt_f32_e32 vcc_lo, v32, v36
	s_delay_alu instid0(VALU_DEP_2)
	v_pk_add_f32 v[2:3], v[2:3], v[30:31] neg_lo:[0,1] neg_hi:[0,1]
	s_cbranch_vccz .LBB172_69
; %bb.68:                               ;   in Loop: Header=BB172_57 Depth=2
	v_div_scale_f32 v22, null, v21, v21, v20
	v_div_scale_f32 v30, vcc_lo, v20, v21, v20
	s_mov_b32 s52, 0
	v_rcp_f32_e32 v23, v22
	v_nop
	v_xor_b32_e32 v22, 0x80000000, v22
	s_delay_alu instid0(TRANS32_DEP_1) | instid1(VALU_DEP_1)
	v_fma_f32 v29, v22, v23, 1.0
	s_delay_alu instid0(VALU_DEP_1) | instskip(NEXT) | instid1(VALU_DEP_1)
	v_fmac_f32_e32 v23, v29, v23
	v_mul_f32_e32 v29, v30, v23
	s_delay_alu instid0(VALU_DEP_1) | instskip(NEXT) | instid1(VALU_DEP_1)
	v_fma_f32 v31, v22, v29, v30
	v_fmac_f32_e32 v29, v31, v23
	s_delay_alu instid0(VALU_DEP_1) | instskip(NEXT) | instid1(VALU_DEP_1)
	v_fmac_f32_e32 v30, v22, v29
	v_div_fmas_f32 v22, v30, v23, v29
	s_delay_alu instid0(VALU_DEP_1) | instskip(NEXT) | instid1(VALU_DEP_1)
	v_div_fixup_f32 v22, v22, v21, v20
	v_fma_f32 v23, v20, v22, v21
	s_delay_alu instid0(VALU_DEP_1) | instskip(SKIP_1) | instid1(VALU_DEP_2)
	v_div_scale_f32 v29, null, v23, v23, 1.0
	v_div_scale_f32 v32, vcc_lo, 1.0, v23, 1.0
	v_rcp_f32_e32 v31, v29
	v_nop
	v_xor_b32_e32 v29, 0x80000000, v29
	s_delay_alu instid0(TRANS32_DEP_1) | instid1(VALU_DEP_1)
	v_fma_f32 v30, v29, v31, 1.0
	s_delay_alu instid0(VALU_DEP_1) | instskip(NEXT) | instid1(VALU_DEP_1)
	v_fmac_f32_e32 v31, v30, v31
	v_mul_f32_e32 v33, v32, v31
	s_delay_alu instid0(VALU_DEP_1) | instskip(NEXT) | instid1(VALU_DEP_1)
	v_fma_f32 v30, v29, v33, v32
	v_dual_fmac_f32 v33, v30, v31 :: v_dual_mov_b32 v30, v3
	s_delay_alu instid0(VALU_DEP_1) | instskip(NEXT) | instid1(VALU_DEP_1)
	v_fmac_f32_e32 v32, v29, v33
	v_div_fmas_f32 v29, v32, v31, v33
	s_delay_alu instid0(VALU_DEP_3) | instskip(NEXT) | instid1(VALU_DEP_2)
	v_pk_fma_f32 v[30:31], v[22:23], v[2:3], v[30:31]
	v_div_fixup_f32 v31, v29, v23, 1.0
	s_delay_alu instid0(VALU_DEP_1) | instskip(NEXT) | instid1(VALU_DEP_1)
	v_dual_fma_f32 v23, v22, v3, -v2 :: v_dual_mov_b32 v22, v31
	v_pk_mul_f32 v[22:23], v[30:31], v[22:23]
.LBB172_69:                             ;   in Loop: Header=BB172_57 Depth=2
	s_and_not1_b32 vcc_lo, exec_lo, s52
	s_cbranch_vccnz .LBB172_71
; %bb.70:                               ;   in Loop: Header=BB172_57 Depth=2
	v_div_scale_f32 v22, null, v20, v20, v21
	v_div_scale_f32 v30, vcc_lo, v21, v20, v21
	s_delay_alu instid0(VALU_DEP_2)
	v_rcp_f32_e32 v23, v22
	v_nop
	v_xor_b32_e32 v22, 0x80000000, v22
	s_delay_alu instid0(TRANS32_DEP_1) | instid1(VALU_DEP_1)
	v_fma_f32 v29, v22, v23, 1.0
	s_delay_alu instid0(VALU_DEP_1) | instskip(NEXT) | instid1(VALU_DEP_1)
	v_fmac_f32_e32 v23, v29, v23
	v_mul_f32_e32 v29, v30, v23
	s_delay_alu instid0(VALU_DEP_1) | instskip(NEXT) | instid1(VALU_DEP_1)
	v_fma_f32 v31, v22, v29, v30
	v_fmac_f32_e32 v29, v31, v23
	s_delay_alu instid0(VALU_DEP_1) | instskip(NEXT) | instid1(VALU_DEP_1)
	v_fmac_f32_e32 v30, v22, v29
	v_div_fmas_f32 v22, v30, v23, v29
	s_delay_alu instid0(VALU_DEP_1) | instskip(NEXT) | instid1(VALU_DEP_1)
	v_div_fixup_f32 v22, v22, v20, v21
	v_fmac_f32_e32 v20, v21, v22
	s_delay_alu instid0(VALU_DEP_1) | instskip(SKIP_1) | instid1(VALU_DEP_2)
	v_div_scale_f32 v21, null, v20, v20, 1.0
	v_div_scale_f32 v30, vcc_lo, 1.0, v20, 1.0
	v_rcp_f32_e32 v23, v21
	v_nop
	v_xor_b32_e32 v21, 0x80000000, v21
	s_delay_alu instid0(TRANS32_DEP_1) | instid1(VALU_DEP_1)
	v_fma_f32 v29, v21, v23, 1.0
	s_delay_alu instid0(VALU_DEP_1) | instskip(NEXT) | instid1(VALU_DEP_1)
	v_fmac_f32_e32 v23, v29, v23
	v_mul_f32_e32 v29, v30, v23
	s_delay_alu instid0(VALU_DEP_1) | instskip(NEXT) | instid1(VALU_DEP_1)
	v_fma_f32 v31, v21, v29, v30
	v_fmac_f32_e32 v29, v31, v23
	s_delay_alu instid0(VALU_DEP_1) | instskip(NEXT) | instid1(VALU_DEP_1)
	v_fmac_f32_e32 v30, v21, v29
	v_div_fmas_f32 v21, v30, v23, v29
	v_pk_fma_f32 v[30:31], v[22:23], v[2:3], v[2:3] op_sel:[0,1,0] op_sel_hi:[0,0,1] neg_lo:[1,0,0] neg_hi:[1,0,0]
	v_pk_fma_f32 v[2:3], v[22:23], v[2:3], v[2:3] op_sel:[0,1,0] op_sel_hi:[1,0,1]
	s_delay_alu instid0(VALU_DEP_3) | instskip(NEXT) | instid1(VALU_DEP_3)
	v_div_fixup_f32 v20, v21, v20, 1.0
	v_mov_b32_e32 v3, v31
	s_delay_alu instid0(VALU_DEP_1)
	v_pk_mul_f32 v[22:23], v[2:3], v[20:21] op_sel_hi:[1,0]
.LBB172_71:                             ;   in Loop: Header=BB172_57 Depth=2
	s_sub_co_i32 s35, s35, 24
	s_lshl_b32 s31, s31, 3
	v_mov_b32_e32 v2, s35
	s_add_co_i32 s35, s51, s31
	s_add_co_i32 s34, s34, s30
	v_mov_b32_e32 v3, s35
	s_sub_co_i32 s35, s49, s50
	ds_load_b64 v[20:21], v2
	s_add_co_i32 s31, s35, s31
	v_mov_b32_e32 v34, v17
	ds_load_b64 v[30:31], v3
	v_mov_b32_e32 v2, s31
	s_sub_co_i32 s30, s34, 24
	v_dual_mov_b32 v37, v19 :: v_dual_mov_b32 v35, v17
	v_dual_mov_b32 v17, v16 :: v_dual_mov_b32 v36, v19
	ds_load_b64 v[32:33], v2
	v_dual_mov_b32 v2, s30 :: v_dual_mov_b32 v19, v18
	s_mov_b32 s30, -1
	ds_store_b64 v28, v[22:23]
	ds_load_b64 v[2:3], v2
	s_wait_dscnt 0x4
	v_pk_mul_f32 v[34:35], v[34:35], v[20:21]
	s_wait_dscnt 0x3
	v_pk_mul_f32 v[36:37], v[36:37], v[30:31]
	s_delay_alu instid0(VALU_DEP_2) | instskip(SKIP_1) | instid1(VALU_DEP_3)
	v_pk_fma_f32 v[38:39], v[16:17], v[20:21], v[34:35] op_sel:[0,0,1] op_sel_hi:[1,1,0]
	v_pk_fma_f32 v[16:17], v[16:17], v[20:21], v[34:35] op_sel:[0,0,1] op_sel_hi:[1,1,0] neg_lo:[0,0,1] neg_hi:[0,0,1]
	v_pk_fma_f32 v[20:21], v[18:19], v[30:31], v[36:37] op_sel:[0,0,1] op_sel_hi:[1,1,0]
	v_pk_fma_f32 v[18:19], v[18:19], v[30:31], v[36:37] op_sel:[0,0,1] op_sel_hi:[1,1,0] neg_lo:[0,0,1] neg_hi:[0,0,1]
	s_delay_alu instid0(VALU_DEP_4) | instskip(SKIP_3) | instid1(VALU_DEP_3)
	v_mov_b32_e32 v17, v39
	s_wait_dscnt 0x2
	v_pk_mul_f32 v[34:35], v[22:23], v[32:33] op_sel:[1,1] op_sel_hi:[1,0]
	v_mov_b32_e32 v19, v21
	v_pk_add_f32 v[0:1], v[0:1], v[16:17] neg_lo:[0,1] neg_hi:[0,1]
	s_delay_alu instid0(VALU_DEP_3)
	v_pk_fma_f32 v[16:17], v[22:23], v[32:33], v[34:35] op_sel_hi:[0,1,1]
	s_wait_dscnt 0x0
	v_and_b32_e32 v16, 0x7fffffff, v2
	v_and_b32_e32 v29, 0x7fffffff, v3
	v_pk_fma_f32 v[20:21], v[22:23], v[32:33], v[34:35] neg_lo:[0,0,1] neg_hi:[0,0,1]
	v_pk_add_f32 v[0:1], v[0:1], v[18:19] neg_lo:[0,1] neg_hi:[0,1]
	v_mov_b32_e32 v21, v17
	s_delay_alu instid0(VALU_DEP_4) | instskip(NEXT) | instid1(VALU_DEP_2)
	v_cmp_ngt_f32_e32 vcc_lo, v16, v29
                                        ; implicit-def: $vgpr16_vgpr17
	v_pk_add_f32 v[0:1], v[0:1], v[20:21] neg_lo:[0,1] neg_hi:[0,1]
	s_cbranch_vccz .LBB172_73
; %bb.72:                               ;   in Loop: Header=BB172_57 Depth=2
	v_div_scale_f32 v16, null, v3, v3, v2
	v_div_scale_f32 v19, vcc_lo, v2, v3, v2
	s_mov_b32 s30, 0
	v_rcp_f32_e32 v17, v16
	v_nop
	v_xor_b32_e32 v16, 0x80000000, v16
	s_delay_alu instid0(TRANS32_DEP_1) | instid1(VALU_DEP_1)
	v_fma_f32 v18, v16, v17, 1.0
	s_delay_alu instid0(VALU_DEP_1) | instskip(NEXT) | instid1(VALU_DEP_1)
	v_fmac_f32_e32 v17, v18, v17
	v_mul_f32_e32 v18, v19, v17
	s_delay_alu instid0(VALU_DEP_1) | instskip(NEXT) | instid1(VALU_DEP_1)
	v_fma_f32 v20, v16, v18, v19
	v_fmac_f32_e32 v18, v20, v17
	s_delay_alu instid0(VALU_DEP_1) | instskip(NEXT) | instid1(VALU_DEP_1)
	v_fmac_f32_e32 v19, v16, v18
	v_div_fmas_f32 v16, v19, v17, v18
	s_delay_alu instid0(VALU_DEP_1) | instskip(NEXT) | instid1(VALU_DEP_1)
	v_div_fixup_f32 v16, v16, v3, v2
	v_fma_f32 v17, v2, v16, v3
	s_delay_alu instid0(VALU_DEP_1) | instskip(NEXT) | instid1(VALU_DEP_1)
	v_div_scale_f32 v18, null, v17, v17, 1.0
	v_rcp_f32_e32 v19, v18
	v_nop
	v_xor_b32_e32 v18, 0x80000000, v18
	s_delay_alu instid0(TRANS32_DEP_1) | instid1(VALU_DEP_1)
	v_fma_f32 v20, v18, v19, 1.0
	s_delay_alu instid0(VALU_DEP_1) | instskip(SKIP_1) | instid1(VALU_DEP_1)
	v_fmac_f32_e32 v19, v20, v19
	v_div_scale_f32 v20, vcc_lo, 1.0, v17, 1.0
	v_mul_f32_e32 v21, v20, v19
	s_delay_alu instid0(VALU_DEP_1) | instskip(NEXT) | instid1(VALU_DEP_1)
	v_fma_f32 v22, v18, v21, v20
	v_fmac_f32_e32 v21, v22, v19
	s_delay_alu instid0(VALU_DEP_1) | instskip(NEXT) | instid1(VALU_DEP_1)
	v_dual_fmac_f32 v20, v18, v21 :: v_dual_mov_b32 v18, v1
	v_div_fmas_f32 v20, v20, v19, v21
	s_delay_alu instid0(VALU_DEP_2) | instskip(NEXT) | instid1(VALU_DEP_2)
	v_pk_fma_f32 v[18:19], v[16:17], v[0:1], v[18:19]
	v_div_fixup_f32 v19, v20, v17, 1.0
	s_delay_alu instid0(VALU_DEP_1) | instskip(NEXT) | instid1(VALU_DEP_1)
	v_dual_fma_f32 v17, v16, v1, -v0 :: v_dual_mov_b32 v16, v19
	v_pk_mul_f32 v[16:17], v[18:19], v[16:17]
.LBB172_73:                             ;   in Loop: Header=BB172_57 Depth=2
	s_and_not1_b32 vcc_lo, exec_lo, s30
	s_cbranch_vccnz .LBB172_75
; %bb.74:                               ;   in Loop: Header=BB172_57 Depth=2
	v_div_scale_f32 v16, null, v2, v2, v3
	v_div_scale_f32 v19, vcc_lo, v3, v2, v3
	s_delay_alu instid0(VALU_DEP_2)
	v_rcp_f32_e32 v17, v16
	v_nop
	v_xor_b32_e32 v16, 0x80000000, v16
	s_delay_alu instid0(TRANS32_DEP_1) | instid1(VALU_DEP_1)
	v_fma_f32 v18, v16, v17, 1.0
	s_delay_alu instid0(VALU_DEP_1) | instskip(NEXT) | instid1(VALU_DEP_1)
	v_fmac_f32_e32 v17, v18, v17
	v_mul_f32_e32 v18, v19, v17
	s_delay_alu instid0(VALU_DEP_1) | instskip(NEXT) | instid1(VALU_DEP_1)
	v_fma_f32 v20, v16, v18, v19
	v_fmac_f32_e32 v18, v20, v17
	s_delay_alu instid0(VALU_DEP_1) | instskip(NEXT) | instid1(VALU_DEP_1)
	v_fmac_f32_e32 v19, v16, v18
	v_div_fmas_f32 v16, v19, v17, v18
	s_delay_alu instid0(VALU_DEP_1) | instskip(NEXT) | instid1(VALU_DEP_1)
	v_div_fixup_f32 v16, v16, v2, v3
	v_fmac_f32_e32 v2, v3, v16
	s_delay_alu instid0(VALU_DEP_1) | instskip(SKIP_1) | instid1(VALU_DEP_2)
	v_div_scale_f32 v3, null, v2, v2, 1.0
	v_div_scale_f32 v19, vcc_lo, 1.0, v2, 1.0
	v_rcp_f32_e32 v17, v3
	v_nop
	v_xor_b32_e32 v3, 0x80000000, v3
	s_delay_alu instid0(TRANS32_DEP_1) | instid1(VALU_DEP_1)
	v_fma_f32 v18, v3, v17, 1.0
	s_delay_alu instid0(VALU_DEP_1) | instskip(NEXT) | instid1(VALU_DEP_1)
	v_fmac_f32_e32 v17, v18, v17
	v_mul_f32_e32 v18, v19, v17
	s_delay_alu instid0(VALU_DEP_1) | instskip(NEXT) | instid1(VALU_DEP_1)
	v_fma_f32 v20, v3, v18, v19
	v_fmac_f32_e32 v18, v20, v17
	s_delay_alu instid0(VALU_DEP_1) | instskip(NEXT) | instid1(VALU_DEP_1)
	v_fmac_f32_e32 v19, v3, v18
	v_div_fmas_f32 v3, v19, v17, v18
	v_pk_fma_f32 v[18:19], v[16:17], v[0:1], v[0:1] op_sel:[0,1,0] op_sel_hi:[0,0,1] neg_lo:[1,0,0] neg_hi:[1,0,0]
	v_pk_fma_f32 v[0:1], v[16:17], v[0:1], v[0:1] op_sel:[0,1,0] op_sel_hi:[1,0,1]
	s_delay_alu instid0(VALU_DEP_3) | instskip(NEXT) | instid1(VALU_DEP_3)
	v_div_fixup_f32 v2, v3, v2, 1.0
	v_mov_b32_e32 v1, v19
	s_delay_alu instid0(VALU_DEP_1)
	v_pk_mul_f32 v[16:17], v[0:1], v[2:3] op_sel_hi:[1,0]
.LBB172_75:                             ;   in Loop: Header=BB172_57 Depth=2
	s_add_co_i32 s30, s18, -4
	s_sub_co_i32 s3, s3, 32
	s_cmp_lt_i32 s18, 7
	ds_store_b64 v27, v[16:17]
	s_cbranch_scc1 .LBB172_77
; %bb.76:                               ;   in Loop: Header=BB172_57 Depth=2
	s_mov_b32 s18, s30
	s_branch .LBB172_57
.LBB172_77:                             ;   in Loop: Header=BB172_3 Depth=1
	s_cmp_lt_i32 s30, 0
	s_cbranch_scc1 .LBB172_86
; %bb.78:                               ;   in Loop: Header=BB172_3 Depth=1
	s_lshl_b32 s3, s30, 3
	s_delay_alu instid0(SALU_CYCLE_1)
	s_add_co_i32 s3, s46, s3
	s_branch .LBB172_80
.LBB172_79:                             ;   in Loop: Header=BB172_80 Depth=2
	s_add_co_i32 s18, s30, -1
	s_add_co_i32 s3, s3, -8
	s_cmp_lt_i32 s30, 1
	s_mov_b32 s30, s18
	ds_store_b64 v18, v[16:17]
	s_cbranch_scc1 .LBB172_86
.LBB172_80:                             ;   Parent Loop BB172_3 Depth=1
                                        ; =>  This Loop Header: Depth=2
                                        ;       Child Loop BB172_81 Depth 3
	s_lshl_b32 s18, s30, 8
	s_cmp_le_i32 s38, s30
	v_dual_add_nc_u32 v18, s18, v24 :: v_dual_mov_b32 v2, v5
	s_mov_b32 s31, s3
	s_mov_b32 s34, s38
	ds_load_b64 v[0:1], v18
	s_cbranch_scc1 .LBB172_82
.LBB172_81:                             ;   Parent Loop BB172_3 Depth=1
                                        ;     Parent Loop BB172_80 Depth=2
                                        ; =>    This Inner Loop Header: Depth=3
	v_mov_b32_e32 v3, s31
	s_add_co_i32 s34, s34, -1
	s_addk_co_i32 s31, 0xff00
	s_cmp_le_i32 s34, s30
	ds_load_b64 v[16:17], v2
	ds_load_b64 v[20:21], v3
	v_add_nc_u32_e32 v2, 0xffffff00, v2
	s_wait_dscnt 0x0
	v_pk_mul_f32 v[22:23], v[20:21], v[16:17] op_sel:[1,1] op_sel_hi:[0,1]
	s_delay_alu instid0(VALU_DEP_1) | instskip(SKIP_1) | instid1(VALU_DEP_2)
	v_pk_fma_f32 v[28:29], v[20:21], v[16:17], v[22:23] op_sel_hi:[1,0,1]
	v_pk_fma_f32 v[16:17], v[20:21], v[16:17], v[22:23] op_sel_hi:[1,0,1] neg_lo:[0,0,1] neg_hi:[0,0,1]
	v_mov_b32_e32 v17, v29
	s_delay_alu instid0(VALU_DEP_1)
	v_pk_add_f32 v[0:1], v[0:1], v[16:17] neg_lo:[0,1] neg_hi:[0,1]
	s_cbranch_scc0 .LBB172_81
.LBB172_82:                             ;   in Loop: Header=BB172_80 Depth=2
	s_lshl_b32 s31, s30, 3
	s_delay_alu instid0(SALU_CYCLE_1) | instskip(NEXT) | instid1(SALU_CYCLE_1)
	s_add_co_i32 s18, s31, s18
	v_mov_b32_e32 v2, s18
	s_mov_b32 s18, -1
	ds_load_b64 v[2:3], v2
	s_wait_dscnt 0x0
	v_and_b32_e32 v16, 0x7fffffff, v2
	v_and_b32_e32 v17, 0x7fffffff, v3
	s_delay_alu instid0(VALU_DEP_1)
	v_cmp_ngt_f32_e32 vcc_lo, v16, v17
                                        ; implicit-def: $vgpr16_vgpr17
	s_cbranch_vccz .LBB172_84
; %bb.83:                               ;   in Loop: Header=BB172_80 Depth=2
	v_div_scale_f32 v16, null, v3, v3, v2
	v_div_scale_f32 v20, vcc_lo, v2, v3, v2
	s_mov_b32 s18, 0
	v_rcp_f32_e32 v17, v16
	v_nop
	v_xor_b32_e32 v16, 0x80000000, v16
	s_delay_alu instid0(TRANS32_DEP_1) | instid1(VALU_DEP_1)
	v_fma_f32 v19, v16, v17, 1.0
	s_delay_alu instid0(VALU_DEP_1) | instskip(NEXT) | instid1(VALU_DEP_1)
	v_fmac_f32_e32 v17, v19, v17
	v_mul_f32_e32 v19, v20, v17
	s_delay_alu instid0(VALU_DEP_1) | instskip(NEXT) | instid1(VALU_DEP_1)
	v_fma_f32 v21, v16, v19, v20
	v_fmac_f32_e32 v19, v21, v17
	s_delay_alu instid0(VALU_DEP_1) | instskip(NEXT) | instid1(VALU_DEP_1)
	v_fmac_f32_e32 v20, v16, v19
	v_div_fmas_f32 v16, v20, v17, v19
	s_delay_alu instid0(VALU_DEP_1) | instskip(NEXT) | instid1(VALU_DEP_1)
	v_div_fixup_f32 v16, v16, v3, v2
	v_fma_f32 v19, v2, v16, v3
	s_delay_alu instid0(VALU_DEP_1) | instskip(SKIP_1) | instid1(VALU_DEP_2)
	v_div_scale_f32 v17, null, v19, v19, 1.0
	v_div_scale_f32 v22, vcc_lo, 1.0, v19, 1.0
	v_rcp_f32_e32 v20, v17
	v_nop
	v_xor_b32_e32 v17, 0x80000000, v17
	s_delay_alu instid0(TRANS32_DEP_1) | instid1(VALU_DEP_1)
	v_fma_f32 v21, v17, v20, 1.0
	s_delay_alu instid0(VALU_DEP_1) | instskip(NEXT) | instid1(VALU_DEP_1)
	v_fmac_f32_e32 v20, v21, v20
	v_mul_f32_e32 v21, v22, v20
	s_delay_alu instid0(VALU_DEP_1) | instskip(NEXT) | instid1(VALU_DEP_1)
	v_fma_f32 v23, v17, v21, v22
	v_fmac_f32_e32 v21, v23, v20
	s_delay_alu instid0(VALU_DEP_1) | instskip(NEXT) | instid1(VALU_DEP_1)
	v_fmac_f32_e32 v22, v17, v21
	v_div_fmas_f32 v22, v22, v20, v21
	v_pk_fma_f32 v[20:21], v[0:1], v[16:17], v[0:1] op_sel:[0,0,1] op_sel_hi:[1,0,0] neg_lo:[0,0,1] neg_hi:[0,0,1]
	v_pk_fma_f32 v[16:17], v[0:1], v[16:17], v[0:1] op_sel:[0,0,1] op_sel_hi:[1,0,0]
	s_delay_alu instid0(VALU_DEP_3) | instskip(NEXT) | instid1(VALU_DEP_3)
	v_div_fixup_f32 v20, v22, v19, 1.0
	v_mov_b32_e32 v17, v21
	s_delay_alu instid0(VALU_DEP_1)
	v_pk_mul_f32 v[16:17], v[16:17], v[20:21] op_sel_hi:[1,0]
.LBB172_84:                             ;   in Loop: Header=BB172_80 Depth=2
	s_and_not1_b32 vcc_lo, exec_lo, s18
	s_cbranch_vccnz .LBB172_79
; %bb.85:                               ;   in Loop: Header=BB172_80 Depth=2
	v_div_scale_f32 v16, null, v2, v2, v3
	v_div_scale_f32 v20, vcc_lo, v3, v2, v3
	s_delay_alu instid0(VALU_DEP_2)
	v_rcp_f32_e32 v17, v16
	v_nop
	v_xor_b32_e32 v16, 0x80000000, v16
	s_delay_alu instid0(TRANS32_DEP_1) | instid1(VALU_DEP_1)
	v_fma_f32 v19, v16, v17, 1.0
	s_delay_alu instid0(VALU_DEP_1) | instskip(NEXT) | instid1(VALU_DEP_1)
	v_fmac_f32_e32 v17, v19, v17
	v_mul_f32_e32 v19, v20, v17
	s_delay_alu instid0(VALU_DEP_1) | instskip(NEXT) | instid1(VALU_DEP_1)
	v_fma_f32 v21, v16, v19, v20
	v_fmac_f32_e32 v19, v21, v17
	s_delay_alu instid0(VALU_DEP_1) | instskip(NEXT) | instid1(VALU_DEP_1)
	v_fmac_f32_e32 v20, v16, v19
	v_div_fmas_f32 v16, v20, v17, v19
	s_delay_alu instid0(VALU_DEP_1) | instskip(NEXT) | instid1(VALU_DEP_1)
	v_div_fixup_f32 v16, v16, v2, v3
	v_fmac_f32_e32 v2, v3, v16
	s_delay_alu instid0(VALU_DEP_1) | instskip(SKIP_1) | instid1(VALU_DEP_2)
	v_div_scale_f32 v3, null, v2, v2, 1.0
	v_div_scale_f32 v20, vcc_lo, 1.0, v2, 1.0
	v_rcp_f32_e32 v17, v3
	v_nop
	v_xor_b32_e32 v3, 0x80000000, v3
	s_delay_alu instid0(TRANS32_DEP_1) | instid1(VALU_DEP_1)
	v_fma_f32 v19, v3, v17, 1.0
	s_delay_alu instid0(VALU_DEP_1) | instskip(NEXT) | instid1(VALU_DEP_1)
	v_fmac_f32_e32 v17, v19, v17
	v_mul_f32_e32 v19, v20, v17
	s_delay_alu instid0(VALU_DEP_1) | instskip(NEXT) | instid1(VALU_DEP_1)
	v_fma_f32 v21, v3, v19, v20
	v_fmac_f32_e32 v19, v21, v17
	s_delay_alu instid0(VALU_DEP_1) | instskip(NEXT) | instid1(VALU_DEP_1)
	v_fmac_f32_e32 v20, v3, v19
	v_div_fmas_f32 v3, v20, v17, v19
	v_pk_fma_f32 v[20:21], v[0:1], v[16:17], v[0:1] op_sel:[1,0,0] op_sel_hi:[0,0,1] neg_lo:[1,0,0] neg_hi:[1,0,0]
	v_pk_fma_f32 v[0:1], v[0:1], v[16:17], v[0:1] op_sel:[1,0,0] op_sel_hi:[0,0,1]
	s_delay_alu instid0(VALU_DEP_3) | instskip(NEXT) | instid1(VALU_DEP_3)
	v_div_fixup_f32 v2, v3, v2, 1.0
	v_mov_b32_e32 v1, v21
	s_delay_alu instid0(VALU_DEP_1)
	v_pk_mul_f32 v[16:17], v[0:1], v[2:3] op_sel_hi:[1,0]
	s_branch .LBB172_79
.LBB172_86:                             ;   in Loop: Header=BB172_3 Depth=1
	s_mov_b32 s3, 0
.LBB172_87:                             ;   in Loop: Header=BB172_3 Depth=1
	s_delay_alu instid0(SALU_CYCLE_1)
	s_and_not1_b32 vcc_lo, exec_lo, s3
	s_cbranch_vccnz .LBB172_119
; %bb.88:                               ;   in Loop: Header=BB172_3 Depth=1
	s_mov_b32 s30, s38
	s_and_not1_b32 vcc_lo, exec_lo, s42
	s_mov_b32 s3, s47
	s_mov_b32 s18, s38
	s_cbranch_vccnz .LBB172_110
.LBB172_89:                             ;   Parent Loop BB172_3 Depth=1
                                        ; =>  This Loop Header: Depth=2
                                        ;       Child Loop BB172_90 Depth 3
	s_add_co_i32 s49, s18, -1
	v_lshl_add_u32 v30, s18, 8, v24
	s_add_co_i32 s34, s18, -2
	v_lshl_add_u32 v29, s49, 8, v24
	;; [unrolled: 2-line block ×3, first 2 shown]
	v_lshl_add_u32 v27, s30, 8, v24
	ds_load_b64 v[0:1], v30
	ds_load_b64 v[22:23], v29
	;; [unrolled: 1-line block ×4, first 2 shown]
	v_mov_b32_e32 v2, v5
	s_cmp_le_i32 s38, s18
	s_mov_b32 s31, s3
	s_mov_b32 s35, s38
	s_cbranch_scc1 .LBB172_91
.LBB172_90:                             ;   Parent Loop BB172_3 Depth=1
                                        ;     Parent Loop BB172_89 Depth=2
                                        ; =>    This Inner Loop Header: Depth=3
	v_mov_b32_e32 v3, s31
	s_add_co_i32 s35, s35, -1
	s_add_co_i32 s31, s31, -8
	s_cmp_le_i32 s35, s18
	ds_load_b64 v[20:21], v2
	ds_load_2addr_b64 v[32:35], v3 offset1:32
	ds_load_2addr_b64 v[36:39], v3 offset0:64 offset1:96
	v_add_nc_u32_e32 v2, 0xffffff00, v2
	s_wait_dscnt 0x1
	v_pk_mul_f32 v[40:41], v[34:35], v[20:21] op_sel:[0,1]
	s_wait_dscnt 0x0
	v_dual_mul_f32 v3, v39, v21 :: v_dual_mul_f32 v31, v38, v21
	v_dual_mul_f32 v44, v37, v21 :: v_dual_mul_f32 v45, v37, v20
	v_pk_mul_f32 v[42:43], v[32:33], v[20:21] op_sel:[0,1]
	s_delay_alu instid0(VALU_DEP_3) | instskip(NEXT) | instid1(VALU_DEP_3)
	v_fma_f32 v3, v38, v20, -v3
	v_dual_fmac_f32 v31, v39, v20 :: v_dual_fma_f32 v44, v36, v20, -v44
	s_delay_alu instid0(VALU_DEP_4) | instskip(SKIP_4) | instid1(VALU_DEP_4)
	v_fmac_f32_e32 v45, v36, v21
	v_pk_fma_f32 v[36:37], v[34:35], v[20:21], v[40:41] op_sel:[0,0,1] op_sel_hi:[1,0,0]
	v_pk_fma_f32 v[38:39], v[32:33], v[20:21], v[42:43] op_sel:[0,0,1] op_sel_hi:[1,0,0]
	v_pk_fma_f32 v[34:35], v[34:35], v[20:21], v[40:41] op_sel:[0,0,1] op_sel_hi:[1,1,0] neg_lo:[0,0,1] neg_hi:[0,0,1]
	v_pk_fma_f32 v[20:21], v[32:33], v[20:21], v[42:43] op_sel:[0,0,1] op_sel_hi:[1,1,0] neg_lo:[0,0,1] neg_hi:[0,0,1]
	v_dual_sub_f32 v0, v0, v3 :: v_dual_mov_b32 v35, v37
	s_delay_alu instid0(VALU_DEP_4) | instskip(SKIP_1) | instid1(VALU_DEP_3)
	v_dual_mov_b32 v21, v39 :: v_dual_sub_f32 v1, v1, v31
	v_dual_sub_f32 v22, v22, v44 :: v_dual_sub_f32 v23, v23, v45
	v_pk_add_f32 v[18:19], v[18:19], v[34:35] neg_lo:[0,1] neg_hi:[0,1]
	s_delay_alu instid0(VALU_DEP_3)
	v_pk_add_f32 v[16:17], v[16:17], v[20:21] neg_lo:[0,1] neg_hi:[0,1]
	s_cbranch_scc0 .LBB172_90
.LBB172_91:                             ;   in Loop: Header=BB172_89 Depth=2
	s_lshl_b32 s50, s49, 5
	s_lshl_b32 s35, s34, 5
	;; [unrolled: 1-line block ×3, first 2 shown]
; %bb.92:                               ;   in Loop: Header=BB172_89 Depth=2
	s_mul_i32 s51, s18, 0x108
	s_delay_alu instid0(SALU_CYCLE_1)
	v_mov_b32_e32 v2, s51
	s_mov_b32 s51, -1
	ds_load_b64 v[2:3], v2
	s_wait_dscnt 0x0
	v_and_b32_e32 v20, 0x7fffffff, v2
	v_and_b32_e32 v21, 0x7fffffff, v3
	s_delay_alu instid0(VALU_DEP_1)
	v_cmp_ngt_f32_e32 vcc_lo, v20, v21
                                        ; implicit-def: $vgpr21
	s_cbranch_vccz .LBB172_94
; %bb.93:                               ;   in Loop: Header=BB172_89 Depth=2
	v_div_scale_f32 v20, null, v3, v3, v2
	v_div_scale_f32 v32, vcc_lo, v2, v3, v2
	s_mov_b32 s51, 0
	v_rcp_f32_e32 v21, v20
	v_nop
	v_xor_b32_e32 v20, 0x80000000, v20
	s_delay_alu instid0(TRANS32_DEP_1) | instid1(VALU_DEP_1)
	v_fma_f32 v31, v20, v21, 1.0
	s_delay_alu instid0(VALU_DEP_1) | instskip(NEXT) | instid1(VALU_DEP_1)
	v_fmac_f32_e32 v21, v31, v21
	v_mul_f32_e32 v31, v32, v21
	s_delay_alu instid0(VALU_DEP_1) | instskip(NEXT) | instid1(VALU_DEP_1)
	v_fma_f32 v33, v20, v31, v32
	v_fmac_f32_e32 v31, v33, v21
	s_delay_alu instid0(VALU_DEP_1) | instskip(NEXT) | instid1(VALU_DEP_1)
	v_fmac_f32_e32 v32, v20, v31
	v_div_fmas_f32 v20, v32, v21, v31
	s_delay_alu instid0(VALU_DEP_1) | instskip(NEXT) | instid1(VALU_DEP_1)
	v_div_fixup_f32 v20, v20, v3, v2
	v_fma_f32 v21, v2, v20, v3
	s_delay_alu instid0(VALU_DEP_1) | instskip(SKIP_1) | instid1(VALU_DEP_2)
	v_div_scale_f32 v31, null, v21, v21, 1.0
	v_div_scale_f32 v34, vcc_lo, 1.0, v21, 1.0
	v_rcp_f32_e32 v32, v31
	v_nop
	v_xor_b32_e32 v31, 0x80000000, v31
	s_delay_alu instid0(TRANS32_DEP_1) | instid1(VALU_DEP_1)
	v_fma_f32 v33, v31, v32, 1.0
	s_delay_alu instid0(VALU_DEP_1) | instskip(NEXT) | instid1(VALU_DEP_1)
	v_fmac_f32_e32 v32, v33, v32
	v_mul_f32_e32 v33, v34, v32
	s_delay_alu instid0(VALU_DEP_1) | instskip(NEXT) | instid1(VALU_DEP_1)
	v_fma_f32 v35, v31, v33, v34
	v_fmac_f32_e32 v33, v35, v32
	s_delay_alu instid0(VALU_DEP_1) | instskip(NEXT) | instid1(VALU_DEP_1)
	v_fmac_f32_e32 v34, v31, v33
	v_div_fmas_f32 v31, v34, v32, v33
	v_fma_f32 v32, v0, v20, v1
	s_delay_alu instid0(VALU_DEP_2) | instskip(NEXT) | instid1(VALU_DEP_1)
	v_div_fixup_f32 v21, v31, v21, 1.0
	v_dual_fma_f32 v31, v1, v20, -v0 :: v_dual_mul_f32 v20, v32, v21
	s_delay_alu instid0(VALU_DEP_1)
	v_mul_f32_e32 v21, v31, v21
.LBB172_94:                             ;   in Loop: Header=BB172_89 Depth=2
	s_and_not1_b32 vcc_lo, exec_lo, s51
	s_cbranch_vccnz .LBB172_96
; %bb.95:                               ;   in Loop: Header=BB172_89 Depth=2
	v_div_scale_f32 v20, null, v2, v2, v3
	v_div_scale_f32 v32, vcc_lo, v3, v2, v3
	s_delay_alu instid0(VALU_DEP_2)
	v_rcp_f32_e32 v21, v20
	v_nop
	v_xor_b32_e32 v20, 0x80000000, v20
	s_delay_alu instid0(TRANS32_DEP_1) | instid1(VALU_DEP_1)
	v_fma_f32 v31, v20, v21, 1.0
	s_delay_alu instid0(VALU_DEP_1) | instskip(NEXT) | instid1(VALU_DEP_1)
	v_fmac_f32_e32 v21, v31, v21
	v_mul_f32_e32 v31, v32, v21
	s_delay_alu instid0(VALU_DEP_1) | instskip(NEXT) | instid1(VALU_DEP_1)
	v_fma_f32 v33, v20, v31, v32
	v_fmac_f32_e32 v31, v33, v21
	s_delay_alu instid0(VALU_DEP_1) | instskip(NEXT) | instid1(VALU_DEP_1)
	v_fmac_f32_e32 v32, v20, v31
	v_div_fmas_f32 v20, v32, v21, v31
	s_delay_alu instid0(VALU_DEP_1) | instskip(NEXT) | instid1(VALU_DEP_1)
	v_div_fixup_f32 v20, v20, v2, v3
	v_fmac_f32_e32 v2, v3, v20
	s_delay_alu instid0(VALU_DEP_1) | instskip(SKIP_1) | instid1(VALU_DEP_2)
	v_div_scale_f32 v3, null, v2, v2, 1.0
	v_div_scale_f32 v32, vcc_lo, 1.0, v2, 1.0
	v_rcp_f32_e32 v21, v3
	v_nop
	v_xor_b32_e32 v3, 0x80000000, v3
	s_delay_alu instid0(TRANS32_DEP_1) | instid1(VALU_DEP_1)
	v_fma_f32 v31, v3, v21, 1.0
	s_delay_alu instid0(VALU_DEP_1) | instskip(NEXT) | instid1(VALU_DEP_1)
	v_fmac_f32_e32 v21, v31, v21
	v_mul_f32_e32 v31, v32, v21
	s_delay_alu instid0(VALU_DEP_1) | instskip(NEXT) | instid1(VALU_DEP_1)
	v_fma_f32 v33, v3, v31, v32
	v_fmac_f32_e32 v31, v33, v21
	s_delay_alu instid0(VALU_DEP_1) | instskip(NEXT) | instid1(VALU_DEP_1)
	v_fmac_f32_e32 v32, v3, v31
	v_div_fmas_f32 v3, v32, v21, v31
	v_dual_fma_f32 v21, v1, v20, v0 :: v_dual_fma_f32 v0, -v0, v20, v1
	s_delay_alu instid0(VALU_DEP_2) | instskip(NEXT) | instid1(VALU_DEP_1)
	v_div_fixup_f32 v2, v3, v2, 1.0
	v_dual_mul_f32 v20, v21, v2 :: v_dual_mul_f32 v21, v0, v2
.LBB172_96:                             ;   in Loop: Header=BB172_89 Depth=2
	s_lshl_b32 s50, s50, 3
	s_lshl_b32 s49, s49, 3
	ds_store_b64 v30, v[20:21]
	s_add_co_i32 s49, s50, s49
	s_delay_alu instid0(SALU_CYCLE_1)
	v_mov_b32_e32 v0, s49
	s_mov_b32 s49, -1
	ds_load_2addr_b64 v[0:3], v0 offset1:1
	s_wait_dscnt 0x0
	v_dual_mul_f32 v31, v21, v3 :: v_dual_mul_f32 v3, v20, v3
	v_and_b32_e32 v32, 0x7fffffff, v0
	v_and_b32_e32 v33, 0x7fffffff, v1
	s_delay_alu instid0(VALU_DEP_3) | instskip(NEXT) | instid1(VALU_DEP_4)
	v_fma_f32 v31, v20, v2, -v31
	v_fmac_f32_e32 v3, v21, v2
	s_delay_alu instid0(VALU_DEP_3) | instskip(NEXT) | instid1(VALU_DEP_3)
	v_cmp_ngt_f32_e32 vcc_lo, v32, v33
	v_sub_f32_e32 v2, v22, v31
	s_delay_alu instid0(VALU_DEP_3)
	v_sub_f32_e32 v3, v23, v3
                                        ; implicit-def: $vgpr23
	s_cbranch_vccz .LBB172_98
; %bb.97:                               ;   in Loop: Header=BB172_89 Depth=2
	v_div_scale_f32 v22, null, v1, v1, v0
	v_div_scale_f32 v31, vcc_lo, v0, v1, v0
	s_mov_b32 s49, 0
	v_rcp_f32_e32 v23, v22
	v_nop
	v_xor_b32_e32 v22, 0x80000000, v22
	s_delay_alu instid0(TRANS32_DEP_1) | instid1(VALU_DEP_1)
	v_fma_f32 v30, v22, v23, 1.0
	s_delay_alu instid0(VALU_DEP_1) | instskip(NEXT) | instid1(VALU_DEP_1)
	v_fmac_f32_e32 v23, v30, v23
	v_mul_f32_e32 v30, v31, v23
	s_delay_alu instid0(VALU_DEP_1) | instskip(NEXT) | instid1(VALU_DEP_1)
	v_fma_f32 v32, v22, v30, v31
	v_fmac_f32_e32 v30, v32, v23
	s_delay_alu instid0(VALU_DEP_1) | instskip(NEXT) | instid1(VALU_DEP_1)
	v_fmac_f32_e32 v31, v22, v30
	v_div_fmas_f32 v22, v31, v23, v30
	s_delay_alu instid0(VALU_DEP_1) | instskip(NEXT) | instid1(VALU_DEP_1)
	v_div_fixup_f32 v22, v22, v1, v0
	v_fma_f32 v23, v0, v22, v1
	s_delay_alu instid0(VALU_DEP_1) | instskip(SKIP_1) | instid1(VALU_DEP_2)
	v_div_scale_f32 v30, null, v23, v23, 1.0
	v_div_scale_f32 v33, vcc_lo, 1.0, v23, 1.0
	v_rcp_f32_e32 v31, v30
	v_nop
	v_xor_b32_e32 v30, 0x80000000, v30
	s_delay_alu instid0(TRANS32_DEP_1) | instid1(VALU_DEP_1)
	v_fma_f32 v32, v30, v31, 1.0
	s_delay_alu instid0(VALU_DEP_1) | instskip(NEXT) | instid1(VALU_DEP_1)
	v_fmac_f32_e32 v31, v32, v31
	v_mul_f32_e32 v32, v33, v31
	s_delay_alu instid0(VALU_DEP_1) | instskip(NEXT) | instid1(VALU_DEP_1)
	v_fma_f32 v34, v30, v32, v33
	v_fmac_f32_e32 v32, v34, v31
	s_delay_alu instid0(VALU_DEP_1) | instskip(NEXT) | instid1(VALU_DEP_1)
	v_fmac_f32_e32 v33, v30, v32
	v_div_fmas_f32 v30, v33, v31, v32
	v_fma_f32 v31, v22, v2, v3
	s_delay_alu instid0(VALU_DEP_2) | instskip(SKIP_1) | instid1(VALU_DEP_1)
	v_div_fixup_f32 v23, v30, v23, 1.0
	v_fma_f32 v30, v22, v3, -v2
	v_dual_mul_f32 v22, v31, v23 :: v_dual_mul_f32 v23, v30, v23
.LBB172_98:                             ;   in Loop: Header=BB172_89 Depth=2
	s_and_not1_b32 vcc_lo, exec_lo, s49
	s_cbranch_vccnz .LBB172_100
; %bb.99:                               ;   in Loop: Header=BB172_89 Depth=2
	v_div_scale_f32 v22, null, v0, v0, v1
	v_div_scale_f32 v31, vcc_lo, v1, v0, v1
	s_delay_alu instid0(VALU_DEP_2)
	v_rcp_f32_e32 v23, v22
	v_nop
	v_xor_b32_e32 v22, 0x80000000, v22
	s_delay_alu instid0(TRANS32_DEP_1) | instid1(VALU_DEP_1)
	v_fma_f32 v30, v22, v23, 1.0
	s_delay_alu instid0(VALU_DEP_1) | instskip(NEXT) | instid1(VALU_DEP_1)
	v_fmac_f32_e32 v23, v30, v23
	v_mul_f32_e32 v30, v31, v23
	s_delay_alu instid0(VALU_DEP_1) | instskip(NEXT) | instid1(VALU_DEP_1)
	v_fma_f32 v32, v22, v30, v31
	v_fmac_f32_e32 v30, v32, v23
	s_delay_alu instid0(VALU_DEP_1) | instskip(NEXT) | instid1(VALU_DEP_1)
	v_fmac_f32_e32 v31, v22, v30
	v_div_fmas_f32 v22, v31, v23, v30
	s_delay_alu instid0(VALU_DEP_1) | instskip(NEXT) | instid1(VALU_DEP_1)
	v_div_fixup_f32 v22, v22, v0, v1
	v_fmac_f32_e32 v0, v1, v22
	s_delay_alu instid0(VALU_DEP_1) | instskip(SKIP_1) | instid1(VALU_DEP_2)
	v_div_scale_f32 v1, null, v0, v0, 1.0
	v_div_scale_f32 v31, vcc_lo, 1.0, v0, 1.0
	v_rcp_f32_e32 v23, v1
	v_nop
	v_xor_b32_e32 v1, 0x80000000, v1
	s_delay_alu instid0(TRANS32_DEP_1) | instid1(VALU_DEP_1)
	v_fma_f32 v30, v1, v23, 1.0
	s_delay_alu instid0(VALU_DEP_1) | instskip(NEXT) | instid1(VALU_DEP_1)
	v_fmac_f32_e32 v23, v30, v23
	v_mul_f32_e32 v30, v31, v23
	s_delay_alu instid0(VALU_DEP_1) | instskip(NEXT) | instid1(VALU_DEP_1)
	v_fma_f32 v32, v1, v30, v31
	v_fmac_f32_e32 v30, v32, v23
	s_delay_alu instid0(VALU_DEP_1) | instskip(NEXT) | instid1(VALU_DEP_1)
	v_fmac_f32_e32 v31, v1, v30
	v_div_fmas_f32 v1, v31, v23, v30
	v_fma_f32 v23, v22, v3, v2
	s_delay_alu instid0(VALU_DEP_2) | instskip(NEXT) | instid1(VALU_DEP_1)
	v_div_fixup_f32 v0, v1, v0, 1.0
	v_dual_fma_f32 v1, -v22, v2, v3 :: v_dual_mul_f32 v22, v23, v0
	s_delay_alu instid0(VALU_DEP_1)
	v_mul_f32_e32 v23, v1, v0
.LBB172_100:                            ;   in Loop: Header=BB172_89 Depth=2
	s_lshl_b32 s49, s35, 3
	s_lshl_b32 s35, s18, 3
	;; [unrolled: 1-line block ×3, first 2 shown]
	s_add_co_i32 s50, s49, s35
	s_add_co_i32 s34, s49, s34
	v_dual_mov_b32 v0, s50 :: v_dual_mov_b32 v32, v21
	ds_store_b64 v29, v[22:23]
	v_mov_b32_e32 v34, v23
	ds_load_b64 v[30:31], v0
	v_mov_b32_e32 v0, s34
	s_mov_b32 s34, -1
	ds_load_2addr_b64 v[0:3], v0 offset1:1
	s_wait_dscnt 0x1
	v_pk_mul_f32 v[32:33], v[32:33], v[30:31] op_sel_hi:[0,1]
	s_delay_alu instid0(VALU_DEP_1) | instskip(SKIP_4) | instid1(VALU_DEP_3)
	v_pk_fma_f32 v[36:37], v[20:21], v[30:31], v[32:33] op_sel:[0,0,1] op_sel_hi:[0,1,0]
	s_wait_dscnt 0x0
	v_pk_mul_f32 v[34:35], v[34:35], v[2:3] op_sel_hi:[0,1]
	v_pk_fma_f32 v[30:31], v[20:21], v[30:31], v[32:33] op_sel:[0,0,1] op_sel_hi:[1,1,0] neg_lo:[0,0,1] neg_hi:[0,0,1]
	v_and_b32_e32 v36, 0x7fffffff, v1
	v_pk_fma_f32 v[32:33], v[22:23], v[2:3], v[34:35] op_sel:[0,0,1] op_sel_hi:[0,1,0]
	v_mov_b32_e32 v31, v37
	v_and_b32_e32 v32, 0x7fffffff, v0
	v_pk_fma_f32 v[2:3], v[22:23], v[2:3], v[34:35] op_sel:[0,0,1] op_sel_hi:[1,1,0] neg_lo:[0,0,1] neg_hi:[0,0,1]
	s_delay_alu instid0(VALU_DEP_4) | instskip(NEXT) | instid1(VALU_DEP_4)
	v_mov_b32_e32 v3, v33
	v_pk_add_f32 v[18:19], v[18:19], v[30:31] neg_lo:[0,1] neg_hi:[0,1]
	s_delay_alu instid0(VALU_DEP_4) | instskip(NEXT) | instid1(VALU_DEP_2)
	v_cmp_ngt_f32_e32 vcc_lo, v32, v36
	v_pk_add_f32 v[2:3], v[18:19], v[2:3] neg_lo:[0,1] neg_hi:[0,1]
                                        ; implicit-def: $vgpr18_vgpr19
	s_cbranch_vccz .LBB172_102
; %bb.101:                              ;   in Loop: Header=BB172_89 Depth=2
	v_div_scale_f32 v18, null, v1, v1, v0
	v_div_scale_f32 v30, vcc_lo, v0, v1, v0
	s_mov_b32 s34, 0
	v_rcp_f32_e32 v19, v18
	v_nop
	v_xor_b32_e32 v18, 0x80000000, v18
	s_delay_alu instid0(TRANS32_DEP_1) | instid1(VALU_DEP_1)
	v_fma_f32 v29, v18, v19, 1.0
	s_delay_alu instid0(VALU_DEP_1) | instskip(NEXT) | instid1(VALU_DEP_1)
	v_fmac_f32_e32 v19, v29, v19
	v_mul_f32_e32 v29, v30, v19
	s_delay_alu instid0(VALU_DEP_1) | instskip(NEXT) | instid1(VALU_DEP_1)
	v_fma_f32 v31, v18, v29, v30
	v_fmac_f32_e32 v29, v31, v19
	s_delay_alu instid0(VALU_DEP_1) | instskip(NEXT) | instid1(VALU_DEP_1)
	v_fmac_f32_e32 v30, v18, v29
	v_div_fmas_f32 v18, v30, v19, v29
	s_delay_alu instid0(VALU_DEP_1) | instskip(NEXT) | instid1(VALU_DEP_1)
	v_div_fixup_f32 v18, v18, v1, v0
	v_fma_f32 v19, v0, v18, v1
	s_delay_alu instid0(VALU_DEP_1) | instskip(SKIP_1) | instid1(VALU_DEP_2)
	v_div_scale_f32 v29, null, v19, v19, 1.0
	v_div_scale_f32 v32, vcc_lo, 1.0, v19, 1.0
	v_rcp_f32_e32 v31, v29
	v_nop
	v_xor_b32_e32 v29, 0x80000000, v29
	s_delay_alu instid0(TRANS32_DEP_1) | instid1(VALU_DEP_1)
	v_fma_f32 v30, v29, v31, 1.0
	s_delay_alu instid0(VALU_DEP_1) | instskip(NEXT) | instid1(VALU_DEP_1)
	v_fmac_f32_e32 v31, v30, v31
	v_mul_f32_e32 v33, v32, v31
	s_delay_alu instid0(VALU_DEP_1) | instskip(NEXT) | instid1(VALU_DEP_1)
	v_fma_f32 v30, v29, v33, v32
	v_dual_fmac_f32 v33, v30, v31 :: v_dual_mov_b32 v30, v3
	s_delay_alu instid0(VALU_DEP_1) | instskip(NEXT) | instid1(VALU_DEP_1)
	v_fmac_f32_e32 v32, v29, v33
	v_div_fmas_f32 v29, v32, v31, v33
	s_delay_alu instid0(VALU_DEP_3) | instskip(NEXT) | instid1(VALU_DEP_2)
	v_pk_fma_f32 v[30:31], v[18:19], v[2:3], v[30:31]
	v_div_fixup_f32 v31, v29, v19, 1.0
	s_delay_alu instid0(VALU_DEP_1) | instskip(NEXT) | instid1(VALU_DEP_1)
	v_dual_fma_f32 v19, v18, v3, -v2 :: v_dual_mov_b32 v18, v31
	v_pk_mul_f32 v[18:19], v[30:31], v[18:19]
.LBB172_102:                            ;   in Loop: Header=BB172_89 Depth=2
	s_and_not1_b32 vcc_lo, exec_lo, s34
	s_cbranch_vccnz .LBB172_104
; %bb.103:                              ;   in Loop: Header=BB172_89 Depth=2
	v_div_scale_f32 v18, null, v0, v0, v1
	v_div_scale_f32 v30, vcc_lo, v1, v0, v1
	s_delay_alu instid0(VALU_DEP_2)
	v_rcp_f32_e32 v19, v18
	v_nop
	v_xor_b32_e32 v18, 0x80000000, v18
	s_delay_alu instid0(TRANS32_DEP_1) | instid1(VALU_DEP_1)
	v_fma_f32 v29, v18, v19, 1.0
	s_delay_alu instid0(VALU_DEP_1) | instskip(NEXT) | instid1(VALU_DEP_1)
	v_fmac_f32_e32 v19, v29, v19
	v_mul_f32_e32 v29, v30, v19
	s_delay_alu instid0(VALU_DEP_1) | instskip(NEXT) | instid1(VALU_DEP_1)
	v_fma_f32 v31, v18, v29, v30
	v_fmac_f32_e32 v29, v31, v19
	s_delay_alu instid0(VALU_DEP_1) | instskip(NEXT) | instid1(VALU_DEP_1)
	v_fmac_f32_e32 v30, v18, v29
	v_div_fmas_f32 v18, v30, v19, v29
	s_delay_alu instid0(VALU_DEP_1) | instskip(NEXT) | instid1(VALU_DEP_1)
	v_div_fixup_f32 v18, v18, v0, v1
	v_fmac_f32_e32 v0, v1, v18
	s_delay_alu instid0(VALU_DEP_1) | instskip(SKIP_1) | instid1(VALU_DEP_2)
	v_div_scale_f32 v1, null, v0, v0, 1.0
	v_div_scale_f32 v30, vcc_lo, 1.0, v0, 1.0
	v_rcp_f32_e32 v19, v1
	v_nop
	v_xor_b32_e32 v1, 0x80000000, v1
	s_delay_alu instid0(TRANS32_DEP_1) | instid1(VALU_DEP_1)
	v_fma_f32 v29, v1, v19, 1.0
	s_delay_alu instid0(VALU_DEP_1) | instskip(NEXT) | instid1(VALU_DEP_1)
	v_fmac_f32_e32 v19, v29, v19
	v_mul_f32_e32 v29, v30, v19
	s_delay_alu instid0(VALU_DEP_1) | instskip(NEXT) | instid1(VALU_DEP_1)
	v_fma_f32 v31, v1, v29, v30
	v_fmac_f32_e32 v29, v31, v19
	s_delay_alu instid0(VALU_DEP_1) | instskip(NEXT) | instid1(VALU_DEP_1)
	v_fmac_f32_e32 v30, v1, v29
	v_div_fmas_f32 v1, v30, v19, v29
	v_pk_fma_f32 v[30:31], v[18:19], v[2:3], v[2:3] op_sel:[0,1,0] op_sel_hi:[0,0,1] neg_lo:[1,0,0] neg_hi:[1,0,0]
	v_pk_fma_f32 v[2:3], v[18:19], v[2:3], v[2:3] op_sel:[0,1,0] op_sel_hi:[1,0,1]
	s_delay_alu instid0(VALU_DEP_3) | instskip(NEXT) | instid1(VALU_DEP_3)
	v_div_fixup_f32 v0, v1, v0, 1.0
	v_mov_b32_e32 v3, v31
	s_delay_alu instid0(VALU_DEP_1)
	v_pk_mul_f32 v[18:19], v[2:3], v[0:1] op_sel_hi:[1,0]
.LBB172_104:                            ;   in Loop: Header=BB172_89 Depth=2
	s_lshl_b32 s31, s31, 3
	s_lshl_b32 s30, s30, 3
	s_add_co_i32 s34, s31, s35
	s_add_co_i32 s30, s31, s30
	s_add_co_i32 s34, s34, -8
	v_dual_mov_b32 v34, v21 :: v_dual_mov_b32 v35, v21
	v_dual_mov_b32 v0, s34 :: v_dual_mov_b32 v1, s30
	;; [unrolled: 1-line block ×3, first 2 shown]
	ds_load_2addr_b64 v[30:33], v0 offset1:1
	ds_load_2addr_b64 v[0:3], v1 offset1:1
	v_dual_mov_b32 v21, v20 :: v_dual_mov_b32 v23, v22
	s_mov_b32 s30, -1
	ds_store_b64 v28, v[18:19]
	s_wait_dscnt 0x2
	v_pk_mul_f32 v[34:35], v[34:35], v[32:33]
	v_pk_mul_f32 v[36:37], v[36:37], v[30:31]
	s_wait_dscnt 0x1
	v_dual_mov_b32 v38, v3 :: v_dual_mov_b32 v39, v2
	v_and_b32_e32 v29, 0x7fffffff, v1
	v_pk_fma_f32 v[40:41], v[20:21], v[32:33], v[34:35] op_sel:[0,0,1] op_sel_hi:[1,1,0]
	v_pk_fma_f32 v[20:21], v[20:21], v[32:33], v[34:35] op_sel:[0,0,1] op_sel_hi:[1,1,0] neg_lo:[0,0,1] neg_hi:[0,0,1]
	v_pk_fma_f32 v[32:33], v[22:23], v[30:31], v[36:37] op_sel:[0,0,1] op_sel_hi:[1,1,0]
	v_pk_mul_f32 v[34:35], v[18:19], v[38:39] op_sel:[1,0]
	v_pk_fma_f32 v[22:23], v[22:23], v[30:31], v[36:37] op_sel:[0,0,1] op_sel_hi:[1,1,0] neg_lo:[0,0,1] neg_hi:[0,0,1]
	s_delay_alu instid0(VALU_DEP_3) | instskip(NEXT) | instid1(VALU_DEP_1)
	v_dual_mov_b32 v21, v41 :: v_dual_mov_b32 v23, v33
	v_pk_add_f32 v[16:17], v[16:17], v[20:21] neg_lo:[0,1] neg_hi:[0,1]
	s_delay_alu instid0(VALU_DEP_4) | instskip(SKIP_2) | instid1(VALU_DEP_4)
	v_pk_fma_f32 v[20:21], v[18:19], v[2:3], v[34:35] op_sel_hi:[0,1,1]
	v_and_b32_e32 v20, 0x7fffffff, v0
	v_pk_fma_f32 v[2:3], v[18:19], v[2:3], v[34:35] neg_lo:[0,0,1] neg_hi:[0,0,1]
	v_pk_add_f32 v[16:17], v[16:17], v[22:23] neg_lo:[0,1] neg_hi:[0,1]
	s_delay_alu instid0(VALU_DEP_4) | instskip(NEXT) | instid1(VALU_DEP_4)
	v_mov_b32_e32 v3, v21
	v_cmp_ngt_f32_e32 vcc_lo, v20, v29
	s_delay_alu instid0(VALU_DEP_2)
	v_pk_add_f32 v[2:3], v[16:17], v[2:3] neg_lo:[0,1] neg_hi:[0,1]
                                        ; implicit-def: $vgpr16_vgpr17
	s_cbranch_vccz .LBB172_106
; %bb.105:                              ;   in Loop: Header=BB172_89 Depth=2
	v_div_scale_f32 v16, null, v1, v1, v0
	v_div_scale_f32 v19, vcc_lo, v0, v1, v0
	s_mov_b32 s30, 0
	v_rcp_f32_e32 v17, v16
	v_nop
	v_xor_b32_e32 v16, 0x80000000, v16
	s_delay_alu instid0(TRANS32_DEP_1) | instid1(VALU_DEP_1)
	v_fma_f32 v18, v16, v17, 1.0
	s_delay_alu instid0(VALU_DEP_1) | instskip(NEXT) | instid1(VALU_DEP_1)
	v_fmac_f32_e32 v17, v18, v17
	v_mul_f32_e32 v18, v19, v17
	s_delay_alu instid0(VALU_DEP_1) | instskip(NEXT) | instid1(VALU_DEP_1)
	v_fma_f32 v20, v16, v18, v19
	v_fmac_f32_e32 v18, v20, v17
	s_delay_alu instid0(VALU_DEP_1) | instskip(NEXT) | instid1(VALU_DEP_1)
	v_fmac_f32_e32 v19, v16, v18
	v_div_fmas_f32 v16, v19, v17, v18
	s_delay_alu instid0(VALU_DEP_1) | instskip(NEXT) | instid1(VALU_DEP_1)
	v_div_fixup_f32 v16, v16, v1, v0
	v_fma_f32 v17, v0, v16, v1
	s_delay_alu instid0(VALU_DEP_1) | instskip(NEXT) | instid1(VALU_DEP_1)
	v_div_scale_f32 v18, null, v17, v17, 1.0
	v_rcp_f32_e32 v19, v18
	v_nop
	v_xor_b32_e32 v18, 0x80000000, v18
	s_delay_alu instid0(TRANS32_DEP_1) | instid1(VALU_DEP_1)
	v_fma_f32 v20, v18, v19, 1.0
	s_delay_alu instid0(VALU_DEP_1) | instskip(SKIP_1) | instid1(VALU_DEP_1)
	v_fmac_f32_e32 v19, v20, v19
	v_div_scale_f32 v20, vcc_lo, 1.0, v17, 1.0
	v_mul_f32_e32 v21, v20, v19
	s_delay_alu instid0(VALU_DEP_1) | instskip(NEXT) | instid1(VALU_DEP_1)
	v_fma_f32 v22, v18, v21, v20
	v_fmac_f32_e32 v21, v22, v19
	s_delay_alu instid0(VALU_DEP_1) | instskip(NEXT) | instid1(VALU_DEP_1)
	v_dual_fmac_f32 v20, v18, v21 :: v_dual_mov_b32 v18, v3
	v_div_fmas_f32 v20, v20, v19, v21
	s_delay_alu instid0(VALU_DEP_2) | instskip(NEXT) | instid1(VALU_DEP_2)
	v_pk_fma_f32 v[18:19], v[16:17], v[2:3], v[18:19]
	v_div_fixup_f32 v19, v20, v17, 1.0
	s_delay_alu instid0(VALU_DEP_1) | instskip(NEXT) | instid1(VALU_DEP_1)
	v_dual_fma_f32 v17, v16, v3, -v2 :: v_dual_mov_b32 v16, v19
	v_pk_mul_f32 v[16:17], v[18:19], v[16:17]
.LBB172_106:                            ;   in Loop: Header=BB172_89 Depth=2
	s_and_not1_b32 vcc_lo, exec_lo, s30
	s_cbranch_vccnz .LBB172_108
; %bb.107:                              ;   in Loop: Header=BB172_89 Depth=2
	v_div_scale_f32 v16, null, v0, v0, v1
	v_div_scale_f32 v19, vcc_lo, v1, v0, v1
	s_delay_alu instid0(VALU_DEP_2)
	v_rcp_f32_e32 v17, v16
	v_nop
	v_xor_b32_e32 v16, 0x80000000, v16
	s_delay_alu instid0(TRANS32_DEP_1) | instid1(VALU_DEP_1)
	v_fma_f32 v18, v16, v17, 1.0
	s_delay_alu instid0(VALU_DEP_1) | instskip(NEXT) | instid1(VALU_DEP_1)
	v_fmac_f32_e32 v17, v18, v17
	v_mul_f32_e32 v18, v19, v17
	s_delay_alu instid0(VALU_DEP_1) | instskip(NEXT) | instid1(VALU_DEP_1)
	v_fma_f32 v20, v16, v18, v19
	v_fmac_f32_e32 v18, v20, v17
	s_delay_alu instid0(VALU_DEP_1) | instskip(NEXT) | instid1(VALU_DEP_1)
	v_fmac_f32_e32 v19, v16, v18
	v_div_fmas_f32 v16, v19, v17, v18
	s_delay_alu instid0(VALU_DEP_1) | instskip(NEXT) | instid1(VALU_DEP_1)
	v_div_fixup_f32 v16, v16, v0, v1
	v_fmac_f32_e32 v0, v1, v16
	s_delay_alu instid0(VALU_DEP_1) | instskip(SKIP_1) | instid1(VALU_DEP_2)
	v_div_scale_f32 v1, null, v0, v0, 1.0
	v_div_scale_f32 v19, vcc_lo, 1.0, v0, 1.0
	v_rcp_f32_e32 v17, v1
	v_nop
	v_xor_b32_e32 v1, 0x80000000, v1
	s_delay_alu instid0(TRANS32_DEP_1) | instid1(VALU_DEP_1)
	v_fma_f32 v18, v1, v17, 1.0
	s_delay_alu instid0(VALU_DEP_1) | instskip(NEXT) | instid1(VALU_DEP_1)
	v_fmac_f32_e32 v17, v18, v17
	v_mul_f32_e32 v18, v19, v17
	s_delay_alu instid0(VALU_DEP_1) | instskip(NEXT) | instid1(VALU_DEP_1)
	v_fma_f32 v20, v1, v18, v19
	v_fmac_f32_e32 v18, v20, v17
	s_delay_alu instid0(VALU_DEP_1) | instskip(NEXT) | instid1(VALU_DEP_1)
	v_fmac_f32_e32 v19, v1, v18
	v_div_fmas_f32 v1, v19, v17, v18
	v_pk_fma_f32 v[18:19], v[16:17], v[2:3], v[2:3] op_sel:[0,1,0] op_sel_hi:[0,0,1] neg_lo:[1,0,0] neg_hi:[1,0,0]
	v_pk_fma_f32 v[2:3], v[16:17], v[2:3], v[2:3] op_sel:[0,1,0] op_sel_hi:[1,0,1]
	s_delay_alu instid0(VALU_DEP_3) | instskip(NEXT) | instid1(VALU_DEP_3)
	v_div_fixup_f32 v0, v1, v0, 1.0
	v_mov_b32_e32 v3, v19
	s_delay_alu instid0(VALU_DEP_1)
	v_pk_mul_f32 v[16:17], v[2:3], v[0:1] op_sel_hi:[1,0]
.LBB172_108:                            ;   in Loop: Header=BB172_89 Depth=2
	s_add_co_i32 s30, s18, -4
	s_addk_co_i32 s3, 0xfc00
	s_cmp_lt_i32 s18, 7
	ds_store_b64 v27, v[16:17]
	s_cbranch_scc1 .LBB172_110
; %bb.109:                              ;   in Loop: Header=BB172_89 Depth=2
	s_mov_b32 s18, s30
	s_branch .LBB172_89
.LBB172_110:                            ;   in Loop: Header=BB172_3 Depth=1
	s_cmp_lt_i32 s30, 0
	s_cbranch_scc1 .LBB172_119
; %bb.111:                              ;   in Loop: Header=BB172_3 Depth=1
	s_lshl_b32 s3, s30, 8
	s_delay_alu instid0(SALU_CYCLE_1)
	s_add_co_i32 s3, s48, s3
	s_branch .LBB172_113
.LBB172_112:                            ;   in Loop: Header=BB172_113 Depth=2
	v_sub_co_u32 v0, s18, s30, 1
	s_and_b32 vcc_lo, exec_lo, s18
	s_addk_co_i32 s3, 0xff00
	ds_store_b64 v18, v[16:17]
	v_readfirstlane_b32 s30, v0
	s_cbranch_vccnz .LBB172_119
.LBB172_113:                            ;   Parent Loop BB172_3 Depth=1
                                        ; =>  This Loop Header: Depth=2
                                        ;       Child Loop BB172_114 Depth 3
	v_lshl_add_u32 v18, s30, 8, v24
	v_mov_b32_e32 v2, v5
	s_cmp_le_i32 s38, s30
	s_mov_b32 s18, s3
	s_mov_b32 s31, s38
	ds_load_b64 v[0:1], v18
	s_cbranch_scc1 .LBB172_115
.LBB172_114:                            ;   Parent Loop BB172_3 Depth=1
                                        ;     Parent Loop BB172_113 Depth=2
                                        ; =>    This Inner Loop Header: Depth=3
	v_mov_b32_e32 v3, s18
	s_add_co_i32 s31, s31, -1
	s_add_co_i32 s18, s18, -8
	s_cmp_le_u32 s31, s30
	ds_load_b64 v[16:17], v2
	ds_load_b64 v[20:21], v3
	v_add_nc_u32_e32 v2, 0xffffff00, v2
	s_wait_dscnt 0x0
	v_pk_mul_f32 v[22:23], v[20:21], v[16:17] op_sel:[1,1] op_sel_hi:[0,1]
	s_delay_alu instid0(VALU_DEP_1) | instskip(SKIP_1) | instid1(VALU_DEP_2)
	v_pk_fma_f32 v[28:29], v[20:21], v[16:17], v[22:23] op_sel_hi:[1,0,1]
	v_pk_fma_f32 v[16:17], v[20:21], v[16:17], v[22:23] op_sel_hi:[1,0,1] neg_lo:[0,0,1] neg_hi:[0,0,1]
	v_mov_b32_e32 v17, v29
	s_delay_alu instid0(VALU_DEP_1)
	v_pk_add_f32 v[0:1], v[0:1], v[16:17] neg_lo:[0,1] neg_hi:[0,1]
	s_cbranch_scc0 .LBB172_114
.LBB172_115:                            ;   in Loop: Header=BB172_113 Depth=2
	s_mul_i32 s18, s30, 0x108
	s_delay_alu instid0(SALU_CYCLE_1)
	v_mov_b32_e32 v2, s18
	s_mov_b32 s18, -1
	ds_load_b64 v[2:3], v2
	s_wait_dscnt 0x0
	v_and_b32_e32 v16, 0x7fffffff, v2
	v_and_b32_e32 v17, 0x7fffffff, v3
	s_delay_alu instid0(VALU_DEP_1)
	v_cmp_ngt_f32_e32 vcc_lo, v16, v17
                                        ; implicit-def: $vgpr16_vgpr17
	s_cbranch_vccz .LBB172_117
; %bb.116:                              ;   in Loop: Header=BB172_113 Depth=2
	v_div_scale_f32 v16, null, v3, v3, v2
	v_div_scale_f32 v20, vcc_lo, v2, v3, v2
	s_mov_b32 s18, 0
	v_rcp_f32_e32 v17, v16
	v_nop
	v_xor_b32_e32 v16, 0x80000000, v16
	s_delay_alu instid0(TRANS32_DEP_1) | instid1(VALU_DEP_1)
	v_fma_f32 v19, v16, v17, 1.0
	s_delay_alu instid0(VALU_DEP_1) | instskip(NEXT) | instid1(VALU_DEP_1)
	v_fmac_f32_e32 v17, v19, v17
	v_mul_f32_e32 v19, v20, v17
	s_delay_alu instid0(VALU_DEP_1) | instskip(NEXT) | instid1(VALU_DEP_1)
	v_fma_f32 v21, v16, v19, v20
	v_fmac_f32_e32 v19, v21, v17
	s_delay_alu instid0(VALU_DEP_1) | instskip(NEXT) | instid1(VALU_DEP_1)
	v_fmac_f32_e32 v20, v16, v19
	v_div_fmas_f32 v16, v20, v17, v19
	s_delay_alu instid0(VALU_DEP_1) | instskip(NEXT) | instid1(VALU_DEP_1)
	v_div_fixup_f32 v16, v16, v3, v2
	v_fma_f32 v19, v2, v16, v3
	s_delay_alu instid0(VALU_DEP_1) | instskip(SKIP_1) | instid1(VALU_DEP_2)
	v_div_scale_f32 v17, null, v19, v19, 1.0
	v_div_scale_f32 v22, vcc_lo, 1.0, v19, 1.0
	v_rcp_f32_e32 v20, v17
	v_nop
	v_xor_b32_e32 v17, 0x80000000, v17
	s_delay_alu instid0(TRANS32_DEP_1) | instid1(VALU_DEP_1)
	v_fma_f32 v21, v17, v20, 1.0
	s_delay_alu instid0(VALU_DEP_1) | instskip(NEXT) | instid1(VALU_DEP_1)
	v_fmac_f32_e32 v20, v21, v20
	v_mul_f32_e32 v21, v22, v20
	s_delay_alu instid0(VALU_DEP_1) | instskip(NEXT) | instid1(VALU_DEP_1)
	v_fma_f32 v23, v17, v21, v22
	v_fmac_f32_e32 v21, v23, v20
	s_delay_alu instid0(VALU_DEP_1) | instskip(NEXT) | instid1(VALU_DEP_1)
	v_fmac_f32_e32 v22, v17, v21
	v_div_fmas_f32 v22, v22, v20, v21
	v_pk_fma_f32 v[20:21], v[0:1], v[16:17], v[0:1] op_sel:[0,0,1] op_sel_hi:[1,0,0] neg_lo:[0,0,1] neg_hi:[0,0,1]
	v_pk_fma_f32 v[16:17], v[0:1], v[16:17], v[0:1] op_sel:[0,0,1] op_sel_hi:[1,0,0]
	s_delay_alu instid0(VALU_DEP_3) | instskip(NEXT) | instid1(VALU_DEP_3)
	v_div_fixup_f32 v20, v22, v19, 1.0
	v_mov_b32_e32 v17, v21
	s_delay_alu instid0(VALU_DEP_1)
	v_pk_mul_f32 v[16:17], v[16:17], v[20:21] op_sel_hi:[1,0]
.LBB172_117:                            ;   in Loop: Header=BB172_113 Depth=2
	s_and_not1_b32 vcc_lo, exec_lo, s18
	s_cbranch_vccnz .LBB172_112
; %bb.118:                              ;   in Loop: Header=BB172_113 Depth=2
	v_div_scale_f32 v16, null, v2, v2, v3
	v_div_scale_f32 v20, vcc_lo, v3, v2, v3
	s_delay_alu instid0(VALU_DEP_2)
	v_rcp_f32_e32 v17, v16
	v_nop
	v_xor_b32_e32 v16, 0x80000000, v16
	s_delay_alu instid0(TRANS32_DEP_1) | instid1(VALU_DEP_1)
	v_fma_f32 v19, v16, v17, 1.0
	s_delay_alu instid0(VALU_DEP_1) | instskip(NEXT) | instid1(VALU_DEP_1)
	v_fmac_f32_e32 v17, v19, v17
	v_mul_f32_e32 v19, v20, v17
	s_delay_alu instid0(VALU_DEP_1) | instskip(NEXT) | instid1(VALU_DEP_1)
	v_fma_f32 v21, v16, v19, v20
	v_fmac_f32_e32 v19, v21, v17
	s_delay_alu instid0(VALU_DEP_1) | instskip(NEXT) | instid1(VALU_DEP_1)
	v_fmac_f32_e32 v20, v16, v19
	v_div_fmas_f32 v16, v20, v17, v19
	s_delay_alu instid0(VALU_DEP_1) | instskip(NEXT) | instid1(VALU_DEP_1)
	v_div_fixup_f32 v16, v16, v2, v3
	v_fmac_f32_e32 v2, v3, v16
	s_delay_alu instid0(VALU_DEP_1) | instskip(SKIP_1) | instid1(VALU_DEP_2)
	v_div_scale_f32 v3, null, v2, v2, 1.0
	v_div_scale_f32 v20, vcc_lo, 1.0, v2, 1.0
	v_rcp_f32_e32 v17, v3
	v_nop
	v_xor_b32_e32 v3, 0x80000000, v3
	s_delay_alu instid0(TRANS32_DEP_1) | instid1(VALU_DEP_1)
	v_fma_f32 v19, v3, v17, 1.0
	s_delay_alu instid0(VALU_DEP_1) | instskip(NEXT) | instid1(VALU_DEP_1)
	v_fmac_f32_e32 v17, v19, v17
	v_mul_f32_e32 v19, v20, v17
	s_delay_alu instid0(VALU_DEP_1) | instskip(NEXT) | instid1(VALU_DEP_1)
	v_fma_f32 v21, v3, v19, v20
	v_fmac_f32_e32 v19, v21, v17
	s_delay_alu instid0(VALU_DEP_1) | instskip(NEXT) | instid1(VALU_DEP_1)
	v_fmac_f32_e32 v20, v3, v19
	v_div_fmas_f32 v3, v20, v17, v19
	v_pk_fma_f32 v[20:21], v[0:1], v[16:17], v[0:1] op_sel:[1,0,0] op_sel_hi:[0,0,1] neg_lo:[1,0,0] neg_hi:[1,0,0]
	v_pk_fma_f32 v[0:1], v[0:1], v[16:17], v[0:1] op_sel:[1,0,0] op_sel_hi:[0,0,1]
	s_delay_alu instid0(VALU_DEP_3) | instskip(NEXT) | instid1(VALU_DEP_3)
	v_div_fixup_f32 v2, v3, v2, 1.0
	v_mov_b32_e32 v1, v21
	s_delay_alu instid0(VALU_DEP_1)
	v_pk_mul_f32 v[16:17], v[0:1], v[2:3] op_sel_hi:[1,0]
	s_branch .LBB172_112
.LBB172_119:                            ;   in Loop: Header=BB172_3 Depth=1
	s_mov_b32 s3, 0
.LBB172_120:                            ;   in Loop: Header=BB172_3 Depth=1
	s_delay_alu instid0(SALU_CYCLE_1)
	s_and_not1_b32 vcc_lo, exec_lo, s3
	s_cbranch_vccnz .LBB172_152
; %bb.121:                              ;   in Loop: Header=BB172_3 Depth=1
	s_and_not1_b32 vcc_lo, exec_lo, s42
	s_mov_b32 s30, 0
	s_cbranch_vccnz .LBB172_143
; %bb.122:                              ;   in Loop: Header=BB172_3 Depth=1
	s_mov_b32 s3, 0
	s_mov_b32 s18, 0
.LBB172_123:                            ;   Parent Loop BB172_3 Depth=1
                                        ; =>  This Loop Header: Depth=2
                                        ;       Child Loop BB172_124 Depth 3
	s_delay_alu instid0(SALU_CYCLE_1)
	s_or_b32 s34, s18, 1
	v_lshl_add_u32 v30, s18, 8, v24
	s_or_b32 s31, s18, 2
	s_or_b32 s30, s18, 3
	v_lshl_add_u32 v29, s34, 8, v24
	v_lshl_add_u32 v28, s31, 8, v24
	v_lshl_add_u32 v27, s30, 8, v24
	ds_load_b64 v[0:1], v30
	ds_load_b64 v[22:23], v29
	;; [unrolled: 1-line block ×4, first 2 shown]
	v_mov_b32_e32 v2, v24
	s_cmp_eq_u32 s18, 0
	s_mov_b32 s35, s3
	s_mov_b32 s49, s18
	s_cbranch_scc1 .LBB172_125
.LBB172_124:                            ;   Parent Loop BB172_3 Depth=1
                                        ;     Parent Loop BB172_123 Depth=2
                                        ; =>    This Inner Loop Header: Depth=3
	v_mov_b32_e32 v3, s35
	s_add_co_i32 s49, s49, -1
	s_add_co_i32 s35, s35, 8
	s_cmp_eq_u32 s49, 0
	ds_load_b64 v[20:21], v2
	ds_load_2addr_b64 v[32:35], v3 offset0:64 offset1:96
	ds_load_2addr_b64 v[36:39], v3 offset1:32
	v_add_nc_u32_e32 v2, 0x100, v2
	s_wait_dscnt 0x1
	v_pk_mul_f32 v[40:41], v[32:33], v[20:21] op_sel:[0,1]
	s_wait_dscnt 0x0
	v_dual_mul_f32 v3, v37, v21 :: v_dual_mul_f32 v31, v36, v21
	v_dual_mul_f32 v44, v39, v21 :: v_dual_mul_f32 v45, v39, v20
	v_pk_mul_f32 v[42:43], v[34:35], v[20:21] op_sel:[0,1]
	s_delay_alu instid0(VALU_DEP_3) | instskip(NEXT) | instid1(VALU_DEP_3)
	v_fma_f32 v3, v36, v20, -v3
	v_dual_fmac_f32 v31, v37, v20 :: v_dual_fma_f32 v44, v38, v20, -v44
	s_delay_alu instid0(VALU_DEP_4) | instskip(SKIP_4) | instid1(VALU_DEP_4)
	v_fmac_f32_e32 v45, v38, v21
	v_pk_fma_f32 v[36:37], v[32:33], v[20:21], v[40:41] op_sel:[0,0,1] op_sel_hi:[1,0,0]
	v_pk_fma_f32 v[38:39], v[34:35], v[20:21], v[42:43] op_sel:[0,0,1] op_sel_hi:[1,0,0]
	v_pk_fma_f32 v[32:33], v[32:33], v[20:21], v[40:41] op_sel:[0,0,1] op_sel_hi:[1,1,0] neg_lo:[0,0,1] neg_hi:[0,0,1]
	v_pk_fma_f32 v[20:21], v[34:35], v[20:21], v[42:43] op_sel:[0,0,1] op_sel_hi:[1,1,0] neg_lo:[0,0,1] neg_hi:[0,0,1]
	v_dual_sub_f32 v0, v0, v3 :: v_dual_mov_b32 v33, v37
	s_delay_alu instid0(VALU_DEP_4) | instskip(SKIP_1) | instid1(VALU_DEP_3)
	v_dual_mov_b32 v21, v39 :: v_dual_sub_f32 v1, v1, v31
	v_dual_sub_f32 v22, v22, v44 :: v_dual_sub_f32 v23, v23, v45
	v_pk_add_f32 v[18:19], v[18:19], v[32:33] neg_lo:[0,1] neg_hi:[0,1]
	s_delay_alu instid0(VALU_DEP_3)
	v_pk_add_f32 v[16:17], v[16:17], v[20:21] neg_lo:[0,1] neg_hi:[0,1]
	s_cbranch_scc0 .LBB172_124
.LBB172_125:                            ;   in Loop: Header=BB172_123 Depth=2
	s_mul_i32 s49, s18, 0x108
	s_lshl_b32 s34, s34, 5
	v_mov_b32_e32 v2, s49
	s_lshl_b32 s35, s31, 5
	s_lshl_b32 s30, s30, 5
	s_mov_b32 s49, -1
	ds_load_b64 v[2:3], v2
	s_wait_dscnt 0x0
	v_and_b32_e32 v20, 0x7fffffff, v2
	v_and_b32_e32 v21, 0x7fffffff, v3
	s_delay_alu instid0(VALU_DEP_1)
	v_cmp_ngt_f32_e32 vcc_lo, v20, v21
                                        ; implicit-def: $vgpr21
	s_cbranch_vccz .LBB172_127
; %bb.126:                              ;   in Loop: Header=BB172_123 Depth=2
	v_div_scale_f32 v20, null, v3, v3, v2
	v_div_scale_f32 v32, vcc_lo, v2, v3, v2
	s_mov_b32 s49, 0
	v_rcp_f32_e32 v21, v20
	v_nop
	v_xor_b32_e32 v20, 0x80000000, v20
	s_delay_alu instid0(TRANS32_DEP_1) | instid1(VALU_DEP_1)
	v_fma_f32 v31, v20, v21, 1.0
	s_delay_alu instid0(VALU_DEP_1) | instskip(NEXT) | instid1(VALU_DEP_1)
	v_fmac_f32_e32 v21, v31, v21
	v_mul_f32_e32 v31, v32, v21
	s_delay_alu instid0(VALU_DEP_1) | instskip(NEXT) | instid1(VALU_DEP_1)
	v_fma_f32 v33, v20, v31, v32
	v_fmac_f32_e32 v31, v33, v21
	s_delay_alu instid0(VALU_DEP_1) | instskip(NEXT) | instid1(VALU_DEP_1)
	v_fmac_f32_e32 v32, v20, v31
	v_div_fmas_f32 v20, v32, v21, v31
	s_delay_alu instid0(VALU_DEP_1) | instskip(NEXT) | instid1(VALU_DEP_1)
	v_div_fixup_f32 v20, v20, v3, v2
	v_fma_f32 v21, v2, v20, v3
	s_delay_alu instid0(VALU_DEP_1) | instskip(SKIP_1) | instid1(VALU_DEP_2)
	v_div_scale_f32 v31, null, v21, v21, 1.0
	v_div_scale_f32 v34, vcc_lo, 1.0, v21, 1.0
	v_rcp_f32_e32 v32, v31
	v_nop
	v_xor_b32_e32 v31, 0x80000000, v31
	s_delay_alu instid0(TRANS32_DEP_1) | instid1(VALU_DEP_1)
	v_fma_f32 v33, v31, v32, 1.0
	s_delay_alu instid0(VALU_DEP_1) | instskip(NEXT) | instid1(VALU_DEP_1)
	v_fmac_f32_e32 v32, v33, v32
	v_mul_f32_e32 v33, v34, v32
	s_delay_alu instid0(VALU_DEP_1) | instskip(NEXT) | instid1(VALU_DEP_1)
	v_fma_f32 v35, v31, v33, v34
	v_fmac_f32_e32 v33, v35, v32
	s_delay_alu instid0(VALU_DEP_1) | instskip(NEXT) | instid1(VALU_DEP_1)
	v_fmac_f32_e32 v34, v31, v33
	v_div_fmas_f32 v31, v34, v32, v33
	v_fma_f32 v32, v0, v20, v1
	s_delay_alu instid0(VALU_DEP_2) | instskip(NEXT) | instid1(VALU_DEP_1)
	v_div_fixup_f32 v21, v31, v21, 1.0
	v_dual_fma_f32 v31, v1, v20, -v0 :: v_dual_mul_f32 v20, v32, v21
	s_delay_alu instid0(VALU_DEP_1)
	v_mul_f32_e32 v21, v31, v21
.LBB172_127:                            ;   in Loop: Header=BB172_123 Depth=2
	s_and_not1_b32 vcc_lo, exec_lo, s49
	s_cbranch_vccnz .LBB172_129
; %bb.128:                              ;   in Loop: Header=BB172_123 Depth=2
	v_div_scale_f32 v20, null, v2, v2, v3
	v_div_scale_f32 v32, vcc_lo, v3, v2, v3
	s_delay_alu instid0(VALU_DEP_2)
	v_rcp_f32_e32 v21, v20
	v_nop
	v_xor_b32_e32 v20, 0x80000000, v20
	s_delay_alu instid0(TRANS32_DEP_1) | instid1(VALU_DEP_1)
	v_fma_f32 v31, v20, v21, 1.0
	s_delay_alu instid0(VALU_DEP_1) | instskip(NEXT) | instid1(VALU_DEP_1)
	v_fmac_f32_e32 v21, v31, v21
	v_mul_f32_e32 v31, v32, v21
	s_delay_alu instid0(VALU_DEP_1) | instskip(NEXT) | instid1(VALU_DEP_1)
	v_fma_f32 v33, v20, v31, v32
	v_fmac_f32_e32 v31, v33, v21
	s_delay_alu instid0(VALU_DEP_1) | instskip(NEXT) | instid1(VALU_DEP_1)
	v_fmac_f32_e32 v32, v20, v31
	v_div_fmas_f32 v20, v32, v21, v31
	s_delay_alu instid0(VALU_DEP_1) | instskip(NEXT) | instid1(VALU_DEP_1)
	v_div_fixup_f32 v20, v20, v2, v3
	v_fmac_f32_e32 v2, v3, v20
	s_delay_alu instid0(VALU_DEP_1) | instskip(SKIP_1) | instid1(VALU_DEP_2)
	v_div_scale_f32 v3, null, v2, v2, 1.0
	v_div_scale_f32 v32, vcc_lo, 1.0, v2, 1.0
	v_rcp_f32_e32 v21, v3
	v_nop
	v_xor_b32_e32 v3, 0x80000000, v3
	s_delay_alu instid0(TRANS32_DEP_1) | instid1(VALU_DEP_1)
	v_fma_f32 v31, v3, v21, 1.0
	s_delay_alu instid0(VALU_DEP_1) | instskip(NEXT) | instid1(VALU_DEP_1)
	v_fmac_f32_e32 v21, v31, v21
	v_mul_f32_e32 v31, v32, v21
	s_delay_alu instid0(VALU_DEP_1) | instskip(NEXT) | instid1(VALU_DEP_1)
	v_fma_f32 v33, v3, v31, v32
	v_fmac_f32_e32 v31, v33, v21
	s_delay_alu instid0(VALU_DEP_1) | instskip(NEXT) | instid1(VALU_DEP_1)
	v_fmac_f32_e32 v32, v3, v31
	v_div_fmas_f32 v3, v32, v21, v31
	v_dual_fma_f32 v21, v1, v20, v0 :: v_dual_fma_f32 v0, -v0, v20, v1
	s_delay_alu instid0(VALU_DEP_2) | instskip(NEXT) | instid1(VALU_DEP_1)
	v_div_fixup_f32 v2, v3, v2, 1.0
	v_dual_mul_f32 v20, v21, v2 :: v_dual_mul_f32 v21, v0, v2
.LBB172_129:                            ;   in Loop: Header=BB172_123 Depth=2
	s_lshl_b32 s49, s34, 3
	s_lshl_b32 s34, s18, 3
	ds_store_b64 v30, v[20:21]
	s_add_co_i32 s49, s49, s34
	s_delay_alu instid0(SALU_CYCLE_1)
	v_mov_b32_e32 v0, s49
	s_mov_b32 s49, -1
	ds_load_b128 v[0:3], v0
	s_wait_dscnt 0x0
	v_dual_mul_f32 v31, v21, v1 :: v_dual_mul_f32 v1, v20, v1
	v_and_b32_e32 v32, 0x7fffffff, v2
	v_and_b32_e32 v33, 0x7fffffff, v3
	s_delay_alu instid0(VALU_DEP_3) | instskip(NEXT) | instid1(VALU_DEP_2)
	v_dual_fma_f32 v31, v20, v0, -v31 :: v_dual_fmac_f32 v1, v21, v0
	v_cmp_ngt_f32_e32 vcc_lo, v32, v33
	s_delay_alu instid0(VALU_DEP_2)
	v_dual_sub_f32 v0, v22, v31 :: v_dual_sub_f32 v1, v23, v1
                                        ; implicit-def: $vgpr23
	s_cbranch_vccz .LBB172_131
; %bb.130:                              ;   in Loop: Header=BB172_123 Depth=2
	v_div_scale_f32 v22, null, v3, v3, v2
	v_div_scale_f32 v31, vcc_lo, v2, v3, v2
	s_mov_b32 s49, 0
	v_rcp_f32_e32 v23, v22
	v_nop
	v_xor_b32_e32 v22, 0x80000000, v22
	s_delay_alu instid0(TRANS32_DEP_1) | instid1(VALU_DEP_1)
	v_fma_f32 v30, v22, v23, 1.0
	s_delay_alu instid0(VALU_DEP_1) | instskip(NEXT) | instid1(VALU_DEP_1)
	v_fmac_f32_e32 v23, v30, v23
	v_mul_f32_e32 v30, v31, v23
	s_delay_alu instid0(VALU_DEP_1) | instskip(NEXT) | instid1(VALU_DEP_1)
	v_fma_f32 v32, v22, v30, v31
	v_fmac_f32_e32 v30, v32, v23
	s_delay_alu instid0(VALU_DEP_1) | instskip(NEXT) | instid1(VALU_DEP_1)
	v_fmac_f32_e32 v31, v22, v30
	v_div_fmas_f32 v22, v31, v23, v30
	s_delay_alu instid0(VALU_DEP_1) | instskip(NEXT) | instid1(VALU_DEP_1)
	v_div_fixup_f32 v22, v22, v3, v2
	v_fma_f32 v23, v2, v22, v3
	s_delay_alu instid0(VALU_DEP_1) | instskip(SKIP_1) | instid1(VALU_DEP_2)
	v_div_scale_f32 v30, null, v23, v23, 1.0
	v_div_scale_f32 v33, vcc_lo, 1.0, v23, 1.0
	v_rcp_f32_e32 v31, v30
	v_nop
	v_xor_b32_e32 v30, 0x80000000, v30
	s_delay_alu instid0(TRANS32_DEP_1) | instid1(VALU_DEP_1)
	v_fma_f32 v32, v30, v31, 1.0
	s_delay_alu instid0(VALU_DEP_1) | instskip(NEXT) | instid1(VALU_DEP_1)
	v_fmac_f32_e32 v31, v32, v31
	v_mul_f32_e32 v32, v33, v31
	s_delay_alu instid0(VALU_DEP_1) | instskip(NEXT) | instid1(VALU_DEP_1)
	v_fma_f32 v34, v30, v32, v33
	v_fmac_f32_e32 v32, v34, v31
	s_delay_alu instid0(VALU_DEP_1) | instskip(NEXT) | instid1(VALU_DEP_1)
	v_fmac_f32_e32 v33, v30, v32
	v_div_fmas_f32 v30, v33, v31, v32
	v_fma_f32 v31, v22, v0, v1
	s_delay_alu instid0(VALU_DEP_2) | instskip(NEXT) | instid1(VALU_DEP_1)
	v_div_fixup_f32 v23, v30, v23, 1.0
	v_dual_fma_f32 v30, v22, v1, -v0 :: v_dual_mul_f32 v22, v31, v23
	s_delay_alu instid0(VALU_DEP_1)
	v_mul_f32_e32 v23, v30, v23
.LBB172_131:                            ;   in Loop: Header=BB172_123 Depth=2
	s_and_not1_b32 vcc_lo, exec_lo, s49
	s_cbranch_vccnz .LBB172_133
; %bb.132:                              ;   in Loop: Header=BB172_123 Depth=2
	v_div_scale_f32 v22, null, v2, v2, v3
	v_div_scale_f32 v31, vcc_lo, v3, v2, v3
	s_delay_alu instid0(VALU_DEP_2)
	v_rcp_f32_e32 v23, v22
	v_nop
	v_xor_b32_e32 v22, 0x80000000, v22
	s_delay_alu instid0(TRANS32_DEP_1) | instid1(VALU_DEP_1)
	v_fma_f32 v30, v22, v23, 1.0
	s_delay_alu instid0(VALU_DEP_1) | instskip(NEXT) | instid1(VALU_DEP_1)
	v_fmac_f32_e32 v23, v30, v23
	v_mul_f32_e32 v30, v31, v23
	s_delay_alu instid0(VALU_DEP_1) | instskip(NEXT) | instid1(VALU_DEP_1)
	v_fma_f32 v32, v22, v30, v31
	v_fmac_f32_e32 v30, v32, v23
	s_delay_alu instid0(VALU_DEP_1) | instskip(NEXT) | instid1(VALU_DEP_1)
	v_fmac_f32_e32 v31, v22, v30
	v_div_fmas_f32 v22, v31, v23, v30
	s_delay_alu instid0(VALU_DEP_1) | instskip(NEXT) | instid1(VALU_DEP_1)
	v_div_fixup_f32 v22, v22, v2, v3
	v_fmac_f32_e32 v2, v3, v22
	s_delay_alu instid0(VALU_DEP_1) | instskip(SKIP_1) | instid1(VALU_DEP_2)
	v_div_scale_f32 v3, null, v2, v2, 1.0
	v_div_scale_f32 v31, vcc_lo, 1.0, v2, 1.0
	v_rcp_f32_e32 v23, v3
	v_nop
	v_xor_b32_e32 v3, 0x80000000, v3
	s_delay_alu instid0(TRANS32_DEP_1) | instid1(VALU_DEP_1)
	v_fma_f32 v30, v3, v23, 1.0
	s_delay_alu instid0(VALU_DEP_1) | instskip(NEXT) | instid1(VALU_DEP_1)
	v_fmac_f32_e32 v23, v30, v23
	v_mul_f32_e32 v30, v31, v23
	s_delay_alu instid0(VALU_DEP_1) | instskip(NEXT) | instid1(VALU_DEP_1)
	v_fma_f32 v32, v3, v30, v31
	v_fmac_f32_e32 v30, v32, v23
	s_delay_alu instid0(VALU_DEP_1) | instskip(NEXT) | instid1(VALU_DEP_1)
	v_fmac_f32_e32 v31, v3, v30
	v_div_fmas_f32 v3, v31, v23, v30
	v_dual_fma_f32 v23, v22, v1, v0 :: v_dual_fma_f32 v0, -v22, v0, v1
	s_delay_alu instid0(VALU_DEP_2) | instskip(NEXT) | instid1(VALU_DEP_1)
	v_div_fixup_f32 v2, v3, v2, 1.0
	v_dual_mul_f32 v22, v23, v2 :: v_dual_mul_f32 v23, v0, v2
.LBB172_133:                            ;   in Loop: Header=BB172_123 Depth=2
	s_lshl_b32 s35, s35, 3
	s_lshl_b32 s31, s31, 3
	s_add_co_i32 s49, s35, s34
	s_add_co_i32 s31, s35, s31
	v_dual_mov_b32 v0, s49 :: v_dual_mov_b32 v2, v21
	ds_store_b64 v29, v[22:23]
	v_mov_b32_e32 v34, v23
	ds_load_b128 v[30:33], v0
	v_mov_b32_e32 v0, s31
	s_mov_b32 s31, -1
	ds_load_b64 v[0:1], v0
	s_wait_dscnt 0x1
	v_pk_mul_f32 v[2:3], v[2:3], v[30:31] op_sel_hi:[0,1]
	v_pk_mul_f32 v[34:35], v[34:35], v[32:33] op_sel_hi:[0,1]
	s_delay_alu instid0(VALU_DEP_2) | instskip(SKIP_1) | instid1(VALU_DEP_3)
	v_pk_fma_f32 v[36:37], v[20:21], v[30:31], v[2:3] op_sel:[0,0,1] op_sel_hi:[0,1,0]
	v_pk_fma_f32 v[2:3], v[20:21], v[30:31], v[2:3] op_sel:[0,0,1] op_sel_hi:[1,1,0] neg_lo:[0,0,1] neg_hi:[0,0,1]
	v_pk_fma_f32 v[30:31], v[22:23], v[32:33], v[34:35] op_sel:[0,0,1] op_sel_hi:[0,1,0]
	s_wait_dscnt 0x0
	v_and_b32_e32 v30, 0x7fffffff, v0
	v_and_b32_e32 v36, 0x7fffffff, v1
	v_mov_b32_e32 v3, v37
	v_pk_fma_f32 v[32:33], v[22:23], v[32:33], v[34:35] op_sel:[0,0,1] op_sel_hi:[1,1,0] neg_lo:[0,0,1] neg_hi:[0,0,1]
	v_mov_b32_e32 v33, v31
	s_delay_alu instid0(VALU_DEP_4) | instskip(NEXT) | instid1(VALU_DEP_4)
	v_cmp_ngt_f32_e32 vcc_lo, v30, v36
	v_pk_add_f32 v[2:3], v[18:19], v[2:3] neg_lo:[0,1] neg_hi:[0,1]
                                        ; implicit-def: $vgpr18_vgpr19
	s_delay_alu instid0(VALU_DEP_1)
	v_pk_add_f32 v[2:3], v[2:3], v[32:33] neg_lo:[0,1] neg_hi:[0,1]
	s_cbranch_vccz .LBB172_135
; %bb.134:                              ;   in Loop: Header=BB172_123 Depth=2
	v_div_scale_f32 v18, null, v1, v1, v0
	v_div_scale_f32 v30, vcc_lo, v0, v1, v0
	s_mov_b32 s31, 0
	v_rcp_f32_e32 v19, v18
	v_nop
	v_xor_b32_e32 v18, 0x80000000, v18
	s_delay_alu instid0(TRANS32_DEP_1) | instid1(VALU_DEP_1)
	v_fma_f32 v29, v18, v19, 1.0
	s_delay_alu instid0(VALU_DEP_1) | instskip(NEXT) | instid1(VALU_DEP_1)
	v_fmac_f32_e32 v19, v29, v19
	v_mul_f32_e32 v29, v30, v19
	s_delay_alu instid0(VALU_DEP_1) | instskip(NEXT) | instid1(VALU_DEP_1)
	v_fma_f32 v31, v18, v29, v30
	v_fmac_f32_e32 v29, v31, v19
	s_delay_alu instid0(VALU_DEP_1) | instskip(NEXT) | instid1(VALU_DEP_1)
	v_fmac_f32_e32 v30, v18, v29
	v_div_fmas_f32 v18, v30, v19, v29
	s_delay_alu instid0(VALU_DEP_1) | instskip(NEXT) | instid1(VALU_DEP_1)
	v_div_fixup_f32 v18, v18, v1, v0
	v_fma_f32 v19, v0, v18, v1
	s_delay_alu instid0(VALU_DEP_1) | instskip(SKIP_1) | instid1(VALU_DEP_2)
	v_div_scale_f32 v29, null, v19, v19, 1.0
	v_div_scale_f32 v32, vcc_lo, 1.0, v19, 1.0
	v_rcp_f32_e32 v31, v29
	v_nop
	v_xor_b32_e32 v29, 0x80000000, v29
	s_delay_alu instid0(TRANS32_DEP_1) | instid1(VALU_DEP_1)
	v_fma_f32 v30, v29, v31, 1.0
	s_delay_alu instid0(VALU_DEP_1) | instskip(NEXT) | instid1(VALU_DEP_1)
	v_fmac_f32_e32 v31, v30, v31
	v_mul_f32_e32 v33, v32, v31
	s_delay_alu instid0(VALU_DEP_1) | instskip(NEXT) | instid1(VALU_DEP_1)
	v_fma_f32 v30, v29, v33, v32
	v_dual_fmac_f32 v33, v30, v31 :: v_dual_mov_b32 v30, v3
	s_delay_alu instid0(VALU_DEP_1) | instskip(NEXT) | instid1(VALU_DEP_1)
	v_fmac_f32_e32 v32, v29, v33
	v_div_fmas_f32 v29, v32, v31, v33
	s_delay_alu instid0(VALU_DEP_3) | instskip(NEXT) | instid1(VALU_DEP_2)
	v_pk_fma_f32 v[30:31], v[18:19], v[2:3], v[30:31]
	v_div_fixup_f32 v31, v29, v19, 1.0
	s_delay_alu instid0(VALU_DEP_1) | instskip(NEXT) | instid1(VALU_DEP_1)
	v_dual_fma_f32 v19, v18, v3, -v2 :: v_dual_mov_b32 v18, v31
	v_pk_mul_f32 v[18:19], v[30:31], v[18:19]
.LBB172_135:                            ;   in Loop: Header=BB172_123 Depth=2
	s_and_not1_b32 vcc_lo, exec_lo, s31
	s_cbranch_vccnz .LBB172_137
; %bb.136:                              ;   in Loop: Header=BB172_123 Depth=2
	v_div_scale_f32 v18, null, v0, v0, v1
	v_div_scale_f32 v30, vcc_lo, v1, v0, v1
	s_delay_alu instid0(VALU_DEP_2)
	v_rcp_f32_e32 v19, v18
	v_nop
	v_xor_b32_e32 v18, 0x80000000, v18
	s_delay_alu instid0(TRANS32_DEP_1) | instid1(VALU_DEP_1)
	v_fma_f32 v29, v18, v19, 1.0
	s_delay_alu instid0(VALU_DEP_1) | instskip(NEXT) | instid1(VALU_DEP_1)
	v_fmac_f32_e32 v19, v29, v19
	v_mul_f32_e32 v29, v30, v19
	s_delay_alu instid0(VALU_DEP_1) | instskip(NEXT) | instid1(VALU_DEP_1)
	v_fma_f32 v31, v18, v29, v30
	v_fmac_f32_e32 v29, v31, v19
	s_delay_alu instid0(VALU_DEP_1) | instskip(NEXT) | instid1(VALU_DEP_1)
	v_fmac_f32_e32 v30, v18, v29
	v_div_fmas_f32 v18, v30, v19, v29
	s_delay_alu instid0(VALU_DEP_1) | instskip(NEXT) | instid1(VALU_DEP_1)
	v_div_fixup_f32 v18, v18, v0, v1
	v_fmac_f32_e32 v0, v1, v18
	s_delay_alu instid0(VALU_DEP_1) | instskip(SKIP_1) | instid1(VALU_DEP_2)
	v_div_scale_f32 v1, null, v0, v0, 1.0
	v_div_scale_f32 v30, vcc_lo, 1.0, v0, 1.0
	v_rcp_f32_e32 v19, v1
	v_nop
	v_xor_b32_e32 v1, 0x80000000, v1
	s_delay_alu instid0(TRANS32_DEP_1) | instid1(VALU_DEP_1)
	v_fma_f32 v29, v1, v19, 1.0
	s_delay_alu instid0(VALU_DEP_1) | instskip(NEXT) | instid1(VALU_DEP_1)
	v_fmac_f32_e32 v19, v29, v19
	v_mul_f32_e32 v29, v30, v19
	s_delay_alu instid0(VALU_DEP_1) | instskip(NEXT) | instid1(VALU_DEP_1)
	v_fma_f32 v31, v1, v29, v30
	v_fmac_f32_e32 v29, v31, v19
	s_delay_alu instid0(VALU_DEP_1) | instskip(NEXT) | instid1(VALU_DEP_1)
	v_fmac_f32_e32 v30, v1, v29
	v_div_fmas_f32 v1, v30, v19, v29
	v_pk_fma_f32 v[30:31], v[18:19], v[2:3], v[2:3] op_sel:[0,1,0] op_sel_hi:[0,0,1] neg_lo:[1,0,0] neg_hi:[1,0,0]
	v_pk_fma_f32 v[2:3], v[18:19], v[2:3], v[2:3] op_sel:[0,1,0] op_sel_hi:[1,0,1]
	s_delay_alu instid0(VALU_DEP_3) | instskip(NEXT) | instid1(VALU_DEP_3)
	v_div_fixup_f32 v0, v1, v0, 1.0
	v_mov_b32_e32 v3, v31
	s_delay_alu instid0(VALU_DEP_1)
	v_pk_mul_f32 v[18:19], v[2:3], v[0:1] op_sel_hi:[1,0]
.LBB172_137:                            ;   in Loop: Header=BB172_123 Depth=2
	s_lshl_b32 s30, s30, 3
	v_mov_b32_e32 v35, v21
	s_add_co_i32 s30, s30, s34
	v_dual_mov_b32 v36, v23 :: v_dual_mov_b32 v37, v23
	v_dual_mov_b32 v0, s30 :: v_dual_mov_b32 v34, v21
	v_mov_b32_e32 v21, v20
	s_mov_b32 s30, -1
	ds_load_b128 v[30:33], v0
	ds_load_b128 v[0:3], v0 offset:16
	ds_store_b64 v28, v[18:19]
	s_wait_dscnt 0x2
	v_pk_mul_f32 v[34:35], v[34:35], v[30:31]
	v_pk_mul_f32 v[36:37], v[36:37], v[32:33]
	s_wait_dscnt 0x1
	v_and_b32_e32 v29, 0x7fffffff, v3
	s_delay_alu instid0(VALU_DEP_3) | instskip(SKIP_3) | instid1(VALU_DEP_4)
	v_pk_fma_f32 v[38:39], v[20:21], v[30:31], v[34:35] op_sel:[0,0,1] op_sel_hi:[1,1,0]
	v_mov_b32_e32 v23, v22
	v_pk_fma_f32 v[20:21], v[20:21], v[30:31], v[34:35] op_sel:[0,0,1] op_sel_hi:[1,1,0] neg_lo:[0,0,1] neg_hi:[0,0,1]
	v_pk_mul_f32 v[34:35], v[18:19], v[0:1] op_sel:[1,1] op_sel_hi:[1,0]
	v_mov_b32_e32 v21, v39
	s_delay_alu instid0(VALU_DEP_4) | instskip(SKIP_1) | instid1(VALU_DEP_3)
	v_pk_fma_f32 v[30:31], v[22:23], v[32:33], v[36:37] op_sel:[0,0,1] op_sel_hi:[1,1,0]
	v_pk_fma_f32 v[22:23], v[22:23], v[32:33], v[36:37] op_sel:[0,0,1] op_sel_hi:[1,1,0] neg_lo:[0,0,1] neg_hi:[0,0,1]
	v_pk_add_f32 v[16:17], v[16:17], v[20:21] neg_lo:[0,1] neg_hi:[0,1]
	v_pk_fma_f32 v[20:21], v[18:19], v[0:1], v[34:35] op_sel_hi:[0,1,1]
	s_delay_alu instid0(VALU_DEP_4) | instskip(SKIP_2) | instid1(VALU_DEP_4)
	v_mov_b32_e32 v23, v31
	v_and_b32_e32 v20, 0x7fffffff, v2
	v_pk_fma_f32 v[0:1], v[18:19], v[0:1], v[34:35] neg_lo:[0,0,1] neg_hi:[0,0,1]
	v_mov_b32_e32 v1, v21
	s_delay_alu instid0(VALU_DEP_4) | instskip(NEXT) | instid1(VALU_DEP_4)
	v_pk_add_f32 v[16:17], v[16:17], v[22:23] neg_lo:[0,1] neg_hi:[0,1]
	v_cmp_ngt_f32_e32 vcc_lo, v20, v29
	s_delay_alu instid0(VALU_DEP_2)
	v_pk_add_f32 v[0:1], v[16:17], v[0:1] neg_lo:[0,1] neg_hi:[0,1]
                                        ; implicit-def: $vgpr16_vgpr17
	s_cbranch_vccz .LBB172_139
; %bb.138:                              ;   in Loop: Header=BB172_123 Depth=2
	v_div_scale_f32 v16, null, v3, v3, v2
	v_div_scale_f32 v19, vcc_lo, v2, v3, v2
	s_mov_b32 s30, 0
	v_rcp_f32_e32 v17, v16
	v_nop
	v_xor_b32_e32 v16, 0x80000000, v16
	s_delay_alu instid0(TRANS32_DEP_1) | instid1(VALU_DEP_1)
	v_fma_f32 v18, v16, v17, 1.0
	s_delay_alu instid0(VALU_DEP_1) | instskip(NEXT) | instid1(VALU_DEP_1)
	v_fmac_f32_e32 v17, v18, v17
	v_mul_f32_e32 v18, v19, v17
	s_delay_alu instid0(VALU_DEP_1) | instskip(NEXT) | instid1(VALU_DEP_1)
	v_fma_f32 v20, v16, v18, v19
	v_fmac_f32_e32 v18, v20, v17
	s_delay_alu instid0(VALU_DEP_1) | instskip(NEXT) | instid1(VALU_DEP_1)
	v_fmac_f32_e32 v19, v16, v18
	v_div_fmas_f32 v16, v19, v17, v18
	s_delay_alu instid0(VALU_DEP_1) | instskip(NEXT) | instid1(VALU_DEP_1)
	v_div_fixup_f32 v16, v16, v3, v2
	v_fma_f32 v17, v2, v16, v3
	s_delay_alu instid0(VALU_DEP_1) | instskip(NEXT) | instid1(VALU_DEP_1)
	v_div_scale_f32 v18, null, v17, v17, 1.0
	v_rcp_f32_e32 v19, v18
	v_nop
	v_xor_b32_e32 v18, 0x80000000, v18
	s_delay_alu instid0(TRANS32_DEP_1) | instid1(VALU_DEP_1)
	v_fma_f32 v20, v18, v19, 1.0
	s_delay_alu instid0(VALU_DEP_1) | instskip(SKIP_1) | instid1(VALU_DEP_1)
	v_fmac_f32_e32 v19, v20, v19
	v_div_scale_f32 v20, vcc_lo, 1.0, v17, 1.0
	v_mul_f32_e32 v21, v20, v19
	s_delay_alu instid0(VALU_DEP_1) | instskip(NEXT) | instid1(VALU_DEP_1)
	v_fma_f32 v22, v18, v21, v20
	v_fmac_f32_e32 v21, v22, v19
	s_delay_alu instid0(VALU_DEP_1) | instskip(NEXT) | instid1(VALU_DEP_1)
	v_dual_fmac_f32 v20, v18, v21 :: v_dual_mov_b32 v18, v1
	v_div_fmas_f32 v20, v20, v19, v21
	s_delay_alu instid0(VALU_DEP_2) | instskip(NEXT) | instid1(VALU_DEP_2)
	v_pk_fma_f32 v[18:19], v[16:17], v[0:1], v[18:19]
	v_div_fixup_f32 v19, v20, v17, 1.0
	s_delay_alu instid0(VALU_DEP_1) | instskip(NEXT) | instid1(VALU_DEP_1)
	v_dual_fma_f32 v17, v16, v1, -v0 :: v_dual_mov_b32 v16, v19
	v_pk_mul_f32 v[16:17], v[18:19], v[16:17]
.LBB172_139:                            ;   in Loop: Header=BB172_123 Depth=2
	s_and_not1_b32 vcc_lo, exec_lo, s30
	s_cbranch_vccnz .LBB172_141
; %bb.140:                              ;   in Loop: Header=BB172_123 Depth=2
	v_div_scale_f32 v16, null, v2, v2, v3
	v_div_scale_f32 v19, vcc_lo, v3, v2, v3
	s_delay_alu instid0(VALU_DEP_2)
	v_rcp_f32_e32 v17, v16
	v_nop
	v_xor_b32_e32 v16, 0x80000000, v16
	s_delay_alu instid0(TRANS32_DEP_1) | instid1(VALU_DEP_1)
	v_fma_f32 v18, v16, v17, 1.0
	s_delay_alu instid0(VALU_DEP_1) | instskip(NEXT) | instid1(VALU_DEP_1)
	v_fmac_f32_e32 v17, v18, v17
	v_mul_f32_e32 v18, v19, v17
	s_delay_alu instid0(VALU_DEP_1) | instskip(NEXT) | instid1(VALU_DEP_1)
	v_fma_f32 v20, v16, v18, v19
	v_fmac_f32_e32 v18, v20, v17
	s_delay_alu instid0(VALU_DEP_1) | instskip(NEXT) | instid1(VALU_DEP_1)
	v_fmac_f32_e32 v19, v16, v18
	v_div_fmas_f32 v16, v19, v17, v18
	s_delay_alu instid0(VALU_DEP_1) | instskip(NEXT) | instid1(VALU_DEP_1)
	v_div_fixup_f32 v16, v16, v2, v3
	v_fmac_f32_e32 v2, v3, v16
	s_delay_alu instid0(VALU_DEP_1) | instskip(SKIP_1) | instid1(VALU_DEP_2)
	v_div_scale_f32 v3, null, v2, v2, 1.0
	v_div_scale_f32 v19, vcc_lo, 1.0, v2, 1.0
	v_rcp_f32_e32 v17, v3
	v_nop
	v_xor_b32_e32 v3, 0x80000000, v3
	s_delay_alu instid0(TRANS32_DEP_1) | instid1(VALU_DEP_1)
	v_fma_f32 v18, v3, v17, 1.0
	s_delay_alu instid0(VALU_DEP_1) | instskip(NEXT) | instid1(VALU_DEP_1)
	v_fmac_f32_e32 v17, v18, v17
	v_mul_f32_e32 v18, v19, v17
	s_delay_alu instid0(VALU_DEP_1) | instskip(NEXT) | instid1(VALU_DEP_1)
	v_fma_f32 v20, v3, v18, v19
	v_fmac_f32_e32 v18, v20, v17
	s_delay_alu instid0(VALU_DEP_1) | instskip(NEXT) | instid1(VALU_DEP_1)
	v_fmac_f32_e32 v19, v3, v18
	v_div_fmas_f32 v3, v19, v17, v18
	v_pk_fma_f32 v[18:19], v[16:17], v[0:1], v[0:1] op_sel:[0,1,0] op_sel_hi:[0,0,1] neg_lo:[1,0,0] neg_hi:[1,0,0]
	v_pk_fma_f32 v[0:1], v[16:17], v[0:1], v[0:1] op_sel:[0,1,0] op_sel_hi:[1,0,1]
	s_delay_alu instid0(VALU_DEP_3) | instskip(NEXT) | instid1(VALU_DEP_3)
	v_div_fixup_f32 v2, v3, v2, 1.0
	v_mov_b32_e32 v1, v19
	s_delay_alu instid0(VALU_DEP_1)
	v_pk_mul_f32 v[16:17], v[0:1], v[2:3] op_sel_hi:[1,0]
.LBB172_141:                            ;   in Loop: Header=BB172_123 Depth=2
	s_add_co_i32 s30, s18, 4
	s_add_co_i32 s18, s18, 7
	s_addk_co_i32 s3, 0x400
	s_cmp_ge_i32 s18, s37
	ds_store_b64 v27, v[16:17]
	s_cbranch_scc1 .LBB172_143
; %bb.142:                              ;   in Loop: Header=BB172_123 Depth=2
	s_mov_b32 s18, s30
	s_branch .LBB172_123
.LBB172_143:                            ;   in Loop: Header=BB172_3 Depth=1
	s_cmp_ge_i32 s30, s37
	s_cbranch_scc1 .LBB172_152
; %bb.144:                              ;   in Loop: Header=BB172_3 Depth=1
	s_lshl_b32 s3, s30, 8
	s_branch .LBB172_146
.LBB172_145:                            ;   in Loop: Header=BB172_146 Depth=2
	s_add_co_i32 s30, s30, 1
	s_addk_co_i32 s3, 0x100
	s_cmp_ge_i32 s30, s37
	ds_store_b64 v18, v[16:17]
	s_cbranch_scc1 .LBB172_152
.LBB172_146:                            ;   Parent Loop BB172_3 Depth=1
                                        ; =>  This Loop Header: Depth=2
                                        ;       Child Loop BB172_147 Depth 3
	v_lshl_add_u32 v18, s30, 8, v24
	v_mov_b32_e32 v2, v24
	s_cmp_eq_u32 s30, 0
	s_mov_b32 s18, s3
	s_mov_b32 s31, s30
	ds_load_b64 v[0:1], v18
	s_cbranch_scc1 .LBB172_148
.LBB172_147:                            ;   Parent Loop BB172_3 Depth=1
                                        ;     Parent Loop BB172_146 Depth=2
                                        ; =>    This Inner Loop Header: Depth=3
	v_mov_b32_e32 v3, s18
	s_add_co_i32 s31, s31, -1
	s_add_co_i32 s18, s18, 8
	s_cmp_eq_u32 s31, 0
	ds_load_b64 v[16:17], v2
	ds_load_b64 v[20:21], v3
	v_add_nc_u32_e32 v2, 0x100, v2
	s_wait_dscnt 0x0
	v_pk_mul_f32 v[22:23], v[20:21], v[16:17] op_sel:[1,1] op_sel_hi:[0,1]
	s_delay_alu instid0(VALU_DEP_1) | instskip(SKIP_1) | instid1(VALU_DEP_2)
	v_pk_fma_f32 v[28:29], v[20:21], v[16:17], v[22:23] op_sel_hi:[1,0,1]
	v_pk_fma_f32 v[16:17], v[20:21], v[16:17], v[22:23] op_sel_hi:[1,0,1] neg_lo:[0,0,1] neg_hi:[0,0,1]
	v_mov_b32_e32 v17, v29
	s_delay_alu instid0(VALU_DEP_1)
	v_pk_add_f32 v[0:1], v[0:1], v[16:17] neg_lo:[0,1] neg_hi:[0,1]
	s_cbranch_scc0 .LBB172_147
.LBB172_148:                            ;   in Loop: Header=BB172_146 Depth=2
	s_mul_i32 s18, s30, 0x108
	s_delay_alu instid0(SALU_CYCLE_1)
	v_mov_b32_e32 v2, s18
	s_mov_b32 s18, -1
	ds_load_b64 v[2:3], v2
	s_wait_dscnt 0x0
	v_and_b32_e32 v16, 0x7fffffff, v2
	v_and_b32_e32 v17, 0x7fffffff, v3
	s_delay_alu instid0(VALU_DEP_1)
	v_cmp_ngt_f32_e32 vcc_lo, v16, v17
                                        ; implicit-def: $vgpr16_vgpr17
	s_cbranch_vccz .LBB172_150
; %bb.149:                              ;   in Loop: Header=BB172_146 Depth=2
	v_div_scale_f32 v16, null, v3, v3, v2
	v_div_scale_f32 v20, vcc_lo, v2, v3, v2
	s_mov_b32 s18, 0
	v_rcp_f32_e32 v17, v16
	v_nop
	v_xor_b32_e32 v16, 0x80000000, v16
	s_delay_alu instid0(TRANS32_DEP_1) | instid1(VALU_DEP_1)
	v_fma_f32 v19, v16, v17, 1.0
	s_delay_alu instid0(VALU_DEP_1) | instskip(NEXT) | instid1(VALU_DEP_1)
	v_fmac_f32_e32 v17, v19, v17
	v_mul_f32_e32 v19, v20, v17
	s_delay_alu instid0(VALU_DEP_1) | instskip(NEXT) | instid1(VALU_DEP_1)
	v_fma_f32 v21, v16, v19, v20
	v_fmac_f32_e32 v19, v21, v17
	s_delay_alu instid0(VALU_DEP_1) | instskip(NEXT) | instid1(VALU_DEP_1)
	v_fmac_f32_e32 v20, v16, v19
	v_div_fmas_f32 v16, v20, v17, v19
	s_delay_alu instid0(VALU_DEP_1) | instskip(NEXT) | instid1(VALU_DEP_1)
	v_div_fixup_f32 v16, v16, v3, v2
	v_fma_f32 v19, v2, v16, v3
	s_delay_alu instid0(VALU_DEP_1) | instskip(SKIP_1) | instid1(VALU_DEP_2)
	v_div_scale_f32 v17, null, v19, v19, 1.0
	v_div_scale_f32 v22, vcc_lo, 1.0, v19, 1.0
	v_rcp_f32_e32 v20, v17
	v_nop
	v_xor_b32_e32 v17, 0x80000000, v17
	s_delay_alu instid0(TRANS32_DEP_1) | instid1(VALU_DEP_1)
	v_fma_f32 v21, v17, v20, 1.0
	s_delay_alu instid0(VALU_DEP_1) | instskip(NEXT) | instid1(VALU_DEP_1)
	v_fmac_f32_e32 v20, v21, v20
	v_mul_f32_e32 v21, v22, v20
	s_delay_alu instid0(VALU_DEP_1) | instskip(NEXT) | instid1(VALU_DEP_1)
	v_fma_f32 v23, v17, v21, v22
	v_fmac_f32_e32 v21, v23, v20
	s_delay_alu instid0(VALU_DEP_1) | instskip(NEXT) | instid1(VALU_DEP_1)
	v_fmac_f32_e32 v22, v17, v21
	v_div_fmas_f32 v22, v22, v20, v21
	v_pk_fma_f32 v[20:21], v[0:1], v[16:17], v[0:1] op_sel:[0,0,1] op_sel_hi:[1,0,0] neg_lo:[0,0,1] neg_hi:[0,0,1]
	v_pk_fma_f32 v[16:17], v[0:1], v[16:17], v[0:1] op_sel:[0,0,1] op_sel_hi:[1,0,0]
	s_delay_alu instid0(VALU_DEP_3) | instskip(NEXT) | instid1(VALU_DEP_3)
	v_div_fixup_f32 v20, v22, v19, 1.0
	v_mov_b32_e32 v17, v21
	s_delay_alu instid0(VALU_DEP_1)
	v_pk_mul_f32 v[16:17], v[16:17], v[20:21] op_sel_hi:[1,0]
.LBB172_150:                            ;   in Loop: Header=BB172_146 Depth=2
	s_and_not1_b32 vcc_lo, exec_lo, s18
	s_cbranch_vccnz .LBB172_145
; %bb.151:                              ;   in Loop: Header=BB172_146 Depth=2
	v_div_scale_f32 v16, null, v2, v2, v3
	v_div_scale_f32 v20, vcc_lo, v3, v2, v3
	s_delay_alu instid0(VALU_DEP_2)
	v_rcp_f32_e32 v17, v16
	v_nop
	v_xor_b32_e32 v16, 0x80000000, v16
	s_delay_alu instid0(TRANS32_DEP_1) | instid1(VALU_DEP_1)
	v_fma_f32 v19, v16, v17, 1.0
	s_delay_alu instid0(VALU_DEP_1) | instskip(NEXT) | instid1(VALU_DEP_1)
	v_fmac_f32_e32 v17, v19, v17
	v_mul_f32_e32 v19, v20, v17
	s_delay_alu instid0(VALU_DEP_1) | instskip(NEXT) | instid1(VALU_DEP_1)
	v_fma_f32 v21, v16, v19, v20
	v_fmac_f32_e32 v19, v21, v17
	s_delay_alu instid0(VALU_DEP_1) | instskip(NEXT) | instid1(VALU_DEP_1)
	v_fmac_f32_e32 v20, v16, v19
	v_div_fmas_f32 v16, v20, v17, v19
	s_delay_alu instid0(VALU_DEP_1) | instskip(NEXT) | instid1(VALU_DEP_1)
	v_div_fixup_f32 v16, v16, v2, v3
	v_fmac_f32_e32 v2, v3, v16
	s_delay_alu instid0(VALU_DEP_1) | instskip(SKIP_1) | instid1(VALU_DEP_2)
	v_div_scale_f32 v3, null, v2, v2, 1.0
	v_div_scale_f32 v20, vcc_lo, 1.0, v2, 1.0
	v_rcp_f32_e32 v17, v3
	v_nop
	v_xor_b32_e32 v3, 0x80000000, v3
	s_delay_alu instid0(TRANS32_DEP_1) | instid1(VALU_DEP_1)
	v_fma_f32 v19, v3, v17, 1.0
	s_delay_alu instid0(VALU_DEP_1) | instskip(NEXT) | instid1(VALU_DEP_1)
	v_fmac_f32_e32 v17, v19, v17
	v_mul_f32_e32 v19, v20, v17
	s_delay_alu instid0(VALU_DEP_1) | instskip(NEXT) | instid1(VALU_DEP_1)
	v_fma_f32 v21, v3, v19, v20
	v_fmac_f32_e32 v19, v21, v17
	s_delay_alu instid0(VALU_DEP_1) | instskip(NEXT) | instid1(VALU_DEP_1)
	v_fmac_f32_e32 v20, v3, v19
	v_div_fmas_f32 v3, v20, v17, v19
	v_pk_fma_f32 v[20:21], v[0:1], v[16:17], v[0:1] op_sel:[1,0,0] op_sel_hi:[0,0,1] neg_lo:[1,0,0] neg_hi:[1,0,0]
	v_pk_fma_f32 v[0:1], v[0:1], v[16:17], v[0:1] op_sel:[1,0,0] op_sel_hi:[0,0,1]
	s_delay_alu instid0(VALU_DEP_3) | instskip(NEXT) | instid1(VALU_DEP_3)
	v_div_fixup_f32 v2, v3, v2, 1.0
	v_mov_b32_e32 v1, v21
	s_delay_alu instid0(VALU_DEP_1)
	v_pk_mul_f32 v[16:17], v[0:1], v[2:3] op_sel_hi:[1,0]
	s_branch .LBB172_145
.LBB172_152:                            ;   in Loop: Header=BB172_3 Depth=1
	s_and_saveexec_b32 s3, s43
	s_cbranch_execz .LBB172_2
; %bb.153:                              ;   in Loop: Header=BB172_3 Depth=1
	v_add_nc_u64_e32 v[0:1], s[28:29], v[8:9]
	v_mov_b32_e32 v2, v24
	s_mov_b32 s18, s16
.LBB172_154:                            ;   Parent Loop BB172_3 Depth=1
                                        ; =>  This Inner Loop Header: Depth=2
	ds_load_b64 v[16:17], v2
	v_add_nc_u32_e32 v2, 0x100, v2
	s_add_co_i32 s18, s18, -1
	s_delay_alu instid0(SALU_CYCLE_1)
	s_cmp_lg_u32 s18, 0
	s_wait_dscnt 0x0
	global_store_b64 v[0:1], v[16:17], off
	s_wait_xcnt 0x0
	v_add_nc_u64_e32 v[0:1], s[10:11], v[0:1]
	s_cbranch_scc1 .LBB172_154
	s_branch .LBB172_2
.LBB172_155:
	s_endpgm
	.section	.rodata,"a",@progbits
	.p2align	6, 0x0
	.amdhsa_kernel _ZL31rocblas_trsm_small_right_deviceI19rocblas_complex_numIfES1_PKS1_PS1_Li32EEv13rocblas_fill_18rocblas_operation_17rocblas_diagonal_iiT0_T1_lilT2_lili
		.amdhsa_group_segment_fixed_size 16384
		.amdhsa_private_segment_fixed_size 0
		.amdhsa_kernarg_size 360
		.amdhsa_user_sgpr_count 2
		.amdhsa_user_sgpr_dispatch_ptr 0
		.amdhsa_user_sgpr_queue_ptr 0
		.amdhsa_user_sgpr_kernarg_segment_ptr 1
		.amdhsa_user_sgpr_dispatch_id 0
		.amdhsa_user_sgpr_kernarg_preload_length 0
		.amdhsa_user_sgpr_kernarg_preload_offset 0
		.amdhsa_user_sgpr_private_segment_size 0
		.amdhsa_wavefront_size32 1
		.amdhsa_uses_dynamic_stack 0
		.amdhsa_enable_private_segment 0
		.amdhsa_system_sgpr_workgroup_id_x 1
		.amdhsa_system_sgpr_workgroup_id_y 0
		.amdhsa_system_sgpr_workgroup_id_z 1
		.amdhsa_system_sgpr_workgroup_info 0
		.amdhsa_system_vgpr_workitem_id 0
		.amdhsa_next_free_vgpr 161
		.amdhsa_next_free_sgpr 53
		.amdhsa_named_barrier_count 0
		.amdhsa_reserve_vcc 1
		.amdhsa_float_round_mode_32 0
		.amdhsa_float_round_mode_16_64 0
		.amdhsa_float_denorm_mode_32 3
		.amdhsa_float_denorm_mode_16_64 3
		.amdhsa_fp16_overflow 0
		.amdhsa_memory_ordered 1
		.amdhsa_forward_progress 1
		.amdhsa_inst_pref_size 127
		.amdhsa_round_robin_scheduling 0
		.amdhsa_exception_fp_ieee_invalid_op 0
		.amdhsa_exception_fp_denorm_src 0
		.amdhsa_exception_fp_ieee_div_zero 0
		.amdhsa_exception_fp_ieee_overflow 0
		.amdhsa_exception_fp_ieee_underflow 0
		.amdhsa_exception_fp_ieee_inexact 0
		.amdhsa_exception_int_div_zero 0
	.end_amdhsa_kernel
	.section	.text._ZL31rocblas_trsm_small_right_deviceI19rocblas_complex_numIfES1_PKS1_PS1_Li32EEv13rocblas_fill_18rocblas_operation_17rocblas_diagonal_iiT0_T1_lilT2_lili,"axG",@progbits,_ZL31rocblas_trsm_small_right_deviceI19rocblas_complex_numIfES1_PKS1_PS1_Li32EEv13rocblas_fill_18rocblas_operation_17rocblas_diagonal_iiT0_T1_lilT2_lili,comdat
.Lfunc_end172:
	.size	_ZL31rocblas_trsm_small_right_deviceI19rocblas_complex_numIfES1_PKS1_PS1_Li32EEv13rocblas_fill_18rocblas_operation_17rocblas_diagonal_iiT0_T1_lilT2_lili, .Lfunc_end172-_ZL31rocblas_trsm_small_right_deviceI19rocblas_complex_numIfES1_PKS1_PS1_Li32EEv13rocblas_fill_18rocblas_operation_17rocblas_diagonal_iiT0_T1_lilT2_lili
                                        ; -- End function
	.set _ZL31rocblas_trsm_small_right_deviceI19rocblas_complex_numIfES1_PKS1_PS1_Li32EEv13rocblas_fill_18rocblas_operation_17rocblas_diagonal_iiT0_T1_lilT2_lili.num_vgpr, 46
	.set _ZL31rocblas_trsm_small_right_deviceI19rocblas_complex_numIfES1_PKS1_PS1_Li32EEv13rocblas_fill_18rocblas_operation_17rocblas_diagonal_iiT0_T1_lilT2_lili.num_agpr, 0
	.set _ZL31rocblas_trsm_small_right_deviceI19rocblas_complex_numIfES1_PKS1_PS1_Li32EEv13rocblas_fill_18rocblas_operation_17rocblas_diagonal_iiT0_T1_lilT2_lili.numbered_sgpr, 53
	.set _ZL31rocblas_trsm_small_right_deviceI19rocblas_complex_numIfES1_PKS1_PS1_Li32EEv13rocblas_fill_18rocblas_operation_17rocblas_diagonal_iiT0_T1_lilT2_lili.num_named_barrier, 0
	.set _ZL31rocblas_trsm_small_right_deviceI19rocblas_complex_numIfES1_PKS1_PS1_Li32EEv13rocblas_fill_18rocblas_operation_17rocblas_diagonal_iiT0_T1_lilT2_lili.private_seg_size, 0
	.set _ZL31rocblas_trsm_small_right_deviceI19rocblas_complex_numIfES1_PKS1_PS1_Li32EEv13rocblas_fill_18rocblas_operation_17rocblas_diagonal_iiT0_T1_lilT2_lili.uses_vcc, 1
	.set _ZL31rocblas_trsm_small_right_deviceI19rocblas_complex_numIfES1_PKS1_PS1_Li32EEv13rocblas_fill_18rocblas_operation_17rocblas_diagonal_iiT0_T1_lilT2_lili.uses_flat_scratch, 0
	.set _ZL31rocblas_trsm_small_right_deviceI19rocblas_complex_numIfES1_PKS1_PS1_Li32EEv13rocblas_fill_18rocblas_operation_17rocblas_diagonal_iiT0_T1_lilT2_lili.has_dyn_sized_stack, 0
	.set _ZL31rocblas_trsm_small_right_deviceI19rocblas_complex_numIfES1_PKS1_PS1_Li32EEv13rocblas_fill_18rocblas_operation_17rocblas_diagonal_iiT0_T1_lilT2_lili.has_recursion, 0
	.set _ZL31rocblas_trsm_small_right_deviceI19rocblas_complex_numIfES1_PKS1_PS1_Li32EEv13rocblas_fill_18rocblas_operation_17rocblas_diagonal_iiT0_T1_lilT2_lili.has_indirect_call, 0
	.section	.AMDGPU.csdata,"",@progbits
; Kernel info:
; codeLenInByte = 16180
; TotalNumSgprs: 55
; NumVgprs: 46
; ScratchSize: 0
; MemoryBound: 0
; FloatMode: 240
; IeeeMode: 1
; LDSByteSize: 16384 bytes/workgroup (compile time only)
; SGPRBlocks: 0
; VGPRBlocks: 10
; NumSGPRsForWavesPerEU: 55
; NumVGPRsForWavesPerEU: 161
; NamedBarCnt: 0
; Occupancy: 5
; WaveLimiterHint : 0
; COMPUTE_PGM_RSRC2:SCRATCH_EN: 0
; COMPUTE_PGM_RSRC2:USER_SGPR: 2
; COMPUTE_PGM_RSRC2:TRAP_HANDLER: 0
; COMPUTE_PGM_RSRC2:TGID_X_EN: 1
; COMPUTE_PGM_RSRC2:TGID_Y_EN: 0
; COMPUTE_PGM_RSRC2:TGID_Z_EN: 1
; COMPUTE_PGM_RSRC2:TIDIG_COMP_CNT: 0
	.section	.text._ZL38rocblas_trsm_small_left_device_sharedBILi64ELi32ELb0E19rocblas_complex_numIfES1_PKS1_PS1_Ev13rocblas_fill_18rocblas_operation_17rocblas_diagonal_iiT3_T4_lilT5_lili,"axG",@progbits,_ZL38rocblas_trsm_small_left_device_sharedBILi64ELi32ELb0E19rocblas_complex_numIfES1_PKS1_PS1_Ev13rocblas_fill_18rocblas_operation_17rocblas_diagonal_iiT3_T4_lilT5_lili,comdat
	.globl	_ZL38rocblas_trsm_small_left_device_sharedBILi64ELi32ELb0E19rocblas_complex_numIfES1_PKS1_PS1_Ev13rocblas_fill_18rocblas_operation_17rocblas_diagonal_iiT3_T4_lilT5_lili ; -- Begin function _ZL38rocblas_trsm_small_left_device_sharedBILi64ELi32ELb0E19rocblas_complex_numIfES1_PKS1_PS1_Ev13rocblas_fill_18rocblas_operation_17rocblas_diagonal_iiT3_T4_lilT5_lili
	.p2align	8
	.type	_ZL38rocblas_trsm_small_left_device_sharedBILi64ELi32ELb0E19rocblas_complex_numIfES1_PKS1_PS1_Ev13rocblas_fill_18rocblas_operation_17rocblas_diagonal_iiT3_T4_lilT5_lili,@function
_ZL38rocblas_trsm_small_left_device_sharedBILi64ELi32ELb0E19rocblas_complex_numIfES1_PKS1_PS1_Ev13rocblas_fill_18rocblas_operation_17rocblas_diagonal_iiT3_T4_lilT5_lili: ; @_ZL38rocblas_trsm_small_left_device_sharedBILi64ELi32ELb0E19rocblas_complex_numIfES1_PKS1_PS1_Ev13rocblas_fill_18rocblas_operation_17rocblas_diagonal_iiT3_T4_lilT5_lili
; %bb.0:
	s_load_b32 s30, s[0:1], 0x60
	s_bfe_u32 s2, ttmp6, 0x40014
	s_lshr_b32 s4, ttmp7, 16
	s_add_co_i32 s2, s2, 1
	s_bfe_u32 s5, ttmp6, 0x40008
	s_mul_i32 s2, s4, s2
	s_getreg_b32 s3, hwreg(HW_REG_IB_STS2, 6, 4)
	s_add_co_i32 s5, s5, s2
	s_cmp_eq_u32 s3, 0
	s_mov_b32 s15, 0
	s_cselect_b32 s2, s4, s5
	s_wait_kmcnt 0x0
	s_cmp_ge_u32 s2, s30
	s_cbranch_scc1 .LBB173_86
; %bb.1:
	s_clause 0x4
	s_load_b32 s20, s[0:1], 0x30
	s_load_b96 s[12:14], s[0:1], 0x48
	s_load_b128 s[8:11], s[0:1], 0x4
	s_load_b32 s4, s[0:1], 0x68
	s_load_b64 s[16:17], s[0:1], 0x14
	v_dual_mov_b32 v1, 0 :: v_dual_lshlrev_b32 v2, 3, v0
	v_mov_b64_e32 v[8:9], 0xbf80000000000000
	v_mov_b64_e32 v[12:13], 0x3f800000
	s_load_b128 s[24:27], s[0:1], 0x20
	s_delay_alu instid0(VALU_DEP_3) | instskip(SKIP_1) | instid1(VALU_DEP_1)
	v_or_b32_e32 v22, 0x8000, v2
	v_dual_lshlrev_b32 v11, 9, v0 :: v_dual_mov_b32 v3, v1
	v_add_nc_u32_e32 v23, v2, v11
	s_wait_kmcnt 0x0
	s_ashr_i32 s21, s20, 31
	s_ashr_i32 s19, s14, 31
	s_cmp_lg_u32 s8, 0x71
	s_mov_b32 s18, s14
	s_cselect_b32 s31, -1, 0
	s_bfe_u32 s5, ttmp6, 0x4000c
	s_min_i32 s33, s10, 64
	s_add_co_i32 s5, s5, 1
	s_and_b32 s6, ttmp6, 15
	s_mul_i32 s5, ttmp9, s5
	s_lshl_b64 s[12:13], s[12:13], 3
	s_add_co_i32 s4, s4, -1
	s_add_co_i32 s34, s33, -1
	s_add_co_i32 s6, s6, s5
	s_cmp_eq_u32 s3, 0
	v_mul_u64_e32 v[6:7], s[18:19], v[0:1]
	s_cselect_b32 s3, ttmp9, s6
	s_delay_alu instid0(SALU_CYCLE_1) | instskip(NEXT) | instid1(SALU_CYCLE_1)
	s_lshl_b32 s22, s3, 6
	s_sub_co_i32 s5, s11, s22
	s_cmp_ge_u32 s3, s4
	s_mov_b32 s11, s17
	s_cselect_b32 s3, s5, 64
	s_ashr_i32 s23, s22, 31
	v_cmp_gt_i32_e32 vcc_lo, s3, v0
	s_mul_u64 s[4:5], s[18:19], s[22:23]
	s_delay_alu instid0(SALU_CYCLE_1)
	s_lshl_b64 s[28:29], s[4:5], 3
	s_load_b128 s[4:7], s[0:1], 0x38
	s_cmp_lg_u32 s9, 0x84
	s_cselect_b32 s35, -1, 0
	s_cmp_gt_i32 s10, 0
	s_cselect_b32 s3, -1, 0
	s_cmp_lg_u32 s8, 0x6f
	s_cselect_b32 s36, -1, 0
	s_and_b32 s37, vcc_lo, s3
	s_cmp_gt_i32 s10, 1
	s_mov_b32 s10, s17
	s_cselect_b32 s38, -1, 0
	s_and_b32 s39, s33, 0x7e
	s_delay_alu instid0(SALU_CYCLE_1)
	s_cmp_lg_u32 s33, s39
	s_cselect_b32 s40, -1, 0
	s_lshl_b64 s[8:9], s[22:23], 3
	s_wait_kmcnt 0x0
	s_add_nc_u64 s[22:23], s[6:7], s[12:13]
	v_or_b32_e32 v10, s8, v2
	s_load_b64 s[6:7], s[0:1], 0x58
	s_wait_xcnt 0x0
	s_lshl_b64 s[0:1], s[26:27], 3
	s_lshl_b32 s41, s33, 9
	s_add_nc_u64 s[0:1], s[24:25], s[0:1]
	v_mad_nc_u64_u32 v[4:5], v10, s14, s[22:23]
	s_mov_b32 s8, s16
	s_mov_b32 s12, s17
	;; [unrolled: 1-line block ×3, first 2 shown]
	s_lshl_b64 s[4:5], s[4:5], 3
	s_lshl_b64 s[20:21], s[20:21], 3
	s_addk_co_i32 s41, 0xfe00
	s_get_pc_i64 s[24:25]
	s_add_nc_u64 s[24:25], s[24:25], __const._ZL38rocblas_trsm_small_left_device_sharedBILi64ELi32ELb0E19rocblas_complex_numIfES1_PKS1_PS1_Ev13rocblas_fill_18rocblas_operation_17rocblas_diagonal_iiT3_T4_lilT5_lili.step_sizes@rel64+4
	s_delay_alu instid0(VALU_DEP_1) | instskip(SKIP_1) | instid1(VALU_DEP_1)
	v_mad_u32 v5, s9, s14, v5
	s_mov_b32 s9, s16
	v_mad_u32 v5, v10, s19, v5
	v_add_nc_u64_e32 v[10:11], s[0:1], v[2:3]
	v_cmp_gt_i32_e64 s0, s33, v0
	s_add_nc_u64 s[18:19], s[22:23], s[28:29]
	s_wait_kmcnt 0x0
	s_lshl_b64 s[22:23], s[6:7], 3
	s_or_b32 s1, 0, 8
	v_add_nc_u64_e32 v[0:1], 4, v[10:11]
	v_add_nc_u64_e32 v[10:11], 4, v[4:5]
	s_branch .LBB173_3
.LBB173_2:                              ;   in Loop: Header=BB173_3 Depth=1
	s_or_b32 exec_lo, exec_lo, s3
	s_add_co_i32 s2, s2, 0x10000
	s_delay_alu instid0(SALU_CYCLE_1)
	s_cmp_lt_u32 s2, s30
	s_cbranch_scc0 .LBB173_86
.LBB173_3:                              ; =>This Loop Header: Depth=1
                                        ;     Child Loop BB173_6 Depth 2
                                        ;     Child Loop BB173_21 Depth 2
	;; [unrolled: 1-line block ×4, first 2 shown]
                                        ;       Child Loop BB173_32 Depth 3
                                        ;         Child Loop BB173_33 Depth 4
                                        ;         Child Loop BB173_37 Depth 4
                                        ;           Child Loop BB173_39 Depth 5
                                        ;           Child Loop BB173_45 Depth 5
                                        ;         Child Loop BB173_48 Depth 4
                                        ;           Child Loop BB173_50 Depth 5
                                        ;     Child Loop BB173_58 Depth 2
                                        ;       Child Loop BB173_61 Depth 3
                                        ;         Child Loop BB173_62 Depth 4
                                        ;         Child Loop BB173_66 Depth 4
                                        ;           Child Loop BB173_68 Depth 5
                                        ;           Child Loop BB173_74 Depth 5
                                        ;         Child Loop BB173_77 Depth 4
                                        ;           Child Loop BB173_79 Depth 5
                                        ;     Child Loop BB173_85 Depth 2
	s_mov_b32 s3, s15
	s_and_saveexec_b32 s14, s0
	s_cbranch_execz .LBB173_18
; %bb.4:                                ;   in Loop: Header=BB173_3 Depth=1
	s_delay_alu instid0(VALU_DEP_2) | instskip(SKIP_2) | instid1(VALU_DEP_2)
	v_mad_nc_u64_u32 v[14:15], s4, s2, v[0:1]
	v_mov_b32_e32 v3, v2
	s_mov_b32 s26, s33
	v_mad_u32 v15, s5, s2, v15
	s_branch .LBB173_6
.LBB173_5:                              ;   in Loop: Header=BB173_6 Depth=2
	global_load_b32 v16, v[14:15], off offset:-4
	s_wait_xcnt 0x0
	v_add_nc_u64_e32 v[14:15], s[20:21], v[14:15]
	s_add_co_i32 s26, s26, -1
	s_delay_alu instid0(SALU_CYCLE_1)
	s_cmp_eq_u32 s26, 0
	s_wait_loadcnt 0x0
	ds_store_b64 v3, v[16:17]
	v_add_nc_u32_e32 v3, 0x200, v3
	s_cbranch_scc1 .LBB173_10
.LBB173_6:                              ;   Parent Loop BB173_3 Depth=1
                                        ; =>  This Inner Loop Header: Depth=2
	s_and_b32 vcc_lo, exec_lo, s31
	s_mov_b32 s27, -1
                                        ; implicit-def: $vgpr17
	s_cbranch_vccz .LBB173_8
; %bb.7:                                ;   in Loop: Header=BB173_6 Depth=2
	global_load_b32 v17, v[14:15], off
	s_mov_b32 s27, 0
.LBB173_8:                              ;   in Loop: Header=BB173_6 Depth=2
	s_delay_alu instid0(SALU_CYCLE_1)
	s_and_not1_b32 vcc_lo, exec_lo, s27
	s_cbranch_vccnz .LBB173_5
; %bb.9:                                ;   in Loop: Header=BB173_6 Depth=2
	global_load_b32 v16, v[14:15], off
	s_wait_loadcnt 0x0
	v_xor_b32_e32 v17, 0x80000000, v16
	s_branch .LBB173_5
.LBB173_10:                             ;   in Loop: Header=BB173_3 Depth=1
	s_and_b32 vcc_lo, exec_lo, s35
	s_mov_b32 s26, -1
	s_cbranch_vccz .LBB173_16
; %bb.11:                               ;   in Loop: Header=BB173_3 Depth=1
	ds_load_b64 v[14:15], v23
                                        ; implicit-def: $vgpr16_vgpr17
	s_wait_dscnt 0x0
	v_cmp_ngt_f32_e64 s26, |v14|, |v15|
	s_and_saveexec_b32 s27, s26
	s_delay_alu instid0(SALU_CYCLE_1)
	s_xor_b32 s26, exec_lo, s27
	s_cbranch_execz .LBB173_13
; %bb.12:                               ;   in Loop: Header=BB173_3 Depth=1
	v_div_scale_f32 v3, null, v15, v15, v14
	v_div_scale_f32 v18, vcc_lo, v14, v15, v14
	s_delay_alu instid0(VALU_DEP_2) | instskip(SKIP_1) | instid1(TRANS32_DEP_1)
	v_rcp_f32_e32 v16, v3
	v_nop
	v_fma_f32 v17, -v3, v16, 1.0
	s_delay_alu instid0(VALU_DEP_1) | instskip(NEXT) | instid1(VALU_DEP_1)
	v_fmac_f32_e32 v16, v17, v16
	v_mul_f32_e32 v17, v18, v16
	s_delay_alu instid0(VALU_DEP_1) | instskip(NEXT) | instid1(VALU_DEP_1)
	v_fma_f32 v19, -v3, v17, v18
	v_fmac_f32_e32 v17, v19, v16
	s_delay_alu instid0(VALU_DEP_1) | instskip(NEXT) | instid1(VALU_DEP_1)
	v_fma_f32 v3, -v3, v17, v18
	v_div_fmas_f32 v3, v3, v16, v17
	s_delay_alu instid0(VALU_DEP_1) | instskip(NEXT) | instid1(VALU_DEP_1)
	v_div_fixup_f32 v16, v3, v15, v14
	v_fmac_f32_e32 v15, v14, v16
	s_delay_alu instid0(VALU_DEP_1) | instskip(SKIP_1) | instid1(VALU_DEP_2)
	v_div_scale_f32 v3, null, v15, v15, 1.0
	v_div_scale_f32 v18, vcc_lo, 1.0, v15, 1.0
	v_rcp_f32_e32 v14, v3
	v_nop
	s_delay_alu instid0(TRANS32_DEP_1) | instskip(NEXT) | instid1(VALU_DEP_1)
	v_fma_f32 v17, -v3, v14, 1.0
	v_fmac_f32_e32 v14, v17, v14
	s_delay_alu instid0(VALU_DEP_1) | instskip(NEXT) | instid1(VALU_DEP_1)
	v_mul_f32_e32 v17, v18, v14
	v_fma_f32 v19, -v3, v17, v18
	s_delay_alu instid0(VALU_DEP_1) | instskip(NEXT) | instid1(VALU_DEP_1)
	v_fmac_f32_e32 v17, v19, v14
	v_fma_f32 v3, -v3, v17, v18
	s_delay_alu instid0(VALU_DEP_1) | instskip(SKIP_1) | instid1(VALU_DEP_2)
	v_div_fmas_f32 v3, v3, v14, v17
	v_mul_f32_e32 v17, 0, v16
	v_div_fixup_f32 v14, v3, v15, 1.0
	s_delay_alu instid0(VALU_DEP_2) | instskip(NEXT) | instid1(VALU_DEP_1)
	v_pk_add_f32 v[16:17], v[16:17], v[8:9]
	v_pk_mul_f32 v[16:17], v[16:17], v[14:15] op_sel_hi:[1,0]
                                        ; implicit-def: $vgpr14_vgpr15
.LBB173_13:                             ;   in Loop: Header=BB173_3 Depth=1
	s_and_not1_saveexec_b32 s26, s26
	s_cbranch_execz .LBB173_15
; %bb.14:                               ;   in Loop: Header=BB173_3 Depth=1
	v_div_scale_f32 v3, null, v14, v14, v15
	v_div_scale_f32 v18, vcc_lo, v15, v14, v15
	s_delay_alu instid0(VALU_DEP_2) | instskip(SKIP_1) | instid1(TRANS32_DEP_1)
	v_rcp_f32_e32 v16, v3
	v_nop
	v_fma_f32 v17, -v3, v16, 1.0
	s_delay_alu instid0(VALU_DEP_1) | instskip(NEXT) | instid1(VALU_DEP_1)
	v_fmac_f32_e32 v16, v17, v16
	v_mul_f32_e32 v17, v18, v16
	s_delay_alu instid0(VALU_DEP_1) | instskip(NEXT) | instid1(VALU_DEP_1)
	v_fma_f32 v19, -v3, v17, v18
	v_fmac_f32_e32 v17, v19, v16
	s_delay_alu instid0(VALU_DEP_1) | instskip(NEXT) | instid1(VALU_DEP_1)
	v_fma_f32 v3, -v3, v17, v18
	v_div_fmas_f32 v3, v3, v16, v17
	s_delay_alu instid0(VALU_DEP_1) | instskip(NEXT) | instid1(VALU_DEP_1)
	v_div_fixup_f32 v3, v3, v14, v15
	v_fmac_f32_e32 v14, v15, v3
	s_delay_alu instid0(VALU_DEP_1) | instskip(SKIP_1) | instid1(VALU_DEP_2)
	v_div_scale_f32 v15, null, v14, v14, 1.0
	v_div_scale_f32 v18, vcc_lo, 1.0, v14, 1.0
	v_rcp_f32_e32 v16, v15
	v_nop
	s_delay_alu instid0(TRANS32_DEP_1) | instskip(NEXT) | instid1(VALU_DEP_1)
	v_fma_f32 v17, -v15, v16, 1.0
	v_fmac_f32_e32 v16, v17, v16
	s_delay_alu instid0(VALU_DEP_1) | instskip(NEXT) | instid1(VALU_DEP_1)
	v_mul_f32_e32 v17, v18, v16
	v_fma_f32 v19, -v15, v17, v18
	s_delay_alu instid0(VALU_DEP_1) | instskip(NEXT) | instid1(VALU_DEP_1)
	v_fmac_f32_e32 v17, v19, v16
	v_dual_fma_f32 v15, -v15, v17, v18 :: v_dual_mul_f32 v18, 0, v3
	s_delay_alu instid0(VALU_DEP_1) | instskip(NEXT) | instid1(VALU_DEP_2)
	v_div_fmas_f32 v15, v15, v16, v17
	v_dual_add_f32 v16, 1.0, v18 :: v_dual_sub_f32 v17, 0, v3
	s_delay_alu instid0(VALU_DEP_2) | instskip(NEXT) | instid1(VALU_DEP_1)
	v_div_fixup_f32 v14, v15, v14, 1.0
	v_pk_mul_f32 v[16:17], v[16:17], v[14:15] op_sel_hi:[1,0]
.LBB173_15:                             ;   in Loop: Header=BB173_3 Depth=1
	s_or_b32 exec_lo, exec_lo, s26
	s_mov_b32 s26, 0
	ds_store_b64 v23, v[16:17]
.LBB173_16:                             ;   in Loop: Header=BB173_3 Depth=1
	s_and_b32 vcc_lo, exec_lo, s26
	s_cbranch_vccz .LBB173_18
; %bb.17:                               ;   in Loop: Header=BB173_3 Depth=1
	ds_store_b64 v23, v[12:13]
.LBB173_18:                             ;   in Loop: Header=BB173_3 Depth=1
	s_or_b32 exec_lo, exec_lo, s14
	s_mul_u64 s[26:27], s[22:23], s[2:3]
	s_and_saveexec_b32 s42, s37
	s_cbranch_execz .LBB173_26
; %bb.19:                               ;   in Loop: Header=BB173_3 Depth=1
	s_and_not1_b32 vcc_lo, exec_lo, s38
	s_cbranch_vccnz .LBB173_23
; %bb.20:                               ;   in Loop: Header=BB173_3 Depth=1
	s_mul_u64 s[28:29], s[6:7], s[2:3]
	s_mov_b32 s14, 0
	s_lshl_b64 s[28:29], s[28:29], 3
	s_mov_b32 s3, s39
	s_add_nc_u64 s[28:29], s[18:19], s[28:29]
	s_delay_alu instid0(SALU_CYCLE_1)
	v_lshl_add_u64 v[14:15], v[6:7], 3, s[28:29]
	s_mov_b32 s28, 1
.LBB173_21:                             ;   Parent Loop BB173_3 Depth=1
                                        ; =>  This Inner Loop Header: Depth=2
	s_mov_b32 s29, s15
	s_delay_alu instid0(VALU_DEP_1)
	v_lshl_add_u64 v[16:17], s[14:15], 3, v[14:15]
	v_lshl_add_u64 v[18:19], s[28:29], 3, v[14:15]
	v_lshl_add_u32 v3, s14, 9, v22
	v_lshl_add_u32 v28, s28, 9, v22
	s_add_co_i32 s3, s3, -2
	s_clause 0x1
	global_load_b64 v[20:21], v[16:17], off
	global_load_b64 v[24:25], v[18:19], off
	s_wait_xcnt 0x1
	v_mov_b64_e32 v[16:17], s[10:11]
	s_wait_xcnt 0x0
	v_mov_b64_e32 v[18:19], s[8:9]
	s_add_co_i32 s14, s14, 2
	s_add_co_i32 s28, s28, 2
	s_mov_b32 s29, s39
	s_mov_b32 s43, s40
	s_cmp_lg_u32 s3, 0
	s_wait_loadcnt 0x0
	v_dual_mov_b32 v26, v20 :: v_dual_mov_b32 v27, v24
	v_mov_b32_e32 v24, v21
	s_delay_alu instid0(VALU_DEP_1) | instskip(SKIP_1) | instid1(VALU_DEP_2)
	v_pk_mul_f32 v[20:21], v[16:17], v[24:25]
	v_pk_mul_f32 v[24:25], v[18:19], v[24:25]
	v_pk_fma_f32 v[18:19], v[18:19], v[26:27], v[20:21] neg_lo:[0,0,1] neg_hi:[0,0,1]
	s_delay_alu instid0(VALU_DEP_2)
	v_pk_fma_f32 v[16:17], v[16:17], v[26:27], v[24:25]
	ds_store_b32 v3, v18
	ds_store_b32 v28, v19
	ds_store_b32 v3, v16 offset:4
	ds_store_b32 v28, v17 offset:4
	s_cbranch_scc1 .LBB173_21
; %bb.22:                               ;   in Loop: Header=BB173_3 Depth=1
	s_and_b32 vcc_lo, exec_lo, s43
	s_cbranch_vccnz .LBB173_24
	s_branch .LBB173_26
.LBB173_23:                             ;   in Loop: Header=BB173_3 Depth=1
	s_mov_b32 s29, 0
	s_cbranch_execz .LBB173_26
.LBB173_24:                             ;   in Loop: Header=BB173_3 Depth=1
	s_lshl_b32 s14, s29, 3
	v_lshl_add_u32 v3, s29, 9, v22
	s_add_nc_u64 s[44:45], s[26:27], s[14:15]
	s_sub_co_i32 s3, s33, s29
	v_add_nc_u64_e32 v[14:15], s[44:45], v[10:11]
.LBB173_25:                             ;   Parent Loop BB173_3 Depth=1
                                        ; =>  This Inner Loop Header: Depth=2
	global_load_b64 v[16:17], v[14:15], off offset:-4
	v_mov_b64_e32 v[18:19], s[12:13]
	v_mov_b64_e32 v[20:21], s[16:17]
	s_wait_xcnt 0x0
	v_add_nc_u64_e32 v[14:15], 8, v[14:15]
	s_add_co_i32 s3, s3, -1
	s_delay_alu instid0(SALU_CYCLE_1) | instskip(SKIP_2) | instid1(VALU_DEP_1)
	s_cmp_lg_u32 s3, 0
	s_wait_loadcnt 0x0
	v_pk_mul_f32 v[18:19], v[18:19], v[16:17] op_sel:[0,1]
	v_pk_fma_f32 v[24:25], v[20:21], v[16:17], v[18:19] op_sel_hi:[1,0,1]
	v_pk_fma_f32 v[16:17], v[20:21], v[16:17], v[18:19] neg_lo:[0,0,1] neg_hi:[0,0,1]
	s_delay_alu instid0(VALU_DEP_2)
	v_mov_b32_e32 v17, v25
	ds_store_b64 v3, v[16:17]
	v_add_nc_u32_e32 v3, 0x200, v3
	s_cbranch_scc1 .LBB173_25
.LBB173_26:                             ;   in Loop: Header=BB173_3 Depth=1
	s_or_b32 exec_lo, exec_lo, s42
	s_delay_alu instid0(SALU_CYCLE_1)
	s_and_not1_b32 vcc_lo, exec_lo, s36
	s_mov_b32 s3, -1
	s_wait_dscnt 0x0
	s_barrier_signal -1
	s_barrier_wait -1
	s_cbranch_vccnz .LBB173_55
; %bb.27:                               ;   in Loop: Header=BB173_3 Depth=1
	s_mov_b32 s14, 0
	s_mov_b32 s3, 0
	s_branch .LBB173_29
.LBB173_28:                             ;   in Loop: Header=BB173_29 Depth=2
	s_cmp_lt_i32 s3, s33
	s_cselect_b32 s28, -1, 0
	s_add_co_i32 s29, s14, 1
	s_cmp_lt_u32 s14, 2
	s_wait_xcnt 0x0
	s_cselect_b32 s14, -1, 0
	s_delay_alu instid0(SALU_CYCLE_1) | instskip(NEXT) | instid1(SALU_CYCLE_1)
	s_and_b32 s14, s28, s14
	s_and_b32 vcc_lo, exec_lo, s14
	s_mov_b32 s14, s29
	s_cbranch_vccz .LBB173_54
.LBB173_29:                             ;   Parent Loop BB173_3 Depth=1
                                        ; =>  This Loop Header: Depth=2
                                        ;       Child Loop BB173_32 Depth 3
                                        ;         Child Loop BB173_33 Depth 4
                                        ;         Child Loop BB173_37 Depth 4
                                        ;           Child Loop BB173_39 Depth 5
                                        ;           Child Loop BB173_45 Depth 5
                                        ;         Child Loop BB173_48 Depth 4
                                        ;           Child Loop BB173_50 Depth 5
	s_load_b32 s28, s[24:25], s14 offset:0x0 scale_offset
	s_wait_kmcnt 0x0
	s_add_co_i32 s29, s28, -1
	s_delay_alu instid0(SALU_CYCLE_1) | instskip(NEXT) | instid1(SALU_CYCLE_1)
	s_add_co_i32 s42, s29, s3
	s_cmp_ge_i32 s42, s33
	s_cbranch_scc1 .LBB173_28
; %bb.30:                               ;   in Loop: Header=BB173_29 Depth=2
	s_max_i32 s42, s28, 1
	s_cmp_lg_u32 s14, 2
	v_lshl_add_u32 v3, s3, 9, v22
	s_cselect_b32 s43, -1, 0
	s_and_b32 s44, s42, 0x7ffffffe
	s_mul_i32 s47, s3, 0x208
	s_cmp_lg_u32 s42, s44
	s_mul_i32 s48, s28, 0x208
	s_cselect_b32 s45, -1, 0
	s_lshl_b32 s46, s28, 9
	s_branch .LBB173_32
.LBB173_31:                             ;   in Loop: Header=BB173_32 Depth=3
	s_add_co_i32 s3, s3, s28
	v_add_nc_u32_e32 v3, s46, v3
	s_add_co_i32 s49, s29, s3
	s_add_co_i32 s47, s47, s48
	s_cmp_ge_i32 s49, s33
	s_cbranch_scc1 .LBB173_28
.LBB173_32:                             ;   Parent Loop BB173_3 Depth=1
                                        ;     Parent Loop BB173_29 Depth=2
                                        ; =>    This Loop Header: Depth=3
                                        ;         Child Loop BB173_33 Depth 4
                                        ;         Child Loop BB173_37 Depth 4
                                        ;           Child Loop BB173_39 Depth 5
                                        ;           Child Loop BB173_45 Depth 5
                                        ;         Child Loop BB173_48 Depth 4
                                        ;           Child Loop BB173_50 Depth 5
	s_wait_xcnt 0x0
	v_mov_b32_e32 v14, v3
	s_mov_b32 s49, 0
	s_mov_b32 s50, s42
.LBB173_33:                             ;   Parent Loop BB173_3 Depth=1
                                        ;     Parent Loop BB173_29 Depth=2
                                        ;       Parent Loop BB173_32 Depth=3
                                        ; =>      This Inner Loop Header: Depth=4
	ds_load_b64 v[16:17], v14
	v_add_nc_u32_e32 v14, 0x200, v14
	s_add_co_i32 s50, s50, -1
	s_wait_dscnt 0x0
	scratch_store_b64 off, v[16:17], s49
	s_wait_xcnt 0x0
	s_add_co_i32 s49, s49, 8
	s_cmp_eq_u32 s50, 0
	s_cbranch_scc0 .LBB173_33
; %bb.34:                               ;   in Loop: Header=BB173_32 Depth=3
	s_cmp_lt_i32 s3, 1
	s_cbranch_scc1 .LBB173_46
; %bb.35:                               ;   in Loop: Header=BB173_32 Depth=3
	s_mov_b32 s49, s3
	s_mov_b32 s50, 0
	;; [unrolled: 1-line block ×3, first 2 shown]
	s_branch .LBB173_37
.LBB173_36:                             ;   in Loop: Header=BB173_37 Depth=4
	s_add_co_i32 s51, s51, 1
	s_add_co_i32 s50, s50, 8
	s_cmp_eq_u32 s51, s3
	s_cbranch_scc1 .LBB173_46
.LBB173_37:                             ;   Parent Loop BB173_3 Depth=1
                                        ;     Parent Loop BB173_29 Depth=2
                                        ;       Parent Loop BB173_32 Depth=3
                                        ; =>      This Loop Header: Depth=4
                                        ;           Child Loop BB173_39 Depth 5
                                        ;           Child Loop BB173_45 Depth 5
	v_lshl_add_u32 v14, s51, 9, v22
	s_and_b32 vcc_lo, exec_lo, s43
	ds_load_b64 v[14:15], v14
	s_cbranch_vccz .LBB173_41
; %bb.38:                               ;   in Loop: Header=BB173_37 Depth=4
	s_wait_dscnt 0x0
	v_dual_mov_b32 v18, v14 :: v_dual_mov_b32 v19, v14
	v_dual_mov_b32 v16, v15 :: v_dual_mov_b32 v20, v15
	v_mov_b32_e32 v21, v15
	s_lshl_b32 s52, s51, 3
	s_mov_b32 s53, 1
	s_mov_b32 s54, 0
	;; [unrolled: 1-line block ×4, first 2 shown]
.LBB173_39:                             ;   Parent Loop BB173_3 Depth=1
                                        ;     Parent Loop BB173_29 Depth=2
                                        ;       Parent Loop BB173_32 Depth=3
                                        ;         Parent Loop BB173_37 Depth=4
                                        ; =>        This Inner Loop Header: Depth=5
	scratch_load_b128 v[24:27], off, s56 offset:-8
	s_add_co_i32 s57, s53, s49
	s_add_co_i32 s58, s54, s3
	s_lshl_b32 s57, s57, 9
	s_lshl_b32 s58, s58, 9
	s_add_co_i32 s57, s52, s57
	s_add_co_i32 s58, s52, s58
	s_delay_alu instid0(SALU_CYCLE_1)
	v_dual_mov_b32 v17, s57 :: v_dual_mov_b32 v30, s58
	s_add_co_i32 s55, s55, -2
	s_add_co_i32 s54, s54, 2
	ds_load_b64 v[28:29], v17
	ds_load_b64 v[30:31], v30
	s_add_co_i32 s53, s53, 2
	s_wait_dscnt 0x0
	v_dual_mov_b32 v33, v28 :: v_dual_mov_b32 v28, v31
	v_mov_b32_e32 v32, v30
	s_delay_alu instid0(VALU_DEP_2) | instskip(SKIP_1) | instid1(VALU_DEP_2)
	v_pk_mul_f32 v[30:31], v[28:29], v[20:21]
	v_pk_mul_f32 v[28:29], v[28:29], v[18:19]
	v_pk_fma_f32 v[30:31], v[32:33], v[18:19], v[30:31] neg_lo:[0,0,1] neg_hi:[0,0,1]
	s_delay_alu instid0(VALU_DEP_2) | instskip(SKIP_3) | instid1(VALU_DEP_2)
	v_pk_fma_f32 v[28:29], v[32:33], v[20:21], v[28:29]
	s_wait_loadcnt 0x0
	v_dual_mov_b32 v32, v24 :: v_dual_mov_b32 v33, v26
	v_mov_b32_e32 v26, v25
	v_pk_add_f32 v[30:31], v[32:33], v[30:31] neg_lo:[0,1] neg_hi:[0,1]
	s_delay_alu instid0(VALU_DEP_2) | instskip(NEXT) | instid1(VALU_DEP_1)
	v_pk_add_f32 v[26:27], v[26:27], v[28:29] neg_lo:[0,1] neg_hi:[0,1]
	v_dual_mov_b32 v24, v30 :: v_dual_mov_b32 v25, v26
	s_delay_alu instid0(VALU_DEP_3)
	v_mov_b32_e32 v26, v31
	scratch_store_b128 off, v[24:27], s56 offset:-8
	s_wait_xcnt 0x0
	s_add_co_i32 s56, s56, 16
	s_cmp_lg_u32 s55, 0
	s_cbranch_scc1 .LBB173_39
; %bb.40:                               ;   in Loop: Header=BB173_37 Depth=4
	s_mov_b32 s52, s45
	s_mov_b32 s53, s44
	s_branch .LBB173_43
.LBB173_41:                             ;   in Loop: Header=BB173_37 Depth=4
	s_wait_dscnt 0x0
	v_mov_b32_e32 v16, v15
	s_mov_b32 s52, 0
	s_mov_b32 s53, s44
	s_cbranch_execz .LBB173_43
; %bb.42:                               ;   in Loop: Header=BB173_37 Depth=4
	s_mov_b32 s52, -1
	s_mov_b32 s53, 0
.LBB173_43:                             ;   in Loop: Header=BB173_37 Depth=4
	s_and_not1_b32 vcc_lo, exec_lo, s52
	s_cbranch_vccnz .LBB173_36
; %bb.44:                               ;   in Loop: Header=BB173_37 Depth=4
	s_add_co_i32 s54, s3, s53
	v_dual_mov_b32 v17, v15 :: v_dual_mov_b32 v15, v14
	s_lshl_b32 s54, s54, 9
	s_lshl_b32 s55, s53, 3
	s_sub_co_i32 s52, s42, s53
	s_add_co_i32 s53, s50, s54
	s_mov_b32 s54, s55
.LBB173_45:                             ;   Parent Loop BB173_3 Depth=1
                                        ;     Parent Loop BB173_29 Depth=2
                                        ;       Parent Loop BB173_32 Depth=3
                                        ;         Parent Loop BB173_37 Depth=4
                                        ; =>        This Inner Loop Header: Depth=5
	scratch_load_b64 v[18:19], off, s54
	v_mov_b32_e32 v20, s53
	s_add_co_i32 s52, s52, -1
	s_addk_co_i32 s53, 0x200
	ds_load_b64 v[20:21], v20
	s_wait_dscnt 0x0
	v_pk_mul_f32 v[24:25], v[20:21], v[16:17] op_sel:[1,0] op_sel_hi:[0,1]
	s_delay_alu instid0(VALU_DEP_1) | instskip(SKIP_1) | instid1(VALU_DEP_2)
	v_pk_fma_f32 v[26:27], v[20:21], v[14:15], v[24:25]
	v_pk_fma_f32 v[20:21], v[20:21], v[14:15], v[24:25] neg_lo:[0,0,1] neg_hi:[0,0,1]
	v_mov_b32_e32 v21, v27
	s_wait_loadcnt 0x0
	s_delay_alu instid0(VALU_DEP_1)
	v_pk_add_f32 v[18:19], v[18:19], v[20:21] neg_lo:[0,1] neg_hi:[0,1]
	scratch_store_b64 off, v[18:19], s54
	s_wait_xcnt 0x0
	s_add_co_i32 s54, s54, 8
	s_cmp_eq_u32 s52, 0
	s_cbranch_scc0 .LBB173_45
	s_branch .LBB173_36
.LBB173_46:                             ;   in Loop: Header=BB173_32 Depth=3
	s_lshl_b32 s49, s3, 9
	s_mov_b32 s50, 0
	s_mov_b32 s51, s47
	s_branch .LBB173_48
.LBB173_47:                             ;   in Loop: Header=BB173_48 Depth=4
	s_wait_xcnt 0x0
	s_mulk_i32 s53, 0x208
	s_addk_co_i32 s51, 0x200
	v_mov_b32_e32 v15, s53
	s_lshl_b32 s53, s50, 3
	s_add_co_i32 s50, s50, 1
	s_delay_alu instid0(SALU_CYCLE_1) | instskip(SKIP_3) | instid1(VALU_DEP_1)
	s_cmp_eq_u32 s50, s42
	ds_load_b64 v[18:19], v15
	s_wait_dscnt 0x0
	v_pk_mul_f32 v[16:17], v[18:19], v[16:17] op_sel:[1,0] op_sel_hi:[0,0]
	v_pk_fma_f32 v[20:21], v[18:19], v[14:15], v[16:17] op_sel_hi:[1,0,1]
	v_add_nc_u32_e32 v20, s52, v22
	v_pk_fma_f32 v[14:15], v[18:19], v[14:15], v[16:17] neg_lo:[0,0,1] neg_hi:[0,0,1]
	s_delay_alu instid0(VALU_DEP_3)
	v_mov_b32_e32 v15, v21
	scratch_store_b64 off, v[14:15], s53
	ds_store_b64 v20, v[14:15]
	s_cbranch_scc1 .LBB173_31
.LBB173_48:                             ;   Parent Loop BB173_3 Depth=1
                                        ;     Parent Loop BB173_29 Depth=2
                                        ;       Parent Loop BB173_32 Depth=3
                                        ; =>      This Loop Header: Depth=4
                                        ;           Child Loop BB173_50 Depth 5
	s_cmp_lg_u32 s50, 0
	s_cbranch_scc0 .LBB173_52
; %bb.49:                               ;   in Loop: Header=BB173_48 Depth=4
	s_lshl_b32 s52, s50, 3
	s_wait_xcnt 0x0
	s_mov_b32 s53, 0
	scratch_load_b64 v[14:15], off, s52
	s_mov_b32 s54, s51
	s_mov_b32 s55, s50
.LBB173_50:                             ;   Parent Loop BB173_3 Depth=1
                                        ;     Parent Loop BB173_29 Depth=2
                                        ;       Parent Loop BB173_32 Depth=3
                                        ;         Parent Loop BB173_48 Depth=4
                                        ; =>        This Inner Loop Header: Depth=5
	scratch_load_b64 v[16:17], off, s53
	v_mov_b32_e32 v18, s54
	s_add_co_i32 s55, s55, -1
	s_wait_xcnt 0x0
	s_add_co_i32 s53, s53, 8
	s_add_co_i32 s54, s54, 8
	s_cmp_eq_u32 s55, 0
	ds_load_b64 v[18:19], v18
	s_wait_loadcnt_dscnt 0x0
	v_pk_mul_f32 v[20:21], v[18:19], v[16:17] op_sel:[1,1] op_sel_hi:[0,1]
	s_delay_alu instid0(VALU_DEP_1) | instskip(SKIP_1) | instid1(VALU_DEP_2)
	v_pk_fma_f32 v[24:25], v[18:19], v[16:17], v[20:21] op_sel_hi:[1,0,1]
	v_pk_fma_f32 v[16:17], v[18:19], v[16:17], v[20:21] neg_lo:[0,0,1] neg_hi:[0,0,1]
	v_mov_b32_e32 v17, v25
	s_delay_alu instid0(VALU_DEP_1)
	v_pk_add_f32 v[14:15], v[14:15], v[16:17] neg_lo:[0,1] neg_hi:[0,1]
	scratch_store_b64 off, v[14:15], s52
	s_cbranch_scc0 .LBB173_50
; %bb.51:                               ;   in Loop: Header=BB173_48 Depth=4
	v_mov_b32_e32 v16, v15
	s_add_co_i32 s53, s50, s3
	s_wait_xcnt 0x0
	s_lshl_b32 s52, s53, 9
	s_branch .LBB173_47
.LBB173_52:                             ;   in Loop: Header=BB173_48 Depth=4
                                        ; implicit-def: $vgpr14
                                        ; implicit-def: $vgpr16
                                        ; implicit-def: $sgpr53
                                        ; implicit-def: $sgpr52
	s_cbranch_execz .LBB173_47
; %bb.53:                               ;   in Loop: Header=BB173_48 Depth=4
	scratch_load_b64 v[14:15], off, off
	s_mov_b32 s52, s49
	s_mov_b32 s53, s3
	s_wait_loadcnt 0x0
	v_mov_b32_e32 v16, v15
	s_branch .LBB173_47
.LBB173_54:                             ;   in Loop: Header=BB173_3 Depth=1
	s_mov_b32 s3, 0
.LBB173_55:                             ;   in Loop: Header=BB173_3 Depth=1
	s_delay_alu instid0(SALU_CYCLE_1)
	s_and_b32 vcc_lo, exec_lo, s3
	s_cbranch_vccz .LBB173_83
; %bb.56:                               ;   in Loop: Header=BB173_3 Depth=1
	s_mov_b32 s14, 0
	s_mov_b32 s3, s34
	s_branch .LBB173_58
.LBB173_57:                             ;   in Loop: Header=BB173_58 Depth=2
	s_cmp_gt_i32 s3, -1
	s_cselect_b32 s28, -1, 0
	s_add_co_i32 s29, s14, 1
	s_cmp_lt_u32 s14, 2
	s_wait_xcnt 0x0
	s_cselect_b32 s14, -1, 0
	s_delay_alu instid0(SALU_CYCLE_1) | instskip(NEXT) | instid1(SALU_CYCLE_1)
	s_and_b32 s14, s28, s14
	s_and_not1_b32 vcc_lo, exec_lo, s14
	s_mov_b32 s14, s29
	s_cbranch_vccnz .LBB173_83
.LBB173_58:                             ;   Parent Loop BB173_3 Depth=1
                                        ; =>  This Loop Header: Depth=2
                                        ;       Child Loop BB173_61 Depth 3
                                        ;         Child Loop BB173_62 Depth 4
                                        ;         Child Loop BB173_66 Depth 4
                                        ;           Child Loop BB173_68 Depth 5
                                        ;           Child Loop BB173_74 Depth 5
                                        ;         Child Loop BB173_77 Depth 4
                                        ;           Child Loop BB173_79 Depth 5
	s_load_b32 s28, s[24:25], s14 offset:0x0 scale_offset
	s_wait_kmcnt 0x0
	s_add_co_i32 s29, s28, -1
	s_delay_alu instid0(SALU_CYCLE_1)
	s_cmp_lt_i32 s3, s29
	s_cbranch_scc1 .LBB173_57
; %bb.59:                               ;   in Loop: Header=BB173_58 Depth=2
	s_max_i32 s42, s28, 1
	s_cmp_lg_u32 s14, 2
	v_lshl_add_u32 v3, s3, 9, v22
	s_cselect_b32 s43, -1, 0
	s_and_b32 s44, s42, 0x7ffffffe
	s_mul_i32 s49, s3, 0x208
	s_cmp_lg_u32 s42, s44
	s_mul_i32 s50, s28, 0xfffffdf8
	s_cselect_b32 s45, -1, 0
	s_lshl_b32 s46, s28, 9
	s_lshl_b32 s47, s3, 3
	;; [unrolled: 1-line block ×3, first 2 shown]
	s_sub_co_i32 s46, 0, s46
	s_add_co_i32 s47, s41, s47
	s_sub_co_i32 s48, 0, s48
	s_branch .LBB173_61
.LBB173_60:                             ;   in Loop: Header=BB173_61 Depth=3
	v_add_nc_u32_e32 v3, s46, v3
	s_sub_co_i32 s3, s3, s28
	s_add_co_i32 s47, s47, s48
	s_add_co_i32 s49, s49, s50
	s_cmp_lt_i32 s3, s29
	s_cbranch_scc1 .LBB173_57
.LBB173_61:                             ;   Parent Loop BB173_3 Depth=1
                                        ;     Parent Loop BB173_58 Depth=2
                                        ; =>    This Loop Header: Depth=3
                                        ;         Child Loop BB173_62 Depth 4
                                        ;         Child Loop BB173_66 Depth 4
                                        ;           Child Loop BB173_68 Depth 5
                                        ;           Child Loop BB173_74 Depth 5
                                        ;         Child Loop BB173_77 Depth 4
                                        ;           Child Loop BB173_79 Depth 5
	s_wait_xcnt 0x0
	v_mov_b32_e32 v14, v3
	s_mov_b32 s51, 0
	s_mov_b32 s52, s42
.LBB173_62:                             ;   Parent Loop BB173_3 Depth=1
                                        ;     Parent Loop BB173_58 Depth=2
                                        ;       Parent Loop BB173_61 Depth=3
                                        ; =>      This Inner Loop Header: Depth=4
	ds_load_b64 v[16:17], v14
	v_add_nc_u32_e32 v14, 0xfffffe00, v14
	s_add_co_i32 s52, s52, -1
	s_wait_dscnt 0x0
	scratch_store_b64 off, v[16:17], s51
	s_wait_xcnt 0x0
	s_add_co_i32 s51, s51, 8
	s_cmp_eq_u32 s52, 0
	s_cbranch_scc0 .LBB173_62
; %bb.63:                               ;   in Loop: Header=BB173_61 Depth=3
	s_cmp_le_i32 s34, s3
	s_cbranch_scc1 .LBB173_75
; %bb.64:                               ;   in Loop: Header=BB173_61 Depth=3
	s_mov_b32 s51, s3
	s_mov_b32 s52, s47
	;; [unrolled: 1-line block ×3, first 2 shown]
	s_branch .LBB173_66
.LBB173_65:                             ;   in Loop: Header=BB173_66 Depth=4
	s_add_co_i32 s53, s53, -1
	s_addk_co_i32 s52, 0xfe00
	s_cmp_le_i32 s53, s3
	s_cbranch_scc1 .LBB173_75
.LBB173_66:                             ;   Parent Loop BB173_3 Depth=1
                                        ;     Parent Loop BB173_58 Depth=2
                                        ;       Parent Loop BB173_61 Depth=3
                                        ; =>      This Loop Header: Depth=4
                                        ;           Child Loop BB173_68 Depth 5
                                        ;           Child Loop BB173_74 Depth 5
	v_lshl_add_u32 v14, s53, 9, v22
	s_and_b32 vcc_lo, exec_lo, s43
	ds_load_b64 v[14:15], v14
	s_cbranch_vccz .LBB173_70
; %bb.67:                               ;   in Loop: Header=BB173_66 Depth=4
	s_wait_dscnt 0x0
	v_dual_mov_b32 v18, v14 :: v_dual_mov_b32 v19, v14
	v_dual_mov_b32 v16, v15 :: v_dual_mov_b32 v20, v15
	v_mov_b32_e32 v21, v15
	s_lshl_b32 s54, s53, 6
	s_mov_b32 s55, 1
	s_lshl_b32 s54, s54, 3
	s_mov_b32 s56, 0
	s_mov_b32 s57, s44
	;; [unrolled: 1-line block ×3, first 2 shown]
.LBB173_68:                             ;   Parent Loop BB173_3 Depth=1
                                        ;     Parent Loop BB173_58 Depth=2
                                        ;       Parent Loop BB173_61 Depth=3
                                        ;         Parent Loop BB173_66 Depth=4
                                        ; =>        This Inner Loop Header: Depth=5
	scratch_load_b128 v[24:27], off, s58 offset:-8
	s_sub_co_i32 s59, s51, s55
	s_sub_co_i32 s60, s3, s56
	s_lshl_b32 s59, s59, 3
	s_lshl_b32 s60, s60, 3
	s_add_co_i32 s59, s54, s59
	s_add_co_i32 s60, s54, s60
	s_delay_alu instid0(SALU_CYCLE_1)
	v_dual_mov_b32 v17, s59 :: v_dual_mov_b32 v30, s60
	s_add_co_i32 s57, s57, -2
	s_add_co_i32 s56, s56, 2
	ds_load_b64 v[28:29], v17
	ds_load_b64 v[30:31], v30
	s_add_co_i32 s55, s55, 2
	s_wait_dscnt 0x0
	v_dual_mov_b32 v33, v28 :: v_dual_mov_b32 v28, v31
	v_mov_b32_e32 v32, v30
	s_delay_alu instid0(VALU_DEP_2) | instskip(SKIP_1) | instid1(VALU_DEP_2)
	v_pk_mul_f32 v[30:31], v[28:29], v[20:21]
	v_pk_mul_f32 v[28:29], v[28:29], v[18:19]
	v_pk_fma_f32 v[30:31], v[32:33], v[18:19], v[30:31] neg_lo:[0,0,1] neg_hi:[0,0,1]
	s_delay_alu instid0(VALU_DEP_2) | instskip(SKIP_3) | instid1(VALU_DEP_2)
	v_pk_fma_f32 v[28:29], v[32:33], v[20:21], v[28:29]
	s_wait_loadcnt 0x0
	v_dual_mov_b32 v32, v24 :: v_dual_mov_b32 v33, v26
	v_mov_b32_e32 v26, v25
	v_pk_add_f32 v[30:31], v[32:33], v[30:31] neg_lo:[0,1] neg_hi:[0,1]
	s_delay_alu instid0(VALU_DEP_2) | instskip(NEXT) | instid1(VALU_DEP_1)
	v_pk_add_f32 v[26:27], v[26:27], v[28:29] neg_lo:[0,1] neg_hi:[0,1]
	v_dual_mov_b32 v24, v30 :: v_dual_mov_b32 v25, v26
	s_delay_alu instid0(VALU_DEP_3)
	v_mov_b32_e32 v26, v31
	scratch_store_b128 off, v[24:27], s58 offset:-8
	s_wait_xcnt 0x0
	s_add_co_i32 s58, s58, 16
	s_cmp_lg_u32 s57, 0
	s_cbranch_scc1 .LBB173_68
; %bb.69:                               ;   in Loop: Header=BB173_66 Depth=4
	s_mov_b32 s54, s45
	s_mov_b32 s55, s44
	s_branch .LBB173_72
.LBB173_70:                             ;   in Loop: Header=BB173_66 Depth=4
	s_wait_dscnt 0x0
	v_mov_b32_e32 v16, v15
	s_mov_b32 s54, 0
	s_mov_b32 s55, s44
	s_cbranch_execz .LBB173_72
; %bb.71:                               ;   in Loop: Header=BB173_66 Depth=4
	s_mov_b32 s54, -1
	s_mov_b32 s55, 0
.LBB173_72:                             ;   in Loop: Header=BB173_66 Depth=4
	s_and_not1_b32 vcc_lo, exec_lo, s54
	s_cbranch_vccnz .LBB173_65
; %bb.73:                               ;   in Loop: Header=BB173_66 Depth=4
	v_dual_mov_b32 v17, v15 :: v_dual_mov_b32 v15, v14
	s_lshl_b32 s56, s55, 3
	s_sub_co_i32 s54, s42, s55
	s_sub_co_i32 s55, s52, s56
.LBB173_74:                             ;   Parent Loop BB173_3 Depth=1
                                        ;     Parent Loop BB173_58 Depth=2
                                        ;       Parent Loop BB173_61 Depth=3
                                        ;         Parent Loop BB173_66 Depth=4
                                        ; =>        This Inner Loop Header: Depth=5
	scratch_load_b64 v[18:19], off, s56
	v_mov_b32_e32 v20, s55
	s_add_co_i32 s54, s54, -1
	s_add_co_i32 s55, s55, -8
	ds_load_b64 v[20:21], v20
	s_wait_dscnt 0x0
	v_pk_mul_f32 v[24:25], v[20:21], v[16:17] op_sel:[1,0] op_sel_hi:[0,1]
	s_delay_alu instid0(VALU_DEP_1) | instskip(SKIP_1) | instid1(VALU_DEP_2)
	v_pk_fma_f32 v[26:27], v[20:21], v[14:15], v[24:25]
	v_pk_fma_f32 v[20:21], v[20:21], v[14:15], v[24:25] neg_lo:[0,0,1] neg_hi:[0,0,1]
	v_mov_b32_e32 v21, v27
	s_wait_loadcnt 0x0
	s_delay_alu instid0(VALU_DEP_1)
	v_pk_add_f32 v[18:19], v[18:19], v[20:21] neg_lo:[0,1] neg_hi:[0,1]
	scratch_store_b64 off, v[18:19], s56
	s_wait_xcnt 0x0
	s_add_co_i32 s56, s56, 8
	s_cmp_eq_u32 s54, 0
	s_cbranch_scc0 .LBB173_74
	s_branch .LBB173_65
.LBB173_75:                             ;   in Loop: Header=BB173_61 Depth=3
	s_mov_b32 s51, 0
	s_mov_b32 s52, s49
	s_branch .LBB173_77
.LBB173_76:                             ;   in Loop: Header=BB173_77 Depth=4
	s_mul_i32 s54, s53, 0x208
	s_add_co_i32 s52, s52, -8
	v_mov_b32_e32 v15, s54
	s_lshl_b32 s54, s51, 3
	s_add_co_i32 s51, s51, 1
	s_delay_alu instid0(SALU_CYCLE_1) | instskip(SKIP_3) | instid1(VALU_DEP_1)
	s_cmp_eq_u32 s51, s42
	ds_load_b64 v[18:19], v15
	s_wait_dscnt 0x0
	v_pk_mul_f32 v[16:17], v[18:19], v[16:17] op_sel:[1,0] op_sel_hi:[0,0]
	v_pk_fma_f32 v[20:21], v[18:19], v[14:15], v[16:17] op_sel_hi:[1,0,1]
	v_pk_fma_f32 v[14:15], v[18:19], v[14:15], v[16:17] neg_lo:[0,0,1] neg_hi:[0,0,1]
	v_lshl_add_u32 v20, s53, 9, v22
	s_delay_alu instid0(VALU_DEP_3)
	v_mov_b32_e32 v15, v21
	scratch_store_b64 off, v[14:15], s54
	ds_store_b64 v20, v[14:15]
	s_cbranch_scc1 .LBB173_60
.LBB173_77:                             ;   Parent Loop BB173_3 Depth=1
                                        ;     Parent Loop BB173_58 Depth=2
                                        ;       Parent Loop BB173_61 Depth=3
                                        ; =>      This Loop Header: Depth=4
                                        ;           Child Loop BB173_79 Depth 5
	s_cmp_lg_u32 s51, 0
	s_cbranch_scc0 .LBB173_81
; %bb.78:                               ;   in Loop: Header=BB173_77 Depth=4
	s_lshl_b32 s53, s51, 3
	s_wait_xcnt 0x0
	s_mov_b32 s54, 0
	scratch_load_b64 v[14:15], off, s53
	s_mov_b32 s55, s52
	s_mov_b32 s56, s51
.LBB173_79:                             ;   Parent Loop BB173_3 Depth=1
                                        ;     Parent Loop BB173_58 Depth=2
                                        ;       Parent Loop BB173_61 Depth=3
                                        ;         Parent Loop BB173_77 Depth=4
                                        ; =>        This Inner Loop Header: Depth=5
	scratch_load_b64 v[16:17], off, s54
	v_mov_b32_e32 v18, s55
	s_add_co_i32 s56, s56, -1
	s_addk_co_i32 s55, 0xfe00
	s_wait_xcnt 0x0
	s_add_co_i32 s54, s54, 8
	s_cmp_eq_u32 s56, 0
	ds_load_b64 v[18:19], v18
	s_wait_loadcnt_dscnt 0x0
	v_pk_mul_f32 v[20:21], v[18:19], v[16:17] op_sel:[1,1] op_sel_hi:[0,1]
	s_delay_alu instid0(VALU_DEP_1) | instskip(SKIP_1) | instid1(VALU_DEP_2)
	v_pk_fma_f32 v[24:25], v[18:19], v[16:17], v[20:21] op_sel_hi:[1,0,1]
	v_pk_fma_f32 v[16:17], v[18:19], v[16:17], v[20:21] neg_lo:[0,0,1] neg_hi:[0,0,1]
	v_mov_b32_e32 v17, v25
	s_delay_alu instid0(VALU_DEP_1)
	v_pk_add_f32 v[14:15], v[14:15], v[16:17] neg_lo:[0,1] neg_hi:[0,1]
	scratch_store_b64 off, v[14:15], s53
	s_cbranch_scc0 .LBB173_79
; %bb.80:                               ;   in Loop: Header=BB173_77 Depth=4
	v_mov_b32_e32 v16, v15
	s_wait_xcnt 0x0
	s_sub_co_i32 s53, s3, s51
	s_branch .LBB173_76
.LBB173_81:                             ;   in Loop: Header=BB173_77 Depth=4
	s_wait_xcnt 0x0
                                        ; implicit-def: $vgpr14
                                        ; implicit-def: $vgpr16
                                        ; implicit-def: $sgpr53
	s_cbranch_execz .LBB173_76
; %bb.82:                               ;   in Loop: Header=BB173_77 Depth=4
	scratch_load_b64 v[14:15], off, off
	s_mov_b32 s53, s3
	s_wait_loadcnt 0x0
	v_mov_b32_e32 v16, v15
	s_branch .LBB173_76
.LBB173_83:                             ;   in Loop: Header=BB173_3 Depth=1
	s_wait_storecnt_dscnt 0x0
	s_barrier_signal -1
	s_barrier_wait -1
	s_wait_xcnt 0x0
	s_and_saveexec_b32 s3, s37
	s_cbranch_execz .LBB173_2
; %bb.84:                               ;   in Loop: Header=BB173_3 Depth=1
	v_add_nc_u64_e32 v[14:15], s[26:27], v[4:5]
	v_mov_b32_e32 v3, v22
	s_mov_b32 s14, s33
.LBB173_85:                             ;   Parent Loop BB173_3 Depth=1
                                        ; =>  This Inner Loop Header: Depth=2
	ds_load_b64 v[16:17], v3
	v_add_nc_u32_e32 v3, 0x200, v3
	s_add_co_i32 s14, s14, -1
	s_delay_alu instid0(SALU_CYCLE_1)
	s_cmp_lg_u32 s14, 0
	s_wait_dscnt 0x0
	global_store_b64 v[14:15], v[16:17], off
	s_wait_xcnt 0x0
	v_add_nc_u64_e32 v[14:15], 8, v[14:15]
	s_cbranch_scc1 .LBB173_85
	s_branch .LBB173_2
.LBB173_86:
	s_endpgm
	.section	.rodata,"a",@progbits
	.p2align	6, 0x0
	.amdhsa_kernel _ZL38rocblas_trsm_small_left_device_sharedBILi64ELi32ELb0E19rocblas_complex_numIfES1_PKS1_PS1_Ev13rocblas_fill_18rocblas_operation_17rocblas_diagonal_iiT3_T4_lilT5_lili
		.amdhsa_group_segment_fixed_size 65536
		.amdhsa_private_segment_fixed_size 272
		.amdhsa_kernarg_size 360
		.amdhsa_user_sgpr_count 2
		.amdhsa_user_sgpr_dispatch_ptr 0
		.amdhsa_user_sgpr_queue_ptr 0
		.amdhsa_user_sgpr_kernarg_segment_ptr 1
		.amdhsa_user_sgpr_dispatch_id 0
		.amdhsa_user_sgpr_kernarg_preload_length 0
		.amdhsa_user_sgpr_kernarg_preload_offset 0
		.amdhsa_user_sgpr_private_segment_size 0
		.amdhsa_wavefront_size32 1
		.amdhsa_uses_dynamic_stack 0
		.amdhsa_enable_private_segment 1
		.amdhsa_system_sgpr_workgroup_id_x 1
		.amdhsa_system_sgpr_workgroup_id_y 0
		.amdhsa_system_sgpr_workgroup_id_z 1
		.amdhsa_system_sgpr_workgroup_info 0
		.amdhsa_system_vgpr_workitem_id 0
		.amdhsa_next_free_vgpr 257
		.amdhsa_next_free_sgpr 61
		.amdhsa_named_barrier_count 0
		.amdhsa_reserve_vcc 1
		.amdhsa_float_round_mode_32 0
		.amdhsa_float_round_mode_16_64 0
		.amdhsa_float_denorm_mode_32 3
		.amdhsa_float_denorm_mode_16_64 3
		.amdhsa_fp16_overflow 0
		.amdhsa_memory_ordered 1
		.amdhsa_forward_progress 1
		.amdhsa_inst_pref_size 32
		.amdhsa_round_robin_scheduling 0
		.amdhsa_exception_fp_ieee_invalid_op 0
		.amdhsa_exception_fp_denorm_src 0
		.amdhsa_exception_fp_ieee_div_zero 0
		.amdhsa_exception_fp_ieee_overflow 0
		.amdhsa_exception_fp_ieee_underflow 0
		.amdhsa_exception_fp_ieee_inexact 0
		.amdhsa_exception_int_div_zero 0
	.end_amdhsa_kernel
	.section	.text._ZL38rocblas_trsm_small_left_device_sharedBILi64ELi32ELb0E19rocblas_complex_numIfES1_PKS1_PS1_Ev13rocblas_fill_18rocblas_operation_17rocblas_diagonal_iiT3_T4_lilT5_lili,"axG",@progbits,_ZL38rocblas_trsm_small_left_device_sharedBILi64ELi32ELb0E19rocblas_complex_numIfES1_PKS1_PS1_Ev13rocblas_fill_18rocblas_operation_17rocblas_diagonal_iiT3_T4_lilT5_lili,comdat
.Lfunc_end173:
	.size	_ZL38rocblas_trsm_small_left_device_sharedBILi64ELi32ELb0E19rocblas_complex_numIfES1_PKS1_PS1_Ev13rocblas_fill_18rocblas_operation_17rocblas_diagonal_iiT3_T4_lilT5_lili, .Lfunc_end173-_ZL38rocblas_trsm_small_left_device_sharedBILi64ELi32ELb0E19rocblas_complex_numIfES1_PKS1_PS1_Ev13rocblas_fill_18rocblas_operation_17rocblas_diagonal_iiT3_T4_lilT5_lili
                                        ; -- End function
	.set _ZL38rocblas_trsm_small_left_device_sharedBILi64ELi32ELb0E19rocblas_complex_numIfES1_PKS1_PS1_Ev13rocblas_fill_18rocblas_operation_17rocblas_diagonal_iiT3_T4_lilT5_lili.num_vgpr, 34
	.set _ZL38rocblas_trsm_small_left_device_sharedBILi64ELi32ELb0E19rocblas_complex_numIfES1_PKS1_PS1_Ev13rocblas_fill_18rocblas_operation_17rocblas_diagonal_iiT3_T4_lilT5_lili.num_agpr, 0
	.set _ZL38rocblas_trsm_small_left_device_sharedBILi64ELi32ELb0E19rocblas_complex_numIfES1_PKS1_PS1_Ev13rocblas_fill_18rocblas_operation_17rocblas_diagonal_iiT3_T4_lilT5_lili.numbered_sgpr, 61
	.set _ZL38rocblas_trsm_small_left_device_sharedBILi64ELi32ELb0E19rocblas_complex_numIfES1_PKS1_PS1_Ev13rocblas_fill_18rocblas_operation_17rocblas_diagonal_iiT3_T4_lilT5_lili.num_named_barrier, 0
	.set _ZL38rocblas_trsm_small_left_device_sharedBILi64ELi32ELb0E19rocblas_complex_numIfES1_PKS1_PS1_Ev13rocblas_fill_18rocblas_operation_17rocblas_diagonal_iiT3_T4_lilT5_lili.private_seg_size, 272
	.set _ZL38rocblas_trsm_small_left_device_sharedBILi64ELi32ELb0E19rocblas_complex_numIfES1_PKS1_PS1_Ev13rocblas_fill_18rocblas_operation_17rocblas_diagonal_iiT3_T4_lilT5_lili.uses_vcc, 1
	.set _ZL38rocblas_trsm_small_left_device_sharedBILi64ELi32ELb0E19rocblas_complex_numIfES1_PKS1_PS1_Ev13rocblas_fill_18rocblas_operation_17rocblas_diagonal_iiT3_T4_lilT5_lili.uses_flat_scratch, 0
	.set _ZL38rocblas_trsm_small_left_device_sharedBILi64ELi32ELb0E19rocblas_complex_numIfES1_PKS1_PS1_Ev13rocblas_fill_18rocblas_operation_17rocblas_diagonal_iiT3_T4_lilT5_lili.has_dyn_sized_stack, 0
	.set _ZL38rocblas_trsm_small_left_device_sharedBILi64ELi32ELb0E19rocblas_complex_numIfES1_PKS1_PS1_Ev13rocblas_fill_18rocblas_operation_17rocblas_diagonal_iiT3_T4_lilT5_lili.has_recursion, 0
	.set _ZL38rocblas_trsm_small_left_device_sharedBILi64ELi32ELb0E19rocblas_complex_numIfES1_PKS1_PS1_Ev13rocblas_fill_18rocblas_operation_17rocblas_diagonal_iiT3_T4_lilT5_lili.has_indirect_call, 0
	.section	.AMDGPU.csdata,"",@progbits
; Kernel info:
; codeLenInByte = 3976
; TotalNumSgprs: 63
; NumVgprs: 34
; ScratchSize: 272
; MemoryBound: 0
; FloatMode: 240
; IeeeMode: 1
; LDSByteSize: 65536 bytes/workgroup (compile time only)
; SGPRBlocks: 0
; VGPRBlocks: 16
; NumSGPRsForWavesPerEU: 63
; NumVGPRsForWavesPerEU: 257
; NamedBarCnt: 0
; Occupancy: 3
; WaveLimiterHint : 0
; COMPUTE_PGM_RSRC2:SCRATCH_EN: 1
; COMPUTE_PGM_RSRC2:USER_SGPR: 2
; COMPUTE_PGM_RSRC2:TRAP_HANDLER: 0
; COMPUTE_PGM_RSRC2:TGID_X_EN: 1
; COMPUTE_PGM_RSRC2:TGID_Y_EN: 0
; COMPUTE_PGM_RSRC2:TGID_Z_EN: 1
; COMPUTE_PGM_RSRC2:TIDIG_COMP_CNT: 0
	.section	.text._ZL30rocblas_trsm_small_left_deviceILi64ELi32ELb0E19rocblas_complex_numIfES1_PKS1_PS1_Ev13rocblas_fill_18rocblas_operation_17rocblas_diagonal_iiT3_T4_lilT5_lili,"axG",@progbits,_ZL30rocblas_trsm_small_left_deviceILi64ELi32ELb0E19rocblas_complex_numIfES1_PKS1_PS1_Ev13rocblas_fill_18rocblas_operation_17rocblas_diagonal_iiT3_T4_lilT5_lili,comdat
	.globl	_ZL30rocblas_trsm_small_left_deviceILi64ELi32ELb0E19rocblas_complex_numIfES1_PKS1_PS1_Ev13rocblas_fill_18rocblas_operation_17rocblas_diagonal_iiT3_T4_lilT5_lili ; -- Begin function _ZL30rocblas_trsm_small_left_deviceILi64ELi32ELb0E19rocblas_complex_numIfES1_PKS1_PS1_Ev13rocblas_fill_18rocblas_operation_17rocblas_diagonal_iiT3_T4_lilT5_lili
	.p2align	8
	.type	_ZL30rocblas_trsm_small_left_deviceILi64ELi32ELb0E19rocblas_complex_numIfES1_PKS1_PS1_Ev13rocblas_fill_18rocblas_operation_17rocblas_diagonal_iiT3_T4_lilT5_lili,@function
_ZL30rocblas_trsm_small_left_deviceILi64ELi32ELb0E19rocblas_complex_numIfES1_PKS1_PS1_Ev13rocblas_fill_18rocblas_operation_17rocblas_diagonal_iiT3_T4_lilT5_lili: ; @_ZL30rocblas_trsm_small_left_deviceILi64ELi32ELb0E19rocblas_complex_numIfES1_PKS1_PS1_Ev13rocblas_fill_18rocblas_operation_17rocblas_diagonal_iiT3_T4_lilT5_lili
; %bb.0:
	s_load_b32 s28, s[0:1], 0x60
	s_bfe_u32 s2, ttmp6, 0x40014
	s_lshr_b32 s4, ttmp7, 16
	s_add_co_i32 s2, s2, 1
	s_bfe_u32 s5, ttmp6, 0x40008
	s_mul_i32 s2, s4, s2
	s_getreg_b32 s3, hwreg(HW_REG_IB_STS2, 6, 4)
	s_add_co_i32 s5, s5, s2
	s_cmp_eq_u32 s3, 0
	s_mov_b32 s17, 0
	s_cselect_b32 s2, s4, s5
	s_wait_kmcnt 0x0
	s_cmp_ge_u32 s2, s28
	s_cbranch_scc1 .LBB174_88
; %bb.1:
	s_clause 0x5
	s_load_b32 s24, s[0:1], 0x30
	s_load_b96 s[8:10], s[0:1], 0x48
	s_load_b128 s[4:7], s[0:1], 0x4
	s_load_b32 s12, s[0:1], 0x68
	s_load_b64 s[18:19], s[0:1], 0x14
	s_load_b64 s[20:21], s[0:1], 0x58
	v_mov_b64_e32 v[4:5], 0xbf80000000000000
	v_mov_b64_e32 v[10:11], 0x3f800000
	s_get_pc_i64 s[22:23]
	s_add_nc_u64 s[22:23], s[22:23], __const._ZL30rocblas_trsm_small_left_deviceILi64ELi32ELb0E19rocblas_complex_numIfES1_PKS1_PS1_Ev13rocblas_fill_18rocblas_operation_17rocblas_diagonal_iiT3_T4_lilT5_lili.step_sizes@rel64+4
	v_lshlrev_b32_e32 v1, 9, v0
	s_wait_kmcnt 0x0
	s_ashr_i32 s25, s24, 31
	s_ashr_i32 s11, s10, 31
	s_cmp_lg_u32 s4, 0x71
	s_cselect_b32 s29, -1, 0
	s_min_i32 s30, s6, 64
	s_bfe_u32 s6, ttmp6, 0x4000c
	s_lshl_b64 s[26:27], s[8:9], 3
	s_add_co_i32 s6, s6, 1
	s_and_b32 s8, ttmp6, 15
	s_mul_i32 s6, ttmp9, s6
	s_add_co_i32 s16, s12, -1
	s_add_co_i32 s31, s30, -1
	s_add_co_i32 s8, s8, s6
	s_cmp_eq_u32 s3, 0
	s_mov_b32 s36, s18
	s_cselect_b32 s3, ttmp9, s8
	s_mov_b32 s37, s18
	s_lshl_b32 s6, s3, 6
	s_mov_b32 s38, s19
	v_or_b32_e32 v2, s6, v0
	s_mov_b32 s39, s19
	v_mov_b64_e32 v[14:15], s[36:37]
	v_mov_b64_e32 v[12:13], s[38:39]
	s_mov_b32 s37, 0
	v_ashrrev_i32_e32 v3, 31, v2
                                        ; implicit-def: $sgpr38
                                        ; implicit-def: $sgpr39
	s_delay_alu instid0(VALU_DEP_1)
	v_mul_u64_e32 v[6:7], s[10:11], v[2:3]
	s_clause 0x1
	s_load_b128 s[12:15], s[0:1], 0x20
	s_load_b128 s[8:11], s[0:1], 0x38
	s_wait_xcnt 0x0
	s_sub_co_i32 s0, s7, s6
	s_cmp_ge_u32 s3, s16
	v_lshlrev_b32_e32 v2, 3, v0
	s_cselect_b32 s1, s0, 64
	s_cmp_lg_u32 s5, 0x84
	v_mov_b32_e32 v3, 0
	s_cselect_b32 s33, -1, 0
	s_cmp_lg_u32 s4, 0x6f
	v_add_nc_u32_e32 v28, v2, v1
	s_cselect_b32 s34, -1, 0
	v_cmp_gt_i32_e64 s0, s30, v0
	v_cmp_gt_i32_e64 s1, s1, v0
	s_lshl_b32 s3, s30, 9
	s_mov_b32 s6, s19
	s_mov_b32 s7, s18
	s_or_b32 s35, 0, 8
	s_add_co_i32 s36, s3, 0xfffffe00
	s_wait_kmcnt 0x0
	s_lshl_b64 s[4:5], s[14:15], 3
	s_add_nc_u64 s[10:11], s[10:11], s[26:27]
	s_add_nc_u64 s[4:5], s[12:13], s[4:5]
	s_delay_alu instid0(SALU_CYCLE_1) | instskip(SKIP_3) | instid1(VALU_DEP_2)
	v_add_nc_u64_e32 v[8:9], s[4:5], v[2:3]
	s_lshl_b64 s[4:5], s[8:9], 3
	s_lshl_b64 s[8:9], s[24:25], 3
	v_lshl_add_u64 v[0:1], v[6:7], 3, s[10:11]
	v_add_nc_u64_e32 v[6:7], 4, v[8:9]
	s_lshl_b64 s[10:11], s[20:21], 3
	s_delay_alu instid0(VALU_DEP_2)
	v_add_nc_u64_e32 v[8:9], 4, v[0:1]
	s_branch .LBB174_4
.LBB174_2:                              ;   in Loop: Header=BB174_4 Depth=1
	s_add_co_i32 s2, s2, 0x10000
	s_delay_alu instid0(SALU_CYCLE_1)
	s_cmp_ge_u32 s2, s28
	s_cselect_b32 s3, -1, 0
	s_and_not1_b32 s39, s39, exec_lo
	s_or_not1_b32 s12, s3, exec_lo
.LBB174_3:                              ;   in Loop: Header=BB174_4 Depth=1
	s_wait_xcnt 0x0
	s_or_b32 exec_lo, exec_lo, s40
	s_delay_alu instid0(SALU_CYCLE_1) | instskip(NEXT) | instid1(SALU_CYCLE_1)
	s_and_b32 s3, exec_lo, s12
	s_or_b32 s37, s3, s37
	s_and_not1_b32 s3, s38, exec_lo
	s_and_b32 s12, s39, exec_lo
	s_delay_alu instid0(SALU_CYCLE_1)
	s_or_b32 s38, s3, s12
	s_and_not1_b32 exec_lo, exec_lo, s37
	s_cbranch_execz .LBB174_87
.LBB174_4:                              ; =>This Loop Header: Depth=1
                                        ;     Child Loop BB174_7 Depth 2
                                        ;     Child Loop BB174_23 Depth 2
                                        ;       Child Loop BB174_26 Depth 3
                                        ;         Child Loop BB174_28 Depth 4
                                        ;         Child Loop BB174_32 Depth 4
	;; [unrolled: 1-line block ×3, first 2 shown]
                                        ;           Child Loop BB174_38 Depth 5
                                        ;           Child Loop BB174_44 Depth 5
                                        ;         Child Loop BB174_47 Depth 4
                                        ;           Child Loop BB174_49 Depth 5
                                        ;     Child Loop BB174_57 Depth 2
                                        ;       Child Loop BB174_60 Depth 3
                                        ;         Child Loop BB174_62 Depth 4
                                        ;         Child Loop BB174_66 Depth 4
	;; [unrolled: 1-line block ×3, first 2 shown]
                                        ;           Child Loop BB174_72 Depth 5
                                        ;           Child Loop BB174_78 Depth 5
                                        ;         Child Loop BB174_81 Depth 4
                                        ;           Child Loop BB174_83 Depth 5
	s_mov_b32 s3, s17
	s_and_saveexec_b32 s12, s0
	s_cbranch_execz .LBB174_19
; %bb.5:                                ;   in Loop: Header=BB174_4 Depth=1
	v_mad_nc_u64_u32 v[16:17], s4, s2, v[6:7]
	v_mov_b32_e32 v3, v2
	s_mov_b32 s13, s30
	s_delay_alu instid0(VALU_DEP_2)
	v_mad_u32 v17, s5, s2, v17
	s_branch .LBB174_7
.LBB174_6:                              ;   in Loop: Header=BB174_7 Depth=2
	global_load_b32 v18, v[16:17], off offset:-4
	s_wait_xcnt 0x0
	v_add_nc_u64_e32 v[16:17], s[8:9], v[16:17]
	s_add_co_i32 s13, s13, -1
	s_delay_alu instid0(SALU_CYCLE_1)
	s_cmp_eq_u32 s13, 0
	s_wait_loadcnt 0x0
	ds_store_b64 v3, v[18:19]
	v_add_nc_u32_e32 v3, 0x200, v3
	s_cbranch_scc1 .LBB174_11
.LBB174_7:                              ;   Parent Loop BB174_4 Depth=1
                                        ; =>  This Inner Loop Header: Depth=2
	s_and_b32 vcc_lo, exec_lo, s29
	s_mov_b32 s14, -1
                                        ; implicit-def: $vgpr19
	s_cbranch_vccz .LBB174_9
; %bb.8:                                ;   in Loop: Header=BB174_7 Depth=2
	global_load_b32 v19, v[16:17], off
	s_mov_b32 s14, 0
.LBB174_9:                              ;   in Loop: Header=BB174_7 Depth=2
	s_delay_alu instid0(SALU_CYCLE_1)
	s_and_not1_b32 vcc_lo, exec_lo, s14
	s_cbranch_vccnz .LBB174_6
; %bb.10:                               ;   in Loop: Header=BB174_7 Depth=2
	global_load_b32 v18, v[16:17], off
	s_wait_loadcnt 0x0
	v_xor_b32_e32 v19, 0x80000000, v18
	s_branch .LBB174_6
.LBB174_11:                             ;   in Loop: Header=BB174_4 Depth=1
	s_and_b32 vcc_lo, exec_lo, s33
	s_mov_b32 s13, -1
	s_cbranch_vccz .LBB174_17
; %bb.12:                               ;   in Loop: Header=BB174_4 Depth=1
	ds_load_b64 v[16:17], v28
                                        ; implicit-def: $vgpr18_vgpr19
	s_wait_dscnt 0x0
	v_cmp_ngt_f32_e64 s13, |v16|, |v17|
	s_and_saveexec_b32 s14, s13
	s_delay_alu instid0(SALU_CYCLE_1)
	s_xor_b32 s13, exec_lo, s14
	s_cbranch_execz .LBB174_14
; %bb.13:                               ;   in Loop: Header=BB174_4 Depth=1
	v_div_scale_f32 v3, null, v17, v17, v16
	v_div_scale_f32 v20, vcc_lo, v16, v17, v16
	s_delay_alu instid0(VALU_DEP_2) | instskip(SKIP_1) | instid1(TRANS32_DEP_1)
	v_rcp_f32_e32 v18, v3
	v_nop
	v_fma_f32 v19, -v3, v18, 1.0
	s_delay_alu instid0(VALU_DEP_1) | instskip(NEXT) | instid1(VALU_DEP_1)
	v_fmac_f32_e32 v18, v19, v18
	v_mul_f32_e32 v19, v20, v18
	s_delay_alu instid0(VALU_DEP_1) | instskip(NEXT) | instid1(VALU_DEP_1)
	v_fma_f32 v21, -v3, v19, v20
	v_fmac_f32_e32 v19, v21, v18
	s_delay_alu instid0(VALU_DEP_1) | instskip(NEXT) | instid1(VALU_DEP_1)
	v_fma_f32 v3, -v3, v19, v20
	v_div_fmas_f32 v3, v3, v18, v19
	s_delay_alu instid0(VALU_DEP_1) | instskip(NEXT) | instid1(VALU_DEP_1)
	v_div_fixup_f32 v18, v3, v17, v16
	v_fmac_f32_e32 v17, v16, v18
	s_delay_alu instid0(VALU_DEP_1) | instskip(SKIP_1) | instid1(VALU_DEP_2)
	v_div_scale_f32 v3, null, v17, v17, 1.0
	v_div_scale_f32 v20, vcc_lo, 1.0, v17, 1.0
	v_rcp_f32_e32 v16, v3
	v_nop
	s_delay_alu instid0(TRANS32_DEP_1) | instskip(NEXT) | instid1(VALU_DEP_1)
	v_fma_f32 v19, -v3, v16, 1.0
	v_fmac_f32_e32 v16, v19, v16
	s_delay_alu instid0(VALU_DEP_1) | instskip(NEXT) | instid1(VALU_DEP_1)
	v_mul_f32_e32 v19, v20, v16
	v_fma_f32 v21, -v3, v19, v20
	s_delay_alu instid0(VALU_DEP_1) | instskip(NEXT) | instid1(VALU_DEP_1)
	v_fmac_f32_e32 v19, v21, v16
	v_fma_f32 v3, -v3, v19, v20
	s_delay_alu instid0(VALU_DEP_1) | instskip(SKIP_1) | instid1(VALU_DEP_2)
	v_div_fmas_f32 v3, v3, v16, v19
	v_mul_f32_e32 v19, 0, v18
	v_div_fixup_f32 v16, v3, v17, 1.0
	s_delay_alu instid0(VALU_DEP_2) | instskip(NEXT) | instid1(VALU_DEP_1)
	v_pk_add_f32 v[18:19], v[18:19], v[4:5]
	v_pk_mul_f32 v[18:19], v[18:19], v[16:17] op_sel_hi:[1,0]
                                        ; implicit-def: $vgpr16_vgpr17
.LBB174_14:                             ;   in Loop: Header=BB174_4 Depth=1
	s_and_not1_saveexec_b32 s13, s13
	s_cbranch_execz .LBB174_16
; %bb.15:                               ;   in Loop: Header=BB174_4 Depth=1
	v_div_scale_f32 v3, null, v16, v16, v17
	v_div_scale_f32 v20, vcc_lo, v17, v16, v17
	s_delay_alu instid0(VALU_DEP_2) | instskip(SKIP_1) | instid1(TRANS32_DEP_1)
	v_rcp_f32_e32 v18, v3
	v_nop
	v_fma_f32 v19, -v3, v18, 1.0
	s_delay_alu instid0(VALU_DEP_1) | instskip(NEXT) | instid1(VALU_DEP_1)
	v_fmac_f32_e32 v18, v19, v18
	v_mul_f32_e32 v19, v20, v18
	s_delay_alu instid0(VALU_DEP_1) | instskip(NEXT) | instid1(VALU_DEP_1)
	v_fma_f32 v21, -v3, v19, v20
	v_fmac_f32_e32 v19, v21, v18
	s_delay_alu instid0(VALU_DEP_1) | instskip(NEXT) | instid1(VALU_DEP_1)
	v_fma_f32 v3, -v3, v19, v20
	v_div_fmas_f32 v3, v3, v18, v19
	s_delay_alu instid0(VALU_DEP_1) | instskip(NEXT) | instid1(VALU_DEP_1)
	v_div_fixup_f32 v3, v3, v16, v17
	v_fmac_f32_e32 v16, v17, v3
	s_delay_alu instid0(VALU_DEP_1) | instskip(SKIP_1) | instid1(VALU_DEP_2)
	v_div_scale_f32 v17, null, v16, v16, 1.0
	v_div_scale_f32 v20, vcc_lo, 1.0, v16, 1.0
	v_rcp_f32_e32 v18, v17
	v_nop
	s_delay_alu instid0(TRANS32_DEP_1) | instskip(NEXT) | instid1(VALU_DEP_1)
	v_fma_f32 v19, -v17, v18, 1.0
	v_fmac_f32_e32 v18, v19, v18
	s_delay_alu instid0(VALU_DEP_1) | instskip(NEXT) | instid1(VALU_DEP_1)
	v_mul_f32_e32 v19, v20, v18
	v_fma_f32 v21, -v17, v19, v20
	s_delay_alu instid0(VALU_DEP_1) | instskip(NEXT) | instid1(VALU_DEP_1)
	v_fmac_f32_e32 v19, v21, v18
	v_fma_f32 v17, -v17, v19, v20
	v_mul_f32_e32 v20, 0, v3
	s_delay_alu instid0(VALU_DEP_2) | instskip(NEXT) | instid1(VALU_DEP_2)
	v_div_fmas_f32 v17, v17, v18, v19
	v_dual_add_f32 v18, 1.0, v20 :: v_dual_sub_f32 v19, 0, v3
	s_delay_alu instid0(VALU_DEP_2) | instskip(NEXT) | instid1(VALU_DEP_1)
	v_div_fixup_f32 v16, v17, v16, 1.0
	v_pk_mul_f32 v[18:19], v[18:19], v[16:17] op_sel_hi:[1,0]
.LBB174_16:                             ;   in Loop: Header=BB174_4 Depth=1
	s_or_b32 exec_lo, exec_lo, s13
	s_mov_b32 s13, 0
	ds_store_b64 v28, v[18:19]
.LBB174_17:                             ;   in Loop: Header=BB174_4 Depth=1
	s_and_b32 vcc_lo, exec_lo, s13
	s_cbranch_vccz .LBB174_19
; %bb.18:                               ;   in Loop: Header=BB174_4 Depth=1
	ds_store_b64 v28, v[10:11]
.LBB174_19:                             ;   in Loop: Header=BB174_4 Depth=1
	s_or_b32 exec_lo, exec_lo, s12
	s_mov_b32 s12, -1
	s_or_b32 s39, s39, exec_lo
	s_wait_dscnt 0x0
	s_barrier_signal -1
	s_barrier_wait -1
	s_and_saveexec_b32 s40, s1
	s_cbranch_execz .LBB174_3
; %bb.20:                               ;   in Loop: Header=BB174_4 Depth=1
	s_mul_u64 s[12:13], s[20:21], s[2:3]
	s_and_not1_b32 vcc_lo, exec_lo, s34
	v_lshl_add_u64 v[16:17], s[12:13], 3, v[0:1]
	s_mul_u64 s[12:13], s[10:11], s[2:3]
	s_mov_b32 s3, -1
	s_cbranch_vccnz .LBB174_54
; %bb.21:                               ;   in Loop: Header=BB174_4 Depth=1
	v_add_nc_u64_e32 v[18:19], s[12:13], v[8:9]
	s_mov_b32 s3, 0
	s_mov_b32 s14, 0
	s_branch .LBB174_23
.LBB174_22:                             ;   in Loop: Header=BB174_23 Depth=2
	s_cmp_lt_i32 s14, s30
	s_cselect_b32 s15, -1, 0
	s_add_co_i32 s16, s3, 1
	s_cmp_lt_u32 s3, 2
	s_wait_xcnt 0x0
	s_cselect_b32 s3, -1, 0
	s_delay_alu instid0(SALU_CYCLE_1) | instskip(NEXT) | instid1(SALU_CYCLE_1)
	s_and_b32 s3, s15, s3
	s_and_b32 vcc_lo, exec_lo, s3
	s_mov_b32 s3, s16
	s_cbranch_vccz .LBB174_53
.LBB174_23:                             ;   Parent Loop BB174_4 Depth=1
                                        ; =>  This Loop Header: Depth=2
                                        ;       Child Loop BB174_26 Depth 3
                                        ;         Child Loop BB174_28 Depth 4
                                        ;         Child Loop BB174_32 Depth 4
	;; [unrolled: 1-line block ×3, first 2 shown]
                                        ;           Child Loop BB174_38 Depth 5
                                        ;           Child Loop BB174_44 Depth 5
                                        ;         Child Loop BB174_47 Depth 4
                                        ;           Child Loop BB174_49 Depth 5
	s_load_b32 s24, s[22:23], s3 offset:0x0 scale_offset
	s_wait_kmcnt 0x0
	s_add_co_i32 s41, s24, -1
	s_delay_alu instid0(SALU_CYCLE_1) | instskip(NEXT) | instid1(SALU_CYCLE_1)
	s_add_co_i32 s15, s41, s14
	s_cmp_ge_i32 s15, s30
	s_cbranch_scc1 .LBB174_22
; %bb.24:                               ;   in Loop: Header=BB174_23 Depth=2
	s_max_i32 s42, s24, 1
	s_cmp_lg_u32 s3, 2
	s_mul_i32 s46, s14, 0x208
	s_cselect_b32 s43, -1, 0
	s_and_b32 s44, s42, 0x7ffffffe
	s_mul_i32 s47, s24, 0x208
	s_cmp_lg_u32 s42, s44
	s_cselect_b32 s45, -1, 0
	s_ashr_i32 s15, s14, 31
	s_ashr_i32 s25, s24, 31
	s_branch .LBB174_26
.LBB174_25:                             ;   in Loop: Header=BB174_26 Depth=3
	s_add_nc_u64 s[14:15], s[14:15], s[24:25]
	s_add_co_i32 s46, s46, s47
	s_add_co_i32 s16, s41, s14
	s_delay_alu instid0(SALU_CYCLE_1)
	s_cmp_ge_i32 s16, s30
	s_cbranch_scc1 .LBB174_22
.LBB174_26:                             ;   Parent Loop BB174_4 Depth=1
                                        ;     Parent Loop BB174_23 Depth=2
                                        ; =>    This Loop Header: Depth=3
                                        ;         Child Loop BB174_28 Depth 4
                                        ;         Child Loop BB174_32 Depth 4
	;; [unrolled: 1-line block ×3, first 2 shown]
                                        ;           Child Loop BB174_38 Depth 5
                                        ;           Child Loop BB174_44 Depth 5
                                        ;         Child Loop BB174_47 Depth 4
                                        ;           Child Loop BB174_49 Depth 5
	s_and_not1_b32 vcc_lo, exec_lo, s43
	s_cbranch_vccnz .LBB174_30
; %bb.27:                               ;   in Loop: Header=BB174_26 Depth=3
	s_mov_b32 s26, s14
	s_mov_b32 s27, s14
	;; [unrolled: 1-line block ×3, first 2 shown]
	s_wait_xcnt 0x0
	s_mov_b32 s49, 0
	s_mov_b32 s50, s44
	;; [unrolled: 1-line block ×3, first 2 shown]
.LBB174_28:                             ;   Parent Loop BB174_4 Depth=1
                                        ;     Parent Loop BB174_23 Depth=2
                                        ;       Parent Loop BB174_26 Depth=3
                                        ; =>      This Inner Loop Header: Depth=4
	s_add_co_i32 s52, s48, s27
	s_add_co_i32 s54, s49, s26
	s_ashr_i32 s53, s52, 31
	s_ashr_i32 s55, s54, 31
	v_lshl_add_u64 v[20:21], s[52:53], 3, v[16:17]
	v_lshl_add_u64 v[22:23], s[54:55], 3, v[16:17]
	s_add_co_i32 s50, s50, -2
	s_add_co_i32 s49, s49, 2
	s_add_co_i32 s48, s48, 2
	s_clause 0x1
	global_load_b64 v[24:25], v[20:21], off
	global_load_b64 v[26:27], v[22:23], off
	s_mov_b32 s16, s44
	s_mov_b32 s52, s45
	s_wait_loadcnt 0x0
	s_wait_xcnt 0x1
	v_dual_mov_b32 v21, v24 :: v_dual_mov_b32 v24, v27
	v_mov_b32_e32 v20, v26
	s_wait_xcnt 0x0
	s_delay_alu instid0(VALU_DEP_2) | instskip(SKIP_1) | instid1(VALU_DEP_2)
	v_pk_mul_f32 v[22:23], v[24:25], v[12:13]
	v_pk_mul_f32 v[24:25], v[24:25], v[14:15]
	v_pk_fma_f32 v[26:27], v[20:21], v[14:15], v[22:23] neg_lo:[0,0,1] neg_hi:[0,0,1]
	s_delay_alu instid0(VALU_DEP_2) | instskip(NEXT) | instid1(VALU_DEP_1)
	v_pk_fma_f32 v[22:23], v[20:21], v[12:13], v[24:25]
	v_dual_mov_b32 v20, v26 :: v_dual_mov_b32 v21, v22
	s_delay_alu instid0(VALU_DEP_3)
	v_mov_b32_e32 v22, v27
	scratch_store_b128 off, v[20:23], s51 offset:-8
	s_wait_xcnt 0x0
	s_add_co_i32 s51, s51, 16
	s_cmp_lg_u32 s50, 0
	s_cbranch_scc1 .LBB174_28
; %bb.29:                               ;   in Loop: Header=BB174_26 Depth=3
	s_and_b32 vcc_lo, exec_lo, s52
	s_cbranch_vccnz .LBB174_31
	s_branch .LBB174_33
.LBB174_30:                             ;   in Loop: Header=BB174_26 Depth=3
	s_mov_b32 s16, 0
	s_cbranch_execz .LBB174_33
.LBB174_31:                             ;   in Loop: Header=BB174_26 Depth=3
	s_add_nc_u64 s[26:27], s[14:15], s[16:17]
	s_wait_xcnt 0x0
	v_lshl_add_u64 v[20:21], s[26:27], 3, v[18:19]
	s_lshl_b32 s26, s16, 3
	s_sub_co_i32 s16, s42, s16
.LBB174_32:                             ;   Parent Loop BB174_4 Depth=1
                                        ;     Parent Loop BB174_23 Depth=2
                                        ;       Parent Loop BB174_26 Depth=3
                                        ; =>      This Inner Loop Header: Depth=4
	global_load_b64 v[22:23], v[20:21], off offset:-4
	v_mov_b64_e32 v[24:25], s[6:7]
	v_mov_b64_e32 v[26:27], s[18:19]
	s_wait_xcnt 0x0
	v_add_nc_u64_e32 v[20:21], 8, v[20:21]
	s_add_co_i32 s16, s16, -1
	s_wait_loadcnt 0x0
	s_delay_alu instid0(VALU_DEP_3) | instskip(NEXT) | instid1(VALU_DEP_1)
	v_pk_mul_f32 v[24:25], v[22:23], v[24:25] op_sel:[1,0]
	v_pk_fma_f32 v[30:31], v[22:23], v[26:27], v[24:25] op_sel_hi:[0,1,1]
	v_pk_fma_f32 v[22:23], v[22:23], v[26:27], v[24:25] neg_lo:[0,0,1] neg_hi:[0,0,1]
	s_delay_alu instid0(VALU_DEP_2)
	v_mov_b32_e32 v23, v31
	scratch_store_b64 off, v[22:23], s26
	s_wait_xcnt 0x0
	s_add_co_i32 s26, s26, 8
	s_cmp_eq_u32 s16, 0
	s_cbranch_scc0 .LBB174_32
.LBB174_33:                             ;   in Loop: Header=BB174_26 Depth=3
	s_cmp_lt_i32 s14, 1
	s_cbranch_scc1 .LBB174_45
; %bb.34:                               ;   in Loop: Header=BB174_26 Depth=3
	s_mov_b32 s27, 0
	s_mov_b32 s26, s14
	;; [unrolled: 1-line block ×4, first 2 shown]
	s_branch .LBB174_36
.LBB174_35:                             ;   in Loop: Header=BB174_36 Depth=4
	s_add_co_i32 s16, s16, 1
	s_add_co_i32 s27, s27, 8
	s_cmp_eq_u32 s16, s14
	s_cbranch_scc1 .LBB174_45
.LBB174_36:                             ;   Parent Loop BB174_4 Depth=1
                                        ;     Parent Loop BB174_23 Depth=2
                                        ;       Parent Loop BB174_26 Depth=3
                                        ; =>      This Loop Header: Depth=4
                                        ;           Child Loop BB174_38 Depth 5
                                        ;           Child Loop BB174_44 Depth 5
	s_wait_xcnt 0x0
	v_lshl_add_u64 v[20:21], s[16:17], 3, v[16:17]
	s_and_b32 vcc_lo, exec_lo, s43
	global_load_b64 v[20:21], v[20:21], off
	s_cbranch_vccz .LBB174_40
; %bb.37:                               ;   in Loop: Header=BB174_36 Depth=4
	s_wait_loadcnt 0x0
	v_dual_mov_b32 v24, v20 :: v_dual_mov_b32 v25, v20
	v_dual_mov_b32 v22, v21 :: v_dual_mov_b32 v26, v21
	v_mov_b32_e32 v27, v21
	s_lshl_b32 s49, s16, 3
	s_mov_b32 s50, 1
	s_mov_b32 s51, 0
	;; [unrolled: 1-line block ×4, first 2 shown]
.LBB174_38:                             ;   Parent Loop BB174_4 Depth=1
                                        ;     Parent Loop BB174_23 Depth=2
                                        ;       Parent Loop BB174_26 Depth=3
                                        ;         Parent Loop BB174_36 Depth=4
                                        ; =>        This Inner Loop Header: Depth=5
	scratch_load_b128 v[30:33], off, s53 offset:-8
	s_add_co_i32 s54, s50, s48
	s_add_co_i32 s55, s51, s26
	s_lshl_b32 s54, s54, 9
	s_lshl_b32 s55, s55, 9
	s_add_co_i32 s54, s49, s54
	s_add_co_i32 s55, s49, s55
	s_delay_alu instid0(SALU_CYCLE_1)
	v_dual_mov_b32 v3, s54 :: v_dual_mov_b32 v23, s55
	s_add_co_i32 s52, s52, -2
	s_add_co_i32 s51, s51, 2
	ds_load_b64 v[34:35], v3
	ds_load_b64 v[36:37], v23
	s_add_co_i32 s50, s50, 2
	s_wait_dscnt 0x0
	v_dual_mov_b32 v39, v34 :: v_dual_mov_b32 v34, v37
	v_mov_b32_e32 v38, v36
	s_delay_alu instid0(VALU_DEP_2) | instskip(SKIP_1) | instid1(VALU_DEP_2)
	v_pk_mul_f32 v[36:37], v[34:35], v[26:27]
	v_pk_mul_f32 v[34:35], v[34:35], v[24:25]
	v_pk_fma_f32 v[36:37], v[38:39], v[24:25], v[36:37] neg_lo:[0,0,1] neg_hi:[0,0,1]
	s_delay_alu instid0(VALU_DEP_2) | instskip(SKIP_3) | instid1(VALU_DEP_2)
	v_pk_fma_f32 v[34:35], v[38:39], v[26:27], v[34:35]
	s_wait_loadcnt 0x0
	v_dual_mov_b32 v38, v30 :: v_dual_mov_b32 v39, v32
	v_mov_b32_e32 v32, v31
	v_pk_add_f32 v[36:37], v[38:39], v[36:37] neg_lo:[0,1] neg_hi:[0,1]
	s_delay_alu instid0(VALU_DEP_2) | instskip(NEXT) | instid1(VALU_DEP_1)
	v_pk_add_f32 v[32:33], v[32:33], v[34:35] neg_lo:[0,1] neg_hi:[0,1]
	v_dual_mov_b32 v30, v36 :: v_dual_mov_b32 v31, v32
	s_delay_alu instid0(VALU_DEP_3)
	v_mov_b32_e32 v32, v37
	scratch_store_b128 off, v[30:33], s53 offset:-8
	s_wait_xcnt 0x0
	s_add_co_i32 s53, s53, 16
	s_cmp_lg_u32 s52, 0
	s_cbranch_scc1 .LBB174_38
; %bb.39:                               ;   in Loop: Header=BB174_36 Depth=4
	s_mov_b32 s49, s45
	s_mov_b32 s50, s44
	s_branch .LBB174_42
.LBB174_40:                             ;   in Loop: Header=BB174_36 Depth=4
	s_wait_loadcnt 0x0
	v_mov_b32_e32 v22, v21
	s_mov_b32 s49, 0
	s_mov_b32 s50, s44
	s_cbranch_execz .LBB174_42
; %bb.41:                               ;   in Loop: Header=BB174_36 Depth=4
	s_mov_b32 s49, -1
	s_mov_b32 s50, 0
.LBB174_42:                             ;   in Loop: Header=BB174_36 Depth=4
	s_and_not1_b32 vcc_lo, exec_lo, s49
	s_cbranch_vccnz .LBB174_35
; %bb.43:                               ;   in Loop: Header=BB174_36 Depth=4
	s_add_co_i32 s51, s14, s50
	s_wait_xcnt 0x0
	v_dual_mov_b32 v23, v21 :: v_dual_mov_b32 v21, v20
	s_lshl_b32 s51, s51, 9
	s_lshl_b32 s52, s50, 3
	s_sub_co_i32 s49, s42, s50
	s_add_co_i32 s50, s27, s51
	s_mov_b32 s51, s52
.LBB174_44:                             ;   Parent Loop BB174_4 Depth=1
                                        ;     Parent Loop BB174_23 Depth=2
                                        ;       Parent Loop BB174_26 Depth=3
                                        ;         Parent Loop BB174_36 Depth=4
                                        ; =>        This Inner Loop Header: Depth=5
	scratch_load_b64 v[24:25], off, s51
	v_mov_b32_e32 v3, s50
	s_add_co_i32 s49, s49, -1
	s_addk_co_i32 s50, 0x200
	ds_load_b64 v[26:27], v3
	s_wait_dscnt 0x0
	v_pk_mul_f32 v[30:31], v[26:27], v[22:23] op_sel:[1,0] op_sel_hi:[0,1]
	s_delay_alu instid0(VALU_DEP_1) | instskip(SKIP_1) | instid1(VALU_DEP_2)
	v_pk_fma_f32 v[32:33], v[26:27], v[20:21], v[30:31]
	v_pk_fma_f32 v[26:27], v[26:27], v[20:21], v[30:31] neg_lo:[0,0,1] neg_hi:[0,0,1]
	v_mov_b32_e32 v27, v33
	s_wait_loadcnt 0x0
	s_delay_alu instid0(VALU_DEP_1)
	v_pk_add_f32 v[24:25], v[24:25], v[26:27] neg_lo:[0,1] neg_hi:[0,1]
	scratch_store_b64 off, v[24:25], s51
	s_wait_xcnt 0x0
	s_add_co_i32 s51, s51, 8
	s_cmp_eq_u32 s49, 0
	s_cbranch_scc0 .LBB174_44
	s_branch .LBB174_35
.LBB174_45:                             ;   in Loop: Header=BB174_26 Depth=3
	s_mov_b32 s16, 0
	s_mov_b32 s48, s46
	s_branch .LBB174_47
.LBB174_46:                             ;   in Loop: Header=BB174_47 Depth=4
	s_mul_i32 s27, s26, 0x208
	s_wait_xcnt 0x0
	s_lshl_b32 s49, s16, 3
	v_mov_b32_e32 v3, s27
	s_ashr_i32 s27, s26, 31
	s_add_co_i32 s16, s16, 1
	s_addk_co_i32 s48, 0x200
	s_cmp_eq_u32 s16, s42
	ds_load_b64 v[24:25], v3
	s_wait_dscnt 0x0
	v_pk_mul_f32 v[22:23], v[24:25], v[22:23] op_sel:[1,0] op_sel_hi:[0,0]
	s_delay_alu instid0(VALU_DEP_1) | instskip(SKIP_3) | instid1(VALU_DEP_3)
	v_pk_fma_f32 v[26:27], v[24:25], v[20:21], v[22:23] op_sel_hi:[1,0,1]
	s_wait_xcnt 0x0
	v_pk_fma_f32 v[20:21], v[24:25], v[20:21], v[22:23] neg_lo:[0,0,1] neg_hi:[0,0,1]
	v_lshl_add_u64 v[22:23], s[26:27], 3, v[16:17]
	v_mov_b32_e32 v21, v27
	scratch_store_b64 off, v[20:21], s49
	global_store_b64 v[22:23], v[20:21], off
	s_cbranch_scc1 .LBB174_25
.LBB174_47:                             ;   Parent Loop BB174_4 Depth=1
                                        ;     Parent Loop BB174_23 Depth=2
                                        ;       Parent Loop BB174_26 Depth=3
                                        ; =>      This Loop Header: Depth=4
                                        ;           Child Loop BB174_49 Depth 5
	s_cmp_lg_u32 s16, 0
	s_cbranch_scc0 .LBB174_51
; %bb.48:                               ;   in Loop: Header=BB174_47 Depth=4
	s_lshl_b32 s26, s16, 3
	s_mov_b32 s27, 0
	scratch_load_b64 v[20:21], off, s26
	s_mov_b32 s49, s48
	s_mov_b32 s50, s16
.LBB174_49:                             ;   Parent Loop BB174_4 Depth=1
                                        ;     Parent Loop BB174_23 Depth=2
                                        ;       Parent Loop BB174_26 Depth=3
                                        ;         Parent Loop BB174_47 Depth=4
                                        ; =>        This Inner Loop Header: Depth=5
	scratch_load_b64 v[22:23], off, s27
	v_mov_b32_e32 v3, s49
	s_add_co_i32 s50, s50, -1
	s_wait_xcnt 0x0
	s_add_co_i32 s27, s27, 8
	s_add_co_i32 s49, s49, 8
	s_cmp_eq_u32 s50, 0
	ds_load_b64 v[24:25], v3
	s_wait_loadcnt_dscnt 0x0
	v_pk_mul_f32 v[26:27], v[24:25], v[22:23] op_sel:[1,1] op_sel_hi:[0,1]
	s_delay_alu instid0(VALU_DEP_1) | instskip(SKIP_1) | instid1(VALU_DEP_2)
	v_pk_fma_f32 v[30:31], v[24:25], v[22:23], v[26:27] op_sel_hi:[1,0,1]
	v_pk_fma_f32 v[22:23], v[24:25], v[22:23], v[26:27] neg_lo:[0,0,1] neg_hi:[0,0,1]
	v_mov_b32_e32 v23, v31
	s_delay_alu instid0(VALU_DEP_1)
	v_pk_add_f32 v[20:21], v[20:21], v[22:23] neg_lo:[0,1] neg_hi:[0,1]
	scratch_store_b64 off, v[20:21], s26
	s_cbranch_scc0 .LBB174_49
; %bb.50:                               ;   in Loop: Header=BB174_47 Depth=4
	v_mov_b32_e32 v22, v21
	s_wait_xcnt 0x0
	s_add_co_i32 s26, s16, s14
	s_branch .LBB174_46
.LBB174_51:                             ;   in Loop: Header=BB174_47 Depth=4
                                        ; implicit-def: $vgpr20
                                        ; implicit-def: $vgpr22
                                        ; implicit-def: $sgpr26
	s_cbranch_execz .LBB174_46
; %bb.52:                               ;   in Loop: Header=BB174_47 Depth=4
	scratch_load_b64 v[20:21], off, off
	s_mov_b32 s26, s14
	s_wait_loadcnt 0x0
	v_mov_b32_e32 v22, v21
	s_branch .LBB174_46
.LBB174_53:                             ;   in Loop: Header=BB174_4 Depth=1
	s_mov_b32 s3, 0
.LBB174_54:                             ;   in Loop: Header=BB174_4 Depth=1
	s_delay_alu instid0(SALU_CYCLE_1)
	s_and_b32 vcc_lo, exec_lo, s3
	s_cbranch_vccz .LBB174_2
; %bb.55:                               ;   in Loop: Header=BB174_4 Depth=1
	v_add_nc_u64_e32 v[18:19], s[12:13], v[8:9]
	s_mov_b32 s3, 0
	s_mov_b32 s12, s31
	s_branch .LBB174_57
.LBB174_56:                             ;   in Loop: Header=BB174_57 Depth=2
	s_cmp_gt_i32 s12, -1
	s_cselect_b32 s13, -1, 0
	s_add_co_i32 s14, s3, 1
	s_cmp_lt_u32 s3, 2
	s_wait_xcnt 0x0
	s_cselect_b32 s3, -1, 0
	s_delay_alu instid0(SALU_CYCLE_1) | instskip(NEXT) | instid1(SALU_CYCLE_1)
	s_and_b32 s3, s13, s3
	s_and_not1_b32 vcc_lo, exec_lo, s3
	s_mov_b32 s3, s14
	s_cbranch_vccnz .LBB174_2
.LBB174_57:                             ;   Parent Loop BB174_4 Depth=1
                                        ; =>  This Loop Header: Depth=2
                                        ;       Child Loop BB174_60 Depth 3
                                        ;         Child Loop BB174_62 Depth 4
                                        ;         Child Loop BB174_66 Depth 4
	;; [unrolled: 1-line block ×3, first 2 shown]
                                        ;           Child Loop BB174_72 Depth 5
                                        ;           Child Loop BB174_78 Depth 5
                                        ;         Child Loop BB174_81 Depth 4
                                        ;           Child Loop BB174_83 Depth 5
	s_load_b32 s26, s[22:23], s3 offset:0x0 scale_offset
	s_wait_kmcnt 0x0
	s_add_co_i32 s27, s26, -1
	s_delay_alu instid0(SALU_CYCLE_1)
	s_cmp_lt_i32 s12, s27
	s_cbranch_scc1 .LBB174_56
; %bb.58:                               ;   in Loop: Header=BB174_57 Depth=2
	s_max_i32 s41, s26, 1
	s_cmp_lg_u32 s3, 2
	s_mul_i32 s47, s12, 0x208
	s_cselect_b32 s42, -1, 0
	s_and_b32 s43, s41, 0x7ffffffe
	s_mul_i32 s48, s26, 0xfffffdf8
	s_cmp_lg_u32 s41, s43
	s_cselect_b32 s44, -1, 0
	s_lshl_b32 s13, s12, 3
	s_lshl_b32 s14, s26, 3
	s_add_co_i32 s45, s36, s13
	s_sub_co_i32 s46, 0, s14
	s_branch .LBB174_60
.LBB174_59:                             ;   in Loop: Header=BB174_60 Depth=3
	s_sub_co_i32 s12, s12, s26
	s_add_co_i32 s45, s45, s46
	s_add_co_i32 s47, s47, s48
	s_cmp_lt_i32 s12, s27
	s_cbranch_scc1 .LBB174_56
.LBB174_60:                             ;   Parent Loop BB174_4 Depth=1
                                        ;     Parent Loop BB174_57 Depth=2
                                        ; =>    This Loop Header: Depth=3
                                        ;         Child Loop BB174_62 Depth 4
                                        ;         Child Loop BB174_66 Depth 4
	;; [unrolled: 1-line block ×3, first 2 shown]
                                        ;           Child Loop BB174_72 Depth 5
                                        ;           Child Loop BB174_78 Depth 5
                                        ;         Child Loop BB174_81 Depth 4
                                        ;           Child Loop BB174_83 Depth 5
	s_and_not1_b32 vcc_lo, exec_lo, s42
	s_cbranch_vccnz .LBB174_64
; %bb.61:                               ;   in Loop: Header=BB174_60 Depth=3
	s_mov_b32 s13, s12
	s_mov_b32 s14, 1
	;; [unrolled: 1-line block ×3, first 2 shown]
	s_wait_xcnt 0x0
	s_mov_b32 s24, s43
	s_mov_b32 s25, s35
.LBB174_62:                             ;   Parent Loop BB174_4 Depth=1
                                        ;     Parent Loop BB174_57 Depth=2
                                        ;       Parent Loop BB174_60 Depth=3
                                        ; =>      This Inner Loop Header: Depth=4
	s_sub_co_i32 s50, s13, s14
	s_sub_co_i32 s52, s12, s15
	s_ashr_i32 s51, s50, 31
	s_ashr_i32 s53, s52, 31
	v_lshl_add_u64 v[20:21], s[50:51], 3, v[16:17]
	v_lshl_add_u64 v[22:23], s[52:53], 3, v[16:17]
	s_add_co_i32 s24, s24, -2
	s_add_co_i32 s15, s15, 2
	s_add_co_i32 s14, s14, 2
	s_clause 0x1
	global_load_b64 v[24:25], v[20:21], off
	global_load_b64 v[26:27], v[22:23], off
	s_mov_b32 s16, s43
	s_mov_b32 s49, s44
	s_wait_loadcnt 0x0
	s_wait_xcnt 0x1
	v_dual_mov_b32 v21, v24 :: v_dual_mov_b32 v24, v27
	v_mov_b32_e32 v20, v26
	s_wait_xcnt 0x0
	s_delay_alu instid0(VALU_DEP_2) | instskip(SKIP_1) | instid1(VALU_DEP_2)
	v_pk_mul_f32 v[22:23], v[24:25], v[12:13]
	v_pk_mul_f32 v[24:25], v[24:25], v[14:15]
	v_pk_fma_f32 v[26:27], v[20:21], v[14:15], v[22:23] neg_lo:[0,0,1] neg_hi:[0,0,1]
	s_delay_alu instid0(VALU_DEP_2) | instskip(NEXT) | instid1(VALU_DEP_1)
	v_pk_fma_f32 v[22:23], v[20:21], v[12:13], v[24:25]
	v_dual_mov_b32 v20, v26 :: v_dual_mov_b32 v21, v22
	s_delay_alu instid0(VALU_DEP_3)
	v_mov_b32_e32 v22, v27
	scratch_store_b128 off, v[20:23], s25 offset:-8
	s_wait_xcnt 0x0
	s_add_co_i32 s25, s25, 16
	s_cmp_lg_u32 s24, 0
	s_cbranch_scc1 .LBB174_62
; %bb.63:                               ;   in Loop: Header=BB174_60 Depth=3
	s_and_b32 vcc_lo, exec_lo, s49
	s_ashr_i32 s13, s12, 31
	s_cbranch_vccnz .LBB174_65
	s_branch .LBB174_67
.LBB174_64:                             ;   in Loop: Header=BB174_60 Depth=3
	s_mov_b32 s16, 0
	s_ashr_i32 s13, s12, 31
	s_cbranch_execz .LBB174_67
.LBB174_65:                             ;   in Loop: Header=BB174_60 Depth=3
	s_lshl_b64 s[14:15], s[12:13], 3
	s_wait_xcnt 0x0
	s_lshl_b64 s[24:25], s[16:17], 3
	s_delay_alu instid0(SALU_CYCLE_1) | instskip(NEXT) | instid1(SALU_CYCLE_1)
	s_sub_nc_u64 s[14:15], s[14:15], s[24:25]
	v_add_nc_u64_e32 v[20:21], s[14:15], v[18:19]
	s_lshl_b32 s15, s16, 3
	s_sub_co_i32 s14, s41, s16
.LBB174_66:                             ;   Parent Loop BB174_4 Depth=1
                                        ;     Parent Loop BB174_57 Depth=2
                                        ;       Parent Loop BB174_60 Depth=3
                                        ; =>      This Inner Loop Header: Depth=4
	global_load_b64 v[22:23], v[20:21], off offset:-4
	v_mov_b64_e32 v[24:25], s[6:7]
	v_mov_b64_e32 v[26:27], s[18:19]
	s_wait_xcnt 0x0
	v_add_nc_u64_e32 v[20:21], -8, v[20:21]
	s_add_co_i32 s14, s14, -1
	s_wait_loadcnt 0x0
	s_delay_alu instid0(VALU_DEP_3) | instskip(NEXT) | instid1(VALU_DEP_1)
	v_pk_mul_f32 v[24:25], v[22:23], v[24:25] op_sel:[1,0]
	v_pk_fma_f32 v[30:31], v[22:23], v[26:27], v[24:25] op_sel_hi:[0,1,1]
	v_pk_fma_f32 v[22:23], v[22:23], v[26:27], v[24:25] neg_lo:[0,0,1] neg_hi:[0,0,1]
	s_delay_alu instid0(VALU_DEP_2)
	v_mov_b32_e32 v23, v31
	scratch_store_b64 off, v[22:23], s15
	s_wait_xcnt 0x0
	s_add_co_i32 s15, s15, 8
	s_cmp_eq_u32 s14, 0
	s_cbranch_scc0 .LBB174_66
.LBB174_67:                             ;   in Loop: Header=BB174_60 Depth=3
	s_cmp_le_i32 s31, s12
	s_cbranch_scc1 .LBB174_79
; %bb.68:                               ;   in Loop: Header=BB174_60 Depth=3
	s_mov_b32 s16, s12
	s_wait_xcnt 0x0
	s_mov_b32 s24, s12
	s_mov_b32 s25, s45
	;; [unrolled: 1-line block ×3, first 2 shown]
	s_branch .LBB174_70
.LBB174_69:                             ;   in Loop: Header=BB174_70 Depth=4
	s_add_co_i32 s14, s14, -1
	s_addk_co_i32 s25, 0xfe00
	s_cmp_le_i32 s14, s12
	s_cbranch_scc1 .LBB174_79
.LBB174_70:                             ;   Parent Loop BB174_4 Depth=1
                                        ;     Parent Loop BB174_57 Depth=2
                                        ;       Parent Loop BB174_60 Depth=3
                                        ; =>      This Loop Header: Depth=4
                                        ;           Child Loop BB174_72 Depth 5
                                        ;           Child Loop BB174_78 Depth 5
	s_ashr_i32 s15, s14, 31
	s_and_b32 vcc_lo, exec_lo, s42
	s_wait_xcnt 0x0
	v_lshl_add_u64 v[20:21], s[14:15], 3, v[16:17]
	global_load_b64 v[20:21], v[20:21], off
	s_cbranch_vccz .LBB174_74
; %bb.71:                               ;   in Loop: Header=BB174_70 Depth=4
	s_wait_loadcnt 0x0
	v_dual_mov_b32 v24, v20 :: v_dual_mov_b32 v25, v20
	v_dual_mov_b32 v22, v21 :: v_dual_mov_b32 v26, v21
	v_mov_b32_e32 v27, v21
	s_lshl_b32 s15, s14, 9
	s_mov_b32 s49, 1
	s_mov_b32 s50, 0
	;; [unrolled: 1-line block ×4, first 2 shown]
.LBB174_72:                             ;   Parent Loop BB174_4 Depth=1
                                        ;     Parent Loop BB174_57 Depth=2
                                        ;       Parent Loop BB174_60 Depth=3
                                        ;         Parent Loop BB174_70 Depth=4
                                        ; =>        This Inner Loop Header: Depth=5
	scratch_load_b128 v[30:33], off, s52 offset:-8
	s_sub_co_i32 s53, s24, s49
	s_sub_co_i32 s54, s16, s50
	s_lshl_b32 s53, s53, 3
	s_lshl_b32 s54, s54, 3
	s_add_co_i32 s53, s15, s53
	s_add_co_i32 s54, s15, s54
	s_delay_alu instid0(SALU_CYCLE_1)
	v_dual_mov_b32 v3, s53 :: v_dual_mov_b32 v23, s54
	s_add_co_i32 s51, s51, -2
	s_add_co_i32 s50, s50, 2
	ds_load_b64 v[34:35], v3
	ds_load_b64 v[36:37], v23
	s_add_co_i32 s49, s49, 2
	s_wait_dscnt 0x0
	v_dual_mov_b32 v39, v34 :: v_dual_mov_b32 v34, v37
	v_mov_b32_e32 v38, v36
	s_delay_alu instid0(VALU_DEP_2) | instskip(SKIP_1) | instid1(VALU_DEP_2)
	v_pk_mul_f32 v[36:37], v[34:35], v[26:27]
	v_pk_mul_f32 v[34:35], v[34:35], v[24:25]
	v_pk_fma_f32 v[36:37], v[38:39], v[24:25], v[36:37] neg_lo:[0,0,1] neg_hi:[0,0,1]
	s_delay_alu instid0(VALU_DEP_2) | instskip(SKIP_3) | instid1(VALU_DEP_2)
	v_pk_fma_f32 v[34:35], v[38:39], v[26:27], v[34:35]
	s_wait_loadcnt 0x0
	v_dual_mov_b32 v38, v30 :: v_dual_mov_b32 v39, v32
	v_mov_b32_e32 v32, v31
	v_pk_add_f32 v[36:37], v[38:39], v[36:37] neg_lo:[0,1] neg_hi:[0,1]
	s_delay_alu instid0(VALU_DEP_2) | instskip(NEXT) | instid1(VALU_DEP_1)
	v_pk_add_f32 v[32:33], v[32:33], v[34:35] neg_lo:[0,1] neg_hi:[0,1]
	v_dual_mov_b32 v30, v36 :: v_dual_mov_b32 v31, v32
	s_delay_alu instid0(VALU_DEP_3)
	v_mov_b32_e32 v32, v37
	scratch_store_b128 off, v[30:33], s52 offset:-8
	s_wait_xcnt 0x0
	s_add_co_i32 s52, s52, 16
	s_cmp_lg_u32 s51, 0
	s_cbranch_scc1 .LBB174_72
; %bb.73:                               ;   in Loop: Header=BB174_70 Depth=4
	s_mov_b32 s15, s44
	s_mov_b32 s49, s43
	s_branch .LBB174_76
.LBB174_74:                             ;   in Loop: Header=BB174_70 Depth=4
	s_wait_loadcnt 0x0
	v_mov_b32_e32 v22, v21
	s_mov_b32 s15, 0
	s_mov_b32 s49, s43
	s_cbranch_execz .LBB174_76
; %bb.75:                               ;   in Loop: Header=BB174_70 Depth=4
	s_mov_b32 s15, -1
	s_mov_b32 s49, 0
.LBB174_76:                             ;   in Loop: Header=BB174_70 Depth=4
	s_and_not1_b32 vcc_lo, exec_lo, s15
	s_cbranch_vccnz .LBB174_69
; %bb.77:                               ;   in Loop: Header=BB174_70 Depth=4
	s_wait_xcnt 0x0
	v_dual_mov_b32 v23, v21 :: v_dual_mov_b32 v21, v20
	s_lshl_b32 s50, s49, 3
	s_sub_co_i32 s15, s41, s49
	s_sub_co_i32 s49, s25, s50
.LBB174_78:                             ;   Parent Loop BB174_4 Depth=1
                                        ;     Parent Loop BB174_57 Depth=2
                                        ;       Parent Loop BB174_60 Depth=3
                                        ;         Parent Loop BB174_70 Depth=4
                                        ; =>        This Inner Loop Header: Depth=5
	scratch_load_b64 v[24:25], off, s50
	v_mov_b32_e32 v3, s49
	s_add_co_i32 s15, s15, -1
	s_add_co_i32 s49, s49, -8
	ds_load_b64 v[26:27], v3
	s_wait_dscnt 0x0
	v_pk_mul_f32 v[30:31], v[26:27], v[22:23] op_sel:[1,0] op_sel_hi:[0,1]
	s_delay_alu instid0(VALU_DEP_1) | instskip(SKIP_1) | instid1(VALU_DEP_2)
	v_pk_fma_f32 v[32:33], v[26:27], v[20:21], v[30:31]
	v_pk_fma_f32 v[26:27], v[26:27], v[20:21], v[30:31] neg_lo:[0,0,1] neg_hi:[0,0,1]
	v_mov_b32_e32 v27, v33
	s_wait_loadcnt 0x0
	s_delay_alu instid0(VALU_DEP_1)
	v_pk_add_f32 v[24:25], v[24:25], v[26:27] neg_lo:[0,1] neg_hi:[0,1]
	scratch_store_b64 off, v[24:25], s50
	s_wait_xcnt 0x0
	s_add_co_i32 s50, s50, 8
	s_cmp_eq_u32 s15, 0
	s_cbranch_scc0 .LBB174_78
	s_branch .LBB174_69
.LBB174_79:                             ;   in Loop: Header=BB174_60 Depth=3
	s_mov_b32 s16, 0
	s_mov_b32 s49, s47
	s_branch .LBB174_81
.LBB174_80:                             ;   in Loop: Header=BB174_81 Depth=4
	s_wait_xcnt 0x0
	s_mulk_i32 s24, 0x208
	v_lshl_add_u64 v[30:31], s[14:15], 3, v[16:17]
	v_mov_b32_e32 v3, s24
	s_lshl_b32 s24, s16, 3
	s_add_co_i32 s16, s16, 1
	s_add_co_i32 s49, s49, -8
	s_cmp_eq_u32 s16, s41
	ds_load_b64 v[24:25], v3
	s_wait_dscnt 0x0
	v_pk_mul_f32 v[22:23], v[24:25], v[22:23] op_sel:[1,0] op_sel_hi:[0,0]
	s_delay_alu instid0(VALU_DEP_1) | instskip(SKIP_2) | instid1(VALU_DEP_2)
	v_pk_fma_f32 v[26:27], v[24:25], v[20:21], v[22:23] op_sel_hi:[1,0,1]
	s_wait_xcnt 0x0
	v_pk_fma_f32 v[20:21], v[24:25], v[20:21], v[22:23] neg_lo:[0,0,1] neg_hi:[0,0,1]
	v_mov_b32_e32 v21, v27
	scratch_store_b64 off, v[20:21], s24
	global_store_b64 v[30:31], v[20:21], off
	s_cbranch_scc1 .LBB174_59
.LBB174_81:                             ;   Parent Loop BB174_4 Depth=1
                                        ;     Parent Loop BB174_57 Depth=2
                                        ;       Parent Loop BB174_60 Depth=3
                                        ; =>      This Loop Header: Depth=4
                                        ;           Child Loop BB174_83 Depth 5
	s_cmp_lg_u32 s16, 0
	s_cbranch_scc0 .LBB174_85
; %bb.82:                               ;   in Loop: Header=BB174_81 Depth=4
	s_lshl_b32 s14, s16, 3
	s_mov_b32 s15, 0
	scratch_load_b64 v[20:21], off, s14
	s_mov_b32 s24, s49
	s_mov_b32 s25, s16
.LBB174_83:                             ;   Parent Loop BB174_4 Depth=1
                                        ;     Parent Loop BB174_57 Depth=2
                                        ;       Parent Loop BB174_60 Depth=3
                                        ;         Parent Loop BB174_81 Depth=4
                                        ; =>        This Inner Loop Header: Depth=5
	scratch_load_b64 v[22:23], off, s15
	v_mov_b32_e32 v3, s24
	s_add_co_i32 s25, s25, -1
	s_addk_co_i32 s24, 0xfe00
	s_wait_xcnt 0x0
	s_add_co_i32 s15, s15, 8
	s_cmp_eq_u32 s25, 0
	ds_load_b64 v[24:25], v3
	s_wait_loadcnt_dscnt 0x0
	v_pk_mul_f32 v[26:27], v[24:25], v[22:23] op_sel:[1,1] op_sel_hi:[0,1]
	s_delay_alu instid0(VALU_DEP_1) | instskip(SKIP_1) | instid1(VALU_DEP_2)
	v_pk_fma_f32 v[30:31], v[24:25], v[22:23], v[26:27] op_sel_hi:[1,0,1]
	v_pk_fma_f32 v[22:23], v[24:25], v[22:23], v[26:27] neg_lo:[0,0,1] neg_hi:[0,0,1]
	v_mov_b32_e32 v23, v31
	s_delay_alu instid0(VALU_DEP_1)
	v_pk_add_f32 v[20:21], v[20:21], v[22:23] neg_lo:[0,1] neg_hi:[0,1]
	scratch_store_b64 off, v[20:21], s14
	s_cbranch_scc0 .LBB174_83
; %bb.84:                               ;   in Loop: Header=BB174_81 Depth=4
	s_sub_co_i32 s24, s12, s16
	v_mov_b32_e32 v22, v21
	s_ashr_i32 s25, s24, 31
	s_wait_xcnt 0x0
	s_mov_b64 s[14:15], s[24:25]
	s_branch .LBB174_80
.LBB174_85:                             ;   in Loop: Header=BB174_81 Depth=4
                                        ; implicit-def: $vgpr20
                                        ; implicit-def: $vgpr22
                                        ; implicit-def: $sgpr24
                                        ; implicit-def: $sgpr14_sgpr15
	s_cbranch_execz .LBB174_80
; %bb.86:                               ;   in Loop: Header=BB174_81 Depth=4
	scratch_load_b64 v[20:21], off, off
	s_mov_b64 s[14:15], s[12:13]
	s_mov_b32 s24, s12
	s_wait_loadcnt 0x0
	v_mov_b32_e32 v22, v21
	s_branch .LBB174_80
.LBB174_87:
	s_or_b32 exec_lo, exec_lo, s37
	s_and_saveexec_b32 s0, s38
	s_delay_alu instid0(SALU_CYCLE_1)
	s_xor_b32 s0, exec_lo, s0
.LBB174_88:
	s_endpgm
	.section	.rodata,"a",@progbits
	.p2align	6, 0x0
	.amdhsa_kernel _ZL30rocblas_trsm_small_left_deviceILi64ELi32ELb0E19rocblas_complex_numIfES1_PKS1_PS1_Ev13rocblas_fill_18rocblas_operation_17rocblas_diagonal_iiT3_T4_lilT5_lili
		.amdhsa_group_segment_fixed_size 32768
		.amdhsa_private_segment_fixed_size 272
		.amdhsa_kernarg_size 360
		.amdhsa_user_sgpr_count 2
		.amdhsa_user_sgpr_dispatch_ptr 0
		.amdhsa_user_sgpr_queue_ptr 0
		.amdhsa_user_sgpr_kernarg_segment_ptr 1
		.amdhsa_user_sgpr_dispatch_id 0
		.amdhsa_user_sgpr_kernarg_preload_length 0
		.amdhsa_user_sgpr_kernarg_preload_offset 0
		.amdhsa_user_sgpr_private_segment_size 0
		.amdhsa_wavefront_size32 1
		.amdhsa_uses_dynamic_stack 0
		.amdhsa_enable_private_segment 1
		.amdhsa_system_sgpr_workgroup_id_x 1
		.amdhsa_system_sgpr_workgroup_id_y 0
		.amdhsa_system_sgpr_workgroup_id_z 1
		.amdhsa_system_sgpr_workgroup_info 0
		.amdhsa_system_vgpr_workitem_id 0
		.amdhsa_next_free_vgpr 161
		.amdhsa_next_free_sgpr 56
		.amdhsa_named_barrier_count 0
		.amdhsa_reserve_vcc 1
		.amdhsa_float_round_mode_32 0
		.amdhsa_float_round_mode_16_64 0
		.amdhsa_float_denorm_mode_32 3
		.amdhsa_float_denorm_mode_16_64 3
		.amdhsa_fp16_overflow 0
		.amdhsa_memory_ordered 1
		.amdhsa_forward_progress 1
		.amdhsa_inst_pref_size 33
		.amdhsa_round_robin_scheduling 0
		.amdhsa_exception_fp_ieee_invalid_op 0
		.amdhsa_exception_fp_denorm_src 0
		.amdhsa_exception_fp_ieee_div_zero 0
		.amdhsa_exception_fp_ieee_overflow 0
		.amdhsa_exception_fp_ieee_underflow 0
		.amdhsa_exception_fp_ieee_inexact 0
		.amdhsa_exception_int_div_zero 0
	.end_amdhsa_kernel
	.section	.text._ZL30rocblas_trsm_small_left_deviceILi64ELi32ELb0E19rocblas_complex_numIfES1_PKS1_PS1_Ev13rocblas_fill_18rocblas_operation_17rocblas_diagonal_iiT3_T4_lilT5_lili,"axG",@progbits,_ZL30rocblas_trsm_small_left_deviceILi64ELi32ELb0E19rocblas_complex_numIfES1_PKS1_PS1_Ev13rocblas_fill_18rocblas_operation_17rocblas_diagonal_iiT3_T4_lilT5_lili,comdat
.Lfunc_end174:
	.size	_ZL30rocblas_trsm_small_left_deviceILi64ELi32ELb0E19rocblas_complex_numIfES1_PKS1_PS1_Ev13rocblas_fill_18rocblas_operation_17rocblas_diagonal_iiT3_T4_lilT5_lili, .Lfunc_end174-_ZL30rocblas_trsm_small_left_deviceILi64ELi32ELb0E19rocblas_complex_numIfES1_PKS1_PS1_Ev13rocblas_fill_18rocblas_operation_17rocblas_diagonal_iiT3_T4_lilT5_lili
                                        ; -- End function
	.set _ZL30rocblas_trsm_small_left_deviceILi64ELi32ELb0E19rocblas_complex_numIfES1_PKS1_PS1_Ev13rocblas_fill_18rocblas_operation_17rocblas_diagonal_iiT3_T4_lilT5_lili.num_vgpr, 40
	.set _ZL30rocblas_trsm_small_left_deviceILi64ELi32ELb0E19rocblas_complex_numIfES1_PKS1_PS1_Ev13rocblas_fill_18rocblas_operation_17rocblas_diagonal_iiT3_T4_lilT5_lili.num_agpr, 0
	.set _ZL30rocblas_trsm_small_left_deviceILi64ELi32ELb0E19rocblas_complex_numIfES1_PKS1_PS1_Ev13rocblas_fill_18rocblas_operation_17rocblas_diagonal_iiT3_T4_lilT5_lili.numbered_sgpr, 56
	.set _ZL30rocblas_trsm_small_left_deviceILi64ELi32ELb0E19rocblas_complex_numIfES1_PKS1_PS1_Ev13rocblas_fill_18rocblas_operation_17rocblas_diagonal_iiT3_T4_lilT5_lili.num_named_barrier, 0
	.set _ZL30rocblas_trsm_small_left_deviceILi64ELi32ELb0E19rocblas_complex_numIfES1_PKS1_PS1_Ev13rocblas_fill_18rocblas_operation_17rocblas_diagonal_iiT3_T4_lilT5_lili.private_seg_size, 272
	.set _ZL30rocblas_trsm_small_left_deviceILi64ELi32ELb0E19rocblas_complex_numIfES1_PKS1_PS1_Ev13rocblas_fill_18rocblas_operation_17rocblas_diagonal_iiT3_T4_lilT5_lili.uses_vcc, 1
	.set _ZL30rocblas_trsm_small_left_deviceILi64ELi32ELb0E19rocblas_complex_numIfES1_PKS1_PS1_Ev13rocblas_fill_18rocblas_operation_17rocblas_diagonal_iiT3_T4_lilT5_lili.uses_flat_scratch, 0
	.set _ZL30rocblas_trsm_small_left_deviceILi64ELi32ELb0E19rocblas_complex_numIfES1_PKS1_PS1_Ev13rocblas_fill_18rocblas_operation_17rocblas_diagonal_iiT3_T4_lilT5_lili.has_dyn_sized_stack, 0
	.set _ZL30rocblas_trsm_small_left_deviceILi64ELi32ELb0E19rocblas_complex_numIfES1_PKS1_PS1_Ev13rocblas_fill_18rocblas_operation_17rocblas_diagonal_iiT3_T4_lilT5_lili.has_recursion, 0
	.set _ZL30rocblas_trsm_small_left_deviceILi64ELi32ELb0E19rocblas_complex_numIfES1_PKS1_PS1_Ev13rocblas_fill_18rocblas_operation_17rocblas_diagonal_iiT3_T4_lilT5_lili.has_indirect_call, 0
	.section	.AMDGPU.csdata,"",@progbits
; Kernel info:
; codeLenInByte = 4144
; TotalNumSgprs: 58
; NumVgprs: 40
; ScratchSize: 272
; MemoryBound: 0
; FloatMode: 240
; IeeeMode: 1
; LDSByteSize: 32768 bytes/workgroup (compile time only)
; SGPRBlocks: 0
; VGPRBlocks: 10
; NumSGPRsForWavesPerEU: 58
; NumVGPRsForWavesPerEU: 161
; NamedBarCnt: 0
; Occupancy: 5
; WaveLimiterHint : 1
; COMPUTE_PGM_RSRC2:SCRATCH_EN: 1
; COMPUTE_PGM_RSRC2:USER_SGPR: 2
; COMPUTE_PGM_RSRC2:TRAP_HANDLER: 0
; COMPUTE_PGM_RSRC2:TGID_X_EN: 1
; COMPUTE_PGM_RSRC2:TGID_Y_EN: 0
; COMPUTE_PGM_RSRC2:TGID_Z_EN: 1
; COMPUTE_PGM_RSRC2:TIDIG_COMP_CNT: 0
	.section	.text._ZL38rocblas_trsm_small_left_device_sharedBILi64ELi32ELb1E19rocblas_complex_numIfES1_PKS1_PS1_Ev13rocblas_fill_18rocblas_operation_17rocblas_diagonal_iiT3_T4_lilT5_lili,"axG",@progbits,_ZL38rocblas_trsm_small_left_device_sharedBILi64ELi32ELb1E19rocblas_complex_numIfES1_PKS1_PS1_Ev13rocblas_fill_18rocblas_operation_17rocblas_diagonal_iiT3_T4_lilT5_lili,comdat
	.globl	_ZL38rocblas_trsm_small_left_device_sharedBILi64ELi32ELb1E19rocblas_complex_numIfES1_PKS1_PS1_Ev13rocblas_fill_18rocblas_operation_17rocblas_diagonal_iiT3_T4_lilT5_lili ; -- Begin function _ZL38rocblas_trsm_small_left_device_sharedBILi64ELi32ELb1E19rocblas_complex_numIfES1_PKS1_PS1_Ev13rocblas_fill_18rocblas_operation_17rocblas_diagonal_iiT3_T4_lilT5_lili
	.p2align	8
	.type	_ZL38rocblas_trsm_small_left_device_sharedBILi64ELi32ELb1E19rocblas_complex_numIfES1_PKS1_PS1_Ev13rocblas_fill_18rocblas_operation_17rocblas_diagonal_iiT3_T4_lilT5_lili,@function
_ZL38rocblas_trsm_small_left_device_sharedBILi64ELi32ELb1E19rocblas_complex_numIfES1_PKS1_PS1_Ev13rocblas_fill_18rocblas_operation_17rocblas_diagonal_iiT3_T4_lilT5_lili: ; @_ZL38rocblas_trsm_small_left_device_sharedBILi64ELi32ELb1E19rocblas_complex_numIfES1_PKS1_PS1_Ev13rocblas_fill_18rocblas_operation_17rocblas_diagonal_iiT3_T4_lilT5_lili
; %bb.0:
	s_load_b32 s30, s[0:1], 0x60
	s_bfe_u32 s2, ttmp6, 0x40014
	s_lshr_b32 s4, ttmp7, 16
	s_add_co_i32 s2, s2, 1
	s_bfe_u32 s5, ttmp6, 0x40008
	s_mul_i32 s2, s4, s2
	s_getreg_b32 s3, hwreg(HW_REG_IB_STS2, 6, 4)
	s_add_co_i32 s5, s5, s2
	s_cmp_eq_u32 s3, 0
	s_mov_b32 s15, 0
	s_cselect_b32 s2, s4, s5
	s_wait_kmcnt 0x0
	s_cmp_ge_u32 s2, s30
	s_cbranch_scc1 .LBB175_86
; %bb.1:
	s_clause 0x4
	s_load_b32 s20, s[0:1], 0x30
	s_load_b96 s[12:14], s[0:1], 0x48
	s_load_b128 s[8:11], s[0:1], 0x4
	s_load_b32 s4, s[0:1], 0x68
	s_load_b64 s[16:17], s[0:1], 0x14
	v_dual_mov_b32 v1, 0 :: v_dual_lshlrev_b32 v2, 3, v0
	v_mov_b64_e32 v[8:9], 0xbf80000000000000
	v_mov_b64_e32 v[12:13], 0x3f800000
	s_load_b128 s[24:27], s[0:1], 0x20
	s_delay_alu instid0(VALU_DEP_3) | instskip(SKIP_1) | instid1(VALU_DEP_1)
	v_or_b32_e32 v22, 0x8000, v2
	v_dual_lshlrev_b32 v11, 9, v0 :: v_dual_mov_b32 v3, v1
	v_add_nc_u32_e32 v23, v2, v11
	s_wait_kmcnt 0x0
	s_ashr_i32 s21, s20, 31
	s_ashr_i32 s19, s14, 31
	s_cmp_lg_u32 s8, 0x71
	s_mov_b32 s18, s14
	s_cselect_b32 s31, -1, 0
	s_bfe_u32 s5, ttmp6, 0x4000c
	s_min_i32 s33, s10, 64
	s_add_co_i32 s5, s5, 1
	s_and_b32 s6, ttmp6, 15
	s_mul_i32 s5, ttmp9, s5
	s_lshl_b64 s[12:13], s[12:13], 3
	s_add_co_i32 s4, s4, -1
	s_add_co_i32 s34, s33, -1
	s_add_co_i32 s6, s6, s5
	s_cmp_eq_u32 s3, 0
	v_mul_u64_e32 v[6:7], s[18:19], v[0:1]
	s_cselect_b32 s3, ttmp9, s6
	s_delay_alu instid0(SALU_CYCLE_1) | instskip(NEXT) | instid1(SALU_CYCLE_1)
	s_lshl_b32 s22, s3, 6
	s_sub_co_i32 s5, s11, s22
	s_cmp_ge_u32 s3, s4
	s_mov_b32 s11, s17
	s_cselect_b32 s3, s5, 64
	s_ashr_i32 s23, s22, 31
	v_cmp_gt_i32_e32 vcc_lo, s3, v0
	s_mul_u64 s[4:5], s[18:19], s[22:23]
	s_delay_alu instid0(SALU_CYCLE_1)
	s_lshl_b64 s[28:29], s[4:5], 3
	s_load_b128 s[4:7], s[0:1], 0x38
	s_cmp_lg_u32 s9, 0x84
	s_cselect_b32 s35, -1, 0
	s_cmp_gt_i32 s10, 0
	s_cselect_b32 s3, -1, 0
	s_cmp_lg_u32 s8, 0x6f
	s_cselect_b32 s36, -1, 0
	s_and_b32 s37, vcc_lo, s3
	s_cmp_gt_i32 s10, 1
	s_mov_b32 s10, s17
	s_cselect_b32 s38, -1, 0
	s_and_b32 s39, s33, 0x7e
	s_delay_alu instid0(SALU_CYCLE_1)
	s_cmp_lg_u32 s33, s39
	s_cselect_b32 s40, -1, 0
	s_lshl_b64 s[8:9], s[22:23], 3
	s_wait_kmcnt 0x0
	s_add_nc_u64 s[22:23], s[6:7], s[12:13]
	v_or_b32_e32 v10, s8, v2
	s_load_b64 s[6:7], s[0:1], 0x58
	s_wait_xcnt 0x0
	s_lshl_b64 s[0:1], s[26:27], 3
	s_lshl_b32 s41, s33, 3
	s_add_nc_u64 s[0:1], s[24:25], s[0:1]
	v_mad_nc_u64_u32 v[4:5], v10, s14, s[22:23]
	s_mov_b32 s8, s16
	s_mov_b32 s12, s17
	;; [unrolled: 1-line block ×3, first 2 shown]
	s_lshl_b64 s[4:5], s[4:5], 3
	s_lshl_b64 s[20:21], s[20:21], 3
	s_add_co_i32 s41, s41, -8
	s_get_pc_i64 s[24:25]
	s_add_nc_u64 s[24:25], s[24:25], __const._ZL38rocblas_trsm_small_left_device_sharedBILi64ELi32ELb1E19rocblas_complex_numIfES1_PKS1_PS1_Ev13rocblas_fill_18rocblas_operation_17rocblas_diagonal_iiT3_T4_lilT5_lili.step_sizes@rel64+4
	s_delay_alu instid0(VALU_DEP_1) | instskip(SKIP_1) | instid1(VALU_DEP_1)
	v_mad_u32 v5, s9, s14, v5
	s_mov_b32 s9, s16
	v_mad_u32 v5, v10, s19, v5
	v_add_nc_u64_e32 v[10:11], s[0:1], v[2:3]
	v_cmp_gt_i32_e64 s0, s33, v0
	s_add_nc_u64 s[18:19], s[22:23], s[28:29]
	s_wait_kmcnt 0x0
	s_lshl_b64 s[22:23], s[6:7], 3
	s_or_b32 s1, 0, 8
	v_add_nc_u64_e32 v[0:1], 4, v[10:11]
	v_add_nc_u64_e32 v[10:11], 4, v[4:5]
	s_branch .LBB175_3
.LBB175_2:                              ;   in Loop: Header=BB175_3 Depth=1
	s_or_b32 exec_lo, exec_lo, s3
	s_add_co_i32 s2, s2, 0x10000
	s_delay_alu instid0(SALU_CYCLE_1)
	s_cmp_lt_u32 s2, s30
	s_cbranch_scc0 .LBB175_86
.LBB175_3:                              ; =>This Loop Header: Depth=1
                                        ;     Child Loop BB175_6 Depth 2
                                        ;     Child Loop BB175_21 Depth 2
	;; [unrolled: 1-line block ×4, first 2 shown]
                                        ;       Child Loop BB175_32 Depth 3
                                        ;         Child Loop BB175_33 Depth 4
                                        ;         Child Loop BB175_37 Depth 4
                                        ;           Child Loop BB175_39 Depth 5
                                        ;           Child Loop BB175_45 Depth 5
                                        ;         Child Loop BB175_48 Depth 4
                                        ;           Child Loop BB175_50 Depth 5
                                        ;     Child Loop BB175_58 Depth 2
                                        ;       Child Loop BB175_61 Depth 3
                                        ;         Child Loop BB175_62 Depth 4
                                        ;         Child Loop BB175_66 Depth 4
                                        ;           Child Loop BB175_68 Depth 5
                                        ;           Child Loop BB175_74 Depth 5
                                        ;         Child Loop BB175_77 Depth 4
                                        ;           Child Loop BB175_79 Depth 5
                                        ;     Child Loop BB175_85 Depth 2
	s_mov_b32 s3, s15
	s_and_saveexec_b32 s14, s0
	s_cbranch_execz .LBB175_18
; %bb.4:                                ;   in Loop: Header=BB175_3 Depth=1
	s_delay_alu instid0(VALU_DEP_2) | instskip(SKIP_2) | instid1(VALU_DEP_2)
	v_mad_nc_u64_u32 v[14:15], s4, s2, v[0:1]
	v_mov_b32_e32 v3, v2
	s_mov_b32 s26, s33
	v_mad_u32 v15, s5, s2, v15
	s_branch .LBB175_6
.LBB175_5:                              ;   in Loop: Header=BB175_6 Depth=2
	global_load_b32 v16, v[14:15], off offset:-4
	s_wait_xcnt 0x0
	v_add_nc_u64_e32 v[14:15], s[20:21], v[14:15]
	s_add_co_i32 s26, s26, -1
	s_delay_alu instid0(SALU_CYCLE_1)
	s_cmp_eq_u32 s26, 0
	s_wait_loadcnt 0x0
	ds_store_b64 v3, v[16:17]
	v_add_nc_u32_e32 v3, 0x200, v3
	s_cbranch_scc1 .LBB175_10
.LBB175_6:                              ;   Parent Loop BB175_3 Depth=1
                                        ; =>  This Inner Loop Header: Depth=2
	s_and_b32 vcc_lo, exec_lo, s31
	s_mov_b32 s27, -1
                                        ; implicit-def: $vgpr17
	s_cbranch_vccz .LBB175_8
; %bb.7:                                ;   in Loop: Header=BB175_6 Depth=2
	global_load_b32 v17, v[14:15], off
	s_mov_b32 s27, 0
.LBB175_8:                              ;   in Loop: Header=BB175_6 Depth=2
	s_delay_alu instid0(SALU_CYCLE_1)
	s_and_not1_b32 vcc_lo, exec_lo, s27
	s_cbranch_vccnz .LBB175_5
; %bb.9:                                ;   in Loop: Header=BB175_6 Depth=2
	global_load_b32 v16, v[14:15], off
	s_wait_loadcnt 0x0
	v_xor_b32_e32 v17, 0x80000000, v16
	s_branch .LBB175_5
.LBB175_10:                             ;   in Loop: Header=BB175_3 Depth=1
	s_and_b32 vcc_lo, exec_lo, s35
	s_mov_b32 s26, -1
	s_cbranch_vccz .LBB175_16
; %bb.11:                               ;   in Loop: Header=BB175_3 Depth=1
	ds_load_b64 v[14:15], v23
                                        ; implicit-def: $vgpr16_vgpr17
	s_wait_dscnt 0x0
	v_cmp_ngt_f32_e64 s26, |v14|, |v15|
	s_and_saveexec_b32 s27, s26
	s_delay_alu instid0(SALU_CYCLE_1)
	s_xor_b32 s26, exec_lo, s27
	s_cbranch_execz .LBB175_13
; %bb.12:                               ;   in Loop: Header=BB175_3 Depth=1
	v_div_scale_f32 v3, null, v15, v15, v14
	v_div_scale_f32 v18, vcc_lo, v14, v15, v14
	s_delay_alu instid0(VALU_DEP_2) | instskip(SKIP_1) | instid1(TRANS32_DEP_1)
	v_rcp_f32_e32 v16, v3
	v_nop
	v_fma_f32 v17, -v3, v16, 1.0
	s_delay_alu instid0(VALU_DEP_1) | instskip(NEXT) | instid1(VALU_DEP_1)
	v_fmac_f32_e32 v16, v17, v16
	v_mul_f32_e32 v17, v18, v16
	s_delay_alu instid0(VALU_DEP_1) | instskip(NEXT) | instid1(VALU_DEP_1)
	v_fma_f32 v19, -v3, v17, v18
	v_fmac_f32_e32 v17, v19, v16
	s_delay_alu instid0(VALU_DEP_1) | instskip(NEXT) | instid1(VALU_DEP_1)
	v_fma_f32 v3, -v3, v17, v18
	v_div_fmas_f32 v3, v3, v16, v17
	s_delay_alu instid0(VALU_DEP_1) | instskip(NEXT) | instid1(VALU_DEP_1)
	v_div_fixup_f32 v16, v3, v15, v14
	v_fmac_f32_e32 v15, v14, v16
	s_delay_alu instid0(VALU_DEP_1) | instskip(SKIP_1) | instid1(VALU_DEP_2)
	v_div_scale_f32 v3, null, v15, v15, 1.0
	v_div_scale_f32 v18, vcc_lo, 1.0, v15, 1.0
	v_rcp_f32_e32 v14, v3
	v_nop
	s_delay_alu instid0(TRANS32_DEP_1) | instskip(NEXT) | instid1(VALU_DEP_1)
	v_fma_f32 v17, -v3, v14, 1.0
	v_fmac_f32_e32 v14, v17, v14
	s_delay_alu instid0(VALU_DEP_1) | instskip(NEXT) | instid1(VALU_DEP_1)
	v_mul_f32_e32 v17, v18, v14
	v_fma_f32 v19, -v3, v17, v18
	s_delay_alu instid0(VALU_DEP_1) | instskip(NEXT) | instid1(VALU_DEP_1)
	v_fmac_f32_e32 v17, v19, v14
	v_fma_f32 v3, -v3, v17, v18
	s_delay_alu instid0(VALU_DEP_1) | instskip(SKIP_1) | instid1(VALU_DEP_2)
	v_div_fmas_f32 v3, v3, v14, v17
	v_mul_f32_e32 v17, 0, v16
	v_div_fixup_f32 v14, v3, v15, 1.0
	s_delay_alu instid0(VALU_DEP_2) | instskip(NEXT) | instid1(VALU_DEP_1)
	v_pk_add_f32 v[16:17], v[16:17], v[8:9]
	v_pk_mul_f32 v[16:17], v[16:17], v[14:15] op_sel_hi:[1,0]
                                        ; implicit-def: $vgpr14_vgpr15
.LBB175_13:                             ;   in Loop: Header=BB175_3 Depth=1
	s_and_not1_saveexec_b32 s26, s26
	s_cbranch_execz .LBB175_15
; %bb.14:                               ;   in Loop: Header=BB175_3 Depth=1
	v_div_scale_f32 v3, null, v14, v14, v15
	v_div_scale_f32 v18, vcc_lo, v15, v14, v15
	s_delay_alu instid0(VALU_DEP_2) | instskip(SKIP_1) | instid1(TRANS32_DEP_1)
	v_rcp_f32_e32 v16, v3
	v_nop
	v_fma_f32 v17, -v3, v16, 1.0
	s_delay_alu instid0(VALU_DEP_1) | instskip(NEXT) | instid1(VALU_DEP_1)
	v_fmac_f32_e32 v16, v17, v16
	v_mul_f32_e32 v17, v18, v16
	s_delay_alu instid0(VALU_DEP_1) | instskip(NEXT) | instid1(VALU_DEP_1)
	v_fma_f32 v19, -v3, v17, v18
	v_fmac_f32_e32 v17, v19, v16
	s_delay_alu instid0(VALU_DEP_1) | instskip(NEXT) | instid1(VALU_DEP_1)
	v_fma_f32 v3, -v3, v17, v18
	v_div_fmas_f32 v3, v3, v16, v17
	s_delay_alu instid0(VALU_DEP_1) | instskip(NEXT) | instid1(VALU_DEP_1)
	v_div_fixup_f32 v3, v3, v14, v15
	v_fmac_f32_e32 v14, v15, v3
	s_delay_alu instid0(VALU_DEP_1) | instskip(SKIP_1) | instid1(VALU_DEP_2)
	v_div_scale_f32 v15, null, v14, v14, 1.0
	v_div_scale_f32 v18, vcc_lo, 1.0, v14, 1.0
	v_rcp_f32_e32 v16, v15
	v_nop
	s_delay_alu instid0(TRANS32_DEP_1) | instskip(NEXT) | instid1(VALU_DEP_1)
	v_fma_f32 v17, -v15, v16, 1.0
	v_fmac_f32_e32 v16, v17, v16
	s_delay_alu instid0(VALU_DEP_1) | instskip(NEXT) | instid1(VALU_DEP_1)
	v_mul_f32_e32 v17, v18, v16
	v_fma_f32 v19, -v15, v17, v18
	s_delay_alu instid0(VALU_DEP_1) | instskip(NEXT) | instid1(VALU_DEP_1)
	v_fmac_f32_e32 v17, v19, v16
	v_dual_fma_f32 v15, -v15, v17, v18 :: v_dual_mul_f32 v18, 0, v3
	s_delay_alu instid0(VALU_DEP_1) | instskip(NEXT) | instid1(VALU_DEP_2)
	v_div_fmas_f32 v15, v15, v16, v17
	v_dual_add_f32 v16, 1.0, v18 :: v_dual_sub_f32 v17, 0, v3
	s_delay_alu instid0(VALU_DEP_2) | instskip(NEXT) | instid1(VALU_DEP_1)
	v_div_fixup_f32 v14, v15, v14, 1.0
	v_pk_mul_f32 v[16:17], v[16:17], v[14:15] op_sel_hi:[1,0]
.LBB175_15:                             ;   in Loop: Header=BB175_3 Depth=1
	s_or_b32 exec_lo, exec_lo, s26
	s_mov_b32 s26, 0
	ds_store_b64 v23, v[16:17]
.LBB175_16:                             ;   in Loop: Header=BB175_3 Depth=1
	s_and_b32 vcc_lo, exec_lo, s26
	s_cbranch_vccz .LBB175_18
; %bb.17:                               ;   in Loop: Header=BB175_3 Depth=1
	ds_store_b64 v23, v[12:13]
.LBB175_18:                             ;   in Loop: Header=BB175_3 Depth=1
	s_or_b32 exec_lo, exec_lo, s14
	s_mul_u64 s[26:27], s[22:23], s[2:3]
	s_and_saveexec_b32 s42, s37
	s_cbranch_execz .LBB175_26
; %bb.19:                               ;   in Loop: Header=BB175_3 Depth=1
	s_and_not1_b32 vcc_lo, exec_lo, s38
	s_cbranch_vccnz .LBB175_23
; %bb.20:                               ;   in Loop: Header=BB175_3 Depth=1
	s_mul_u64 s[28:29], s[6:7], s[2:3]
	s_mov_b32 s14, 0
	s_lshl_b64 s[28:29], s[28:29], 3
	s_mov_b32 s3, s39
	s_add_nc_u64 s[28:29], s[18:19], s[28:29]
	s_delay_alu instid0(SALU_CYCLE_1)
	v_lshl_add_u64 v[14:15], v[6:7], 3, s[28:29]
	s_mov_b32 s28, 1
.LBB175_21:                             ;   Parent Loop BB175_3 Depth=1
                                        ; =>  This Inner Loop Header: Depth=2
	s_mov_b32 s29, s15
	s_delay_alu instid0(VALU_DEP_1)
	v_lshl_add_u64 v[16:17], s[14:15], 3, v[14:15]
	v_lshl_add_u64 v[18:19], s[28:29], 3, v[14:15]
	v_lshl_add_u32 v3, s14, 9, v22
	v_lshl_add_u32 v28, s28, 9, v22
	s_add_co_i32 s3, s3, -2
	s_clause 0x1
	global_load_b64 v[20:21], v[16:17], off
	global_load_b64 v[24:25], v[18:19], off
	s_wait_xcnt 0x1
	v_mov_b64_e32 v[16:17], s[10:11]
	s_wait_xcnt 0x0
	v_mov_b64_e32 v[18:19], s[8:9]
	s_add_co_i32 s14, s14, 2
	s_add_co_i32 s28, s28, 2
	s_mov_b32 s29, s39
	s_mov_b32 s43, s40
	s_cmp_lg_u32 s3, 0
	s_wait_loadcnt 0x0
	v_dual_mov_b32 v26, v20 :: v_dual_mov_b32 v27, v24
	v_mov_b32_e32 v24, v21
	s_delay_alu instid0(VALU_DEP_1) | instskip(SKIP_1) | instid1(VALU_DEP_2)
	v_pk_mul_f32 v[20:21], v[16:17], v[24:25]
	v_pk_mul_f32 v[24:25], v[18:19], v[24:25]
	v_pk_fma_f32 v[18:19], v[18:19], v[26:27], v[20:21] neg_lo:[0,0,1] neg_hi:[0,0,1]
	s_delay_alu instid0(VALU_DEP_2)
	v_pk_fma_f32 v[16:17], v[16:17], v[26:27], v[24:25]
	ds_store_b32 v3, v18
	ds_store_b32 v28, v19
	ds_store_b32 v3, v16 offset:4
	ds_store_b32 v28, v17 offset:4
	s_cbranch_scc1 .LBB175_21
; %bb.22:                               ;   in Loop: Header=BB175_3 Depth=1
	s_and_b32 vcc_lo, exec_lo, s43
	s_cbranch_vccnz .LBB175_24
	s_branch .LBB175_26
.LBB175_23:                             ;   in Loop: Header=BB175_3 Depth=1
	s_mov_b32 s29, 0
	s_cbranch_execz .LBB175_26
.LBB175_24:                             ;   in Loop: Header=BB175_3 Depth=1
	s_lshl_b32 s14, s29, 3
	v_lshl_add_u32 v3, s29, 9, v22
	s_add_nc_u64 s[44:45], s[26:27], s[14:15]
	s_sub_co_i32 s3, s33, s29
	v_add_nc_u64_e32 v[14:15], s[44:45], v[10:11]
.LBB175_25:                             ;   Parent Loop BB175_3 Depth=1
                                        ; =>  This Inner Loop Header: Depth=2
	global_load_b64 v[16:17], v[14:15], off offset:-4
	v_mov_b64_e32 v[18:19], s[12:13]
	v_mov_b64_e32 v[20:21], s[16:17]
	s_wait_xcnt 0x0
	v_add_nc_u64_e32 v[14:15], 8, v[14:15]
	s_add_co_i32 s3, s3, -1
	s_delay_alu instid0(SALU_CYCLE_1) | instskip(SKIP_2) | instid1(VALU_DEP_1)
	s_cmp_lg_u32 s3, 0
	s_wait_loadcnt 0x0
	v_pk_mul_f32 v[18:19], v[18:19], v[16:17] op_sel:[0,1]
	v_pk_fma_f32 v[24:25], v[20:21], v[16:17], v[18:19] op_sel_hi:[1,0,1]
	v_pk_fma_f32 v[16:17], v[20:21], v[16:17], v[18:19] neg_lo:[0,0,1] neg_hi:[0,0,1]
	s_delay_alu instid0(VALU_DEP_2)
	v_mov_b32_e32 v17, v25
	ds_store_b64 v3, v[16:17]
	v_add_nc_u32_e32 v3, 0x200, v3
	s_cbranch_scc1 .LBB175_25
.LBB175_26:                             ;   in Loop: Header=BB175_3 Depth=1
	s_or_b32 exec_lo, exec_lo, s42
	s_delay_alu instid0(SALU_CYCLE_1)
	s_and_not1_b32 vcc_lo, exec_lo, s36
	s_mov_b32 s3, -1
	s_wait_dscnt 0x0
	s_barrier_signal -1
	s_barrier_wait -1
	s_cbranch_vccnz .LBB175_55
; %bb.27:                               ;   in Loop: Header=BB175_3 Depth=1
	s_mov_b32 s14, 0
	s_mov_b32 s3, s34
	s_branch .LBB175_29
.LBB175_28:                             ;   in Loop: Header=BB175_29 Depth=2
	s_cmp_gt_i32 s3, -1
	s_cselect_b32 s28, -1, 0
	s_add_co_i32 s29, s14, 1
	s_cmp_lt_u32 s14, 2
	s_wait_xcnt 0x0
	s_cselect_b32 s14, -1, 0
	s_delay_alu instid0(SALU_CYCLE_1) | instskip(NEXT) | instid1(SALU_CYCLE_1)
	s_and_b32 s14, s28, s14
	s_and_b32 vcc_lo, exec_lo, s14
	s_mov_b32 s14, s29
	s_cbranch_vccz .LBB175_54
.LBB175_29:                             ;   Parent Loop BB175_3 Depth=1
                                        ; =>  This Loop Header: Depth=2
                                        ;       Child Loop BB175_32 Depth 3
                                        ;         Child Loop BB175_33 Depth 4
                                        ;         Child Loop BB175_37 Depth 4
                                        ;           Child Loop BB175_39 Depth 5
                                        ;           Child Loop BB175_45 Depth 5
                                        ;         Child Loop BB175_48 Depth 4
                                        ;           Child Loop BB175_50 Depth 5
	s_load_b32 s28, s[24:25], s14 offset:0x0 scale_offset
	s_wait_kmcnt 0x0
	s_add_co_i32 s29, s28, -1
	s_delay_alu instid0(SALU_CYCLE_1)
	s_cmp_lt_i32 s3, s29
	s_cbranch_scc1 .LBB175_28
; %bb.30:                               ;   in Loop: Header=BB175_29 Depth=2
	s_max_i32 s42, s28, 1
	s_cmp_lg_u32 s14, 2
	s_mul_i32 s48, s3, 0x208
	s_cselect_b32 s43, -1, 0
	s_and_b32 s44, s42, 0x7ffffffe
	s_mul_i32 s49, s28, 0xfffffdf8
	s_cmp_lg_u32 s42, s44
	s_cselect_b32 s45, -1, 0
	s_lshl_b32 s47, s3, 9
	s_lshl_b32 s46, s28, 9
	v_add_nc_u32_e32 v3, s47, v22
	s_sub_co_i32 s46, 0, s46
	s_add_co_i32 s47, s41, s47
	s_branch .LBB175_32
.LBB175_31:                             ;   in Loop: Header=BB175_32 Depth=3
	v_add_nc_u32_e32 v3, s46, v3
	s_sub_co_i32 s3, s3, s28
	s_add_co_i32 s47, s47, s46
	s_add_co_i32 s48, s48, s49
	s_cmp_lt_i32 s3, s29
	s_cbranch_scc1 .LBB175_28
.LBB175_32:                             ;   Parent Loop BB175_3 Depth=1
                                        ;     Parent Loop BB175_29 Depth=2
                                        ; =>    This Loop Header: Depth=3
                                        ;         Child Loop BB175_33 Depth 4
                                        ;         Child Loop BB175_37 Depth 4
                                        ;           Child Loop BB175_39 Depth 5
                                        ;           Child Loop BB175_45 Depth 5
                                        ;         Child Loop BB175_48 Depth 4
                                        ;           Child Loop BB175_50 Depth 5
	s_wait_xcnt 0x0
	v_mov_b32_e32 v14, v3
	s_mov_b32 s50, 0
	s_mov_b32 s51, s42
.LBB175_33:                             ;   Parent Loop BB175_3 Depth=1
                                        ;     Parent Loop BB175_29 Depth=2
                                        ;       Parent Loop BB175_32 Depth=3
                                        ; =>      This Inner Loop Header: Depth=4
	ds_load_b64 v[16:17], v14
	v_add_nc_u32_e32 v14, 0xfffffe00, v14
	s_add_co_i32 s51, s51, -1
	s_wait_dscnt 0x0
	scratch_store_b64 off, v[16:17], s50
	s_wait_xcnt 0x0
	s_add_co_i32 s50, s50, 8
	s_cmp_eq_u32 s51, 0
	s_cbranch_scc0 .LBB175_33
; %bb.34:                               ;   in Loop: Header=BB175_32 Depth=3
	s_cmp_le_i32 s34, s3
	s_cbranch_scc1 .LBB175_46
; %bb.35:                               ;   in Loop: Header=BB175_32 Depth=3
	s_mov_b32 s50, s3
	s_mov_b32 s51, s47
	;; [unrolled: 1-line block ×3, first 2 shown]
	s_branch .LBB175_37
.LBB175_36:                             ;   in Loop: Header=BB175_37 Depth=4
	s_add_co_i32 s52, s52, -1
	s_add_co_i32 s51, s51, -8
	s_cmp_le_i32 s52, s3
	s_cbranch_scc1 .LBB175_46
.LBB175_37:                             ;   Parent Loop BB175_3 Depth=1
                                        ;     Parent Loop BB175_29 Depth=2
                                        ;       Parent Loop BB175_32 Depth=3
                                        ; =>      This Loop Header: Depth=4
                                        ;           Child Loop BB175_39 Depth 5
                                        ;           Child Loop BB175_45 Depth 5
	v_lshl_add_u32 v14, s52, 9, v22
	s_and_b32 vcc_lo, exec_lo, s43
	ds_load_b64 v[14:15], v14
	s_cbranch_vccz .LBB175_41
; %bb.38:                               ;   in Loop: Header=BB175_37 Depth=4
	s_wait_dscnt 0x0
	v_dual_mov_b32 v18, v14 :: v_dual_mov_b32 v19, v14
	v_dual_mov_b32 v16, v15 :: v_dual_mov_b32 v20, v15
	v_mov_b32_e32 v21, v15
	s_lshl_b32 s53, s52, 3
	s_mov_b32 s54, 1
	s_mov_b32 s55, 0
	;; [unrolled: 1-line block ×4, first 2 shown]
.LBB175_39:                             ;   Parent Loop BB175_3 Depth=1
                                        ;     Parent Loop BB175_29 Depth=2
                                        ;       Parent Loop BB175_32 Depth=3
                                        ;         Parent Loop BB175_37 Depth=4
                                        ; =>        This Inner Loop Header: Depth=5
	scratch_load_b128 v[24:27], off, s57 offset:-8
	s_sub_co_i32 s58, s50, s54
	s_sub_co_i32 s59, s3, s55
	s_lshl_b32 s58, s58, 9
	s_lshl_b32 s59, s59, 9
	s_add_co_i32 s58, s53, s58
	s_add_co_i32 s59, s53, s59
	s_delay_alu instid0(SALU_CYCLE_1)
	v_dual_mov_b32 v17, s58 :: v_dual_mov_b32 v30, s59
	s_add_co_i32 s56, s56, -2
	s_add_co_i32 s55, s55, 2
	ds_load_b64 v[28:29], v17
	ds_load_b64 v[30:31], v30
	s_add_co_i32 s54, s54, 2
	s_wait_dscnt 0x0
	v_dual_mov_b32 v33, v28 :: v_dual_mov_b32 v28, v31
	v_mov_b32_e32 v32, v30
	s_delay_alu instid0(VALU_DEP_2) | instskip(SKIP_1) | instid1(VALU_DEP_2)
	v_pk_mul_f32 v[30:31], v[28:29], v[20:21]
	v_pk_mul_f32 v[28:29], v[28:29], v[18:19]
	v_pk_fma_f32 v[30:31], v[32:33], v[18:19], v[30:31] neg_lo:[0,0,1] neg_hi:[0,0,1]
	s_delay_alu instid0(VALU_DEP_2) | instskip(SKIP_3) | instid1(VALU_DEP_2)
	v_pk_fma_f32 v[28:29], v[32:33], v[20:21], v[28:29]
	s_wait_loadcnt 0x0
	v_dual_mov_b32 v32, v24 :: v_dual_mov_b32 v33, v26
	v_mov_b32_e32 v26, v25
	v_pk_add_f32 v[30:31], v[32:33], v[30:31] neg_lo:[0,1] neg_hi:[0,1]
	s_delay_alu instid0(VALU_DEP_2) | instskip(NEXT) | instid1(VALU_DEP_1)
	v_pk_add_f32 v[26:27], v[26:27], v[28:29] neg_lo:[0,1] neg_hi:[0,1]
	v_dual_mov_b32 v24, v30 :: v_dual_mov_b32 v25, v26
	s_delay_alu instid0(VALU_DEP_3)
	v_mov_b32_e32 v26, v31
	scratch_store_b128 off, v[24:27], s57 offset:-8
	s_wait_xcnt 0x0
	s_add_co_i32 s57, s57, 16
	s_cmp_lg_u32 s56, 0
	s_cbranch_scc1 .LBB175_39
; %bb.40:                               ;   in Loop: Header=BB175_37 Depth=4
	s_mov_b32 s53, s45
	s_mov_b32 s54, s44
	s_branch .LBB175_43
.LBB175_41:                             ;   in Loop: Header=BB175_37 Depth=4
	s_wait_dscnt 0x0
	v_mov_b32_e32 v16, v15
	s_mov_b32 s53, 0
	s_mov_b32 s54, s44
	s_cbranch_execz .LBB175_43
; %bb.42:                               ;   in Loop: Header=BB175_37 Depth=4
	s_mov_b32 s53, -1
	s_mov_b32 s54, 0
.LBB175_43:                             ;   in Loop: Header=BB175_37 Depth=4
	s_and_not1_b32 vcc_lo, exec_lo, s53
	s_cbranch_vccnz .LBB175_36
; %bb.44:                               ;   in Loop: Header=BB175_37 Depth=4
	v_dual_mov_b32 v17, v15 :: v_dual_mov_b32 v15, v14
	s_lshl_b32 s55, s54, 9
	s_lshl_b32 s56, s54, 3
	s_sub_co_i32 s53, s42, s54
	s_sub_co_i32 s54, s51, s55
	s_mov_b32 s55, s56
.LBB175_45:                             ;   Parent Loop BB175_3 Depth=1
                                        ;     Parent Loop BB175_29 Depth=2
                                        ;       Parent Loop BB175_32 Depth=3
                                        ;         Parent Loop BB175_37 Depth=4
                                        ; =>        This Inner Loop Header: Depth=5
	scratch_load_b64 v[18:19], off, s55
	v_mov_b32_e32 v20, s54
	s_add_co_i32 s53, s53, -1
	s_addk_co_i32 s54, 0xfe00
	ds_load_b64 v[20:21], v20
	s_wait_dscnt 0x0
	v_pk_mul_f32 v[24:25], v[20:21], v[16:17] op_sel:[1,0] op_sel_hi:[0,1]
	s_delay_alu instid0(VALU_DEP_1) | instskip(SKIP_1) | instid1(VALU_DEP_2)
	v_pk_fma_f32 v[26:27], v[20:21], v[14:15], v[24:25]
	v_pk_fma_f32 v[20:21], v[20:21], v[14:15], v[24:25] neg_lo:[0,0,1] neg_hi:[0,0,1]
	v_mov_b32_e32 v21, v27
	s_wait_loadcnt 0x0
	s_delay_alu instid0(VALU_DEP_1)
	v_pk_add_f32 v[18:19], v[18:19], v[20:21] neg_lo:[0,1] neg_hi:[0,1]
	scratch_store_b64 off, v[18:19], s55
	s_wait_xcnt 0x0
	s_add_co_i32 s55, s55, 8
	s_cmp_eq_u32 s53, 0
	s_cbranch_scc0 .LBB175_45
	s_branch .LBB175_36
.LBB175_46:                             ;   in Loop: Header=BB175_32 Depth=3
	s_lshl_b32 s50, s3, 9
	s_mov_b32 s51, 0
	s_mov_b32 s52, s48
	s_branch .LBB175_48
.LBB175_47:                             ;   in Loop: Header=BB175_48 Depth=4
	s_wait_xcnt 0x0
	s_mulk_i32 s54, 0x208
	s_addk_co_i32 s52, 0xfe00
	v_mov_b32_e32 v15, s54
	s_lshl_b32 s54, s51, 3
	s_add_co_i32 s51, s51, 1
	s_delay_alu instid0(SALU_CYCLE_1) | instskip(SKIP_3) | instid1(VALU_DEP_1)
	s_cmp_eq_u32 s51, s42
	ds_load_b64 v[18:19], v15
	s_wait_dscnt 0x0
	v_pk_mul_f32 v[16:17], v[18:19], v[16:17] op_sel:[1,0] op_sel_hi:[0,0]
	v_pk_fma_f32 v[20:21], v[18:19], v[14:15], v[16:17] op_sel_hi:[1,0,1]
	v_add_nc_u32_e32 v20, s53, v22
	v_pk_fma_f32 v[14:15], v[18:19], v[14:15], v[16:17] neg_lo:[0,0,1] neg_hi:[0,0,1]
	s_delay_alu instid0(VALU_DEP_3)
	v_mov_b32_e32 v15, v21
	scratch_store_b64 off, v[14:15], s54
	ds_store_b64 v20, v[14:15]
	s_cbranch_scc1 .LBB175_31
.LBB175_48:                             ;   Parent Loop BB175_3 Depth=1
                                        ;     Parent Loop BB175_29 Depth=2
                                        ;       Parent Loop BB175_32 Depth=3
                                        ; =>      This Loop Header: Depth=4
                                        ;           Child Loop BB175_50 Depth 5
	s_cmp_lg_u32 s51, 0
	s_cbranch_scc0 .LBB175_52
; %bb.49:                               ;   in Loop: Header=BB175_48 Depth=4
	s_lshl_b32 s53, s51, 3
	s_wait_xcnt 0x0
	s_mov_b32 s54, 0
	scratch_load_b64 v[14:15], off, s53
	s_mov_b32 s55, s52
	s_mov_b32 s56, s51
.LBB175_50:                             ;   Parent Loop BB175_3 Depth=1
                                        ;     Parent Loop BB175_29 Depth=2
                                        ;       Parent Loop BB175_32 Depth=3
                                        ;         Parent Loop BB175_48 Depth=4
                                        ; =>        This Inner Loop Header: Depth=5
	scratch_load_b64 v[16:17], off, s54
	v_mov_b32_e32 v18, s55
	s_add_co_i32 s56, s56, -1
	s_add_co_i32 s55, s55, -8
	s_wait_xcnt 0x0
	s_add_co_i32 s54, s54, 8
	s_cmp_eq_u32 s56, 0
	ds_load_b64 v[18:19], v18
	s_wait_loadcnt_dscnt 0x0
	v_pk_mul_f32 v[20:21], v[18:19], v[16:17] op_sel:[1,1] op_sel_hi:[0,1]
	s_delay_alu instid0(VALU_DEP_1) | instskip(SKIP_1) | instid1(VALU_DEP_2)
	v_pk_fma_f32 v[24:25], v[18:19], v[16:17], v[20:21] op_sel_hi:[1,0,1]
	v_pk_fma_f32 v[16:17], v[18:19], v[16:17], v[20:21] neg_lo:[0,0,1] neg_hi:[0,0,1]
	v_mov_b32_e32 v17, v25
	s_delay_alu instid0(VALU_DEP_1)
	v_pk_add_f32 v[14:15], v[14:15], v[16:17] neg_lo:[0,1] neg_hi:[0,1]
	scratch_store_b64 off, v[14:15], s53
	s_cbranch_scc0 .LBB175_50
; %bb.51:                               ;   in Loop: Header=BB175_48 Depth=4
	v_mov_b32_e32 v16, v15
	s_sub_co_i32 s54, s3, s51
	s_wait_xcnt 0x0
	s_lshl_b32 s53, s54, 9
	s_branch .LBB175_47
.LBB175_52:                             ;   in Loop: Header=BB175_48 Depth=4
                                        ; implicit-def: $vgpr14
                                        ; implicit-def: $vgpr16
                                        ; implicit-def: $sgpr54
                                        ; implicit-def: $sgpr53
	s_cbranch_execz .LBB175_47
; %bb.53:                               ;   in Loop: Header=BB175_48 Depth=4
	scratch_load_b64 v[14:15], off, off
	s_mov_b32 s53, s50
	s_mov_b32 s54, s3
	s_wait_loadcnt 0x0
	v_mov_b32_e32 v16, v15
	s_branch .LBB175_47
.LBB175_54:                             ;   in Loop: Header=BB175_3 Depth=1
	s_mov_b32 s3, 0
.LBB175_55:                             ;   in Loop: Header=BB175_3 Depth=1
	s_delay_alu instid0(SALU_CYCLE_1)
	s_and_b32 vcc_lo, exec_lo, s3
	s_cbranch_vccz .LBB175_83
; %bb.56:                               ;   in Loop: Header=BB175_3 Depth=1
	s_mov_b32 s14, 0
	s_mov_b32 s3, 0
	s_branch .LBB175_58
.LBB175_57:                             ;   in Loop: Header=BB175_58 Depth=2
	s_cmp_lt_i32 s3, s33
	s_cselect_b32 s28, -1, 0
	s_add_co_i32 s29, s14, 1
	s_cmp_lt_u32 s14, 2
	s_cselect_b32 s14, -1, 0
	s_delay_alu instid0(SALU_CYCLE_1) | instskip(NEXT) | instid1(SALU_CYCLE_1)
	s_and_b32 s14, s28, s14
	s_and_not1_b32 vcc_lo, exec_lo, s14
	s_mov_b32 s14, s29
	s_cbranch_vccnz .LBB175_83
.LBB175_58:                             ;   Parent Loop BB175_3 Depth=1
                                        ; =>  This Loop Header: Depth=2
                                        ;       Child Loop BB175_61 Depth 3
                                        ;         Child Loop BB175_62 Depth 4
                                        ;         Child Loop BB175_66 Depth 4
                                        ;           Child Loop BB175_68 Depth 5
                                        ;           Child Loop BB175_74 Depth 5
                                        ;         Child Loop BB175_77 Depth 4
                                        ;           Child Loop BB175_79 Depth 5
	s_load_b32 s28, s[24:25], s14 offset:0x0 scale_offset
	s_wait_kmcnt 0x0
	s_add_co_i32 s29, s28, -1
	s_delay_alu instid0(SALU_CYCLE_1) | instskip(NEXT) | instid1(SALU_CYCLE_1)
	s_add_co_i32 s42, s29, s3
	s_cmp_ge_i32 s42, s33
	s_cbranch_scc1 .LBB175_57
; %bb.59:                               ;   in Loop: Header=BB175_58 Depth=2
	s_max_i32 s42, s28, 1
	s_cmp_lg_u32 s14, 2
	v_lshl_add_u32 v3, s3, 9, v22
	s_cselect_b32 s43, -1, 0
	s_and_b32 s44, s42, 0x7ffffffe
	s_mul_i32 s49, s3, 0x208
	s_cmp_lg_u32 s42, s44
	s_mul_i32 s50, s28, 0x208
	s_cselect_b32 s45, -1, 0
	s_lshl_b32 s46, s28, 9
	s_lshl_b32 s47, s3, 3
	;; [unrolled: 1-line block ×3, first 2 shown]
	s_branch .LBB175_61
.LBB175_60:                             ;   in Loop: Header=BB175_61 Depth=3
	s_add_co_i32 s3, s3, s28
	v_add_nc_u32_e32 v3, s46, v3
	s_add_co_i32 s51, s29, s3
	s_add_co_i32 s47, s47, s48
	;; [unrolled: 1-line block ×3, first 2 shown]
	s_cmp_ge_i32 s51, s33
	s_cbranch_scc1 .LBB175_57
.LBB175_61:                             ;   Parent Loop BB175_3 Depth=1
                                        ;     Parent Loop BB175_58 Depth=2
                                        ; =>    This Loop Header: Depth=3
                                        ;         Child Loop BB175_62 Depth 4
                                        ;         Child Loop BB175_66 Depth 4
                                        ;           Child Loop BB175_68 Depth 5
                                        ;           Child Loop BB175_74 Depth 5
                                        ;         Child Loop BB175_77 Depth 4
                                        ;           Child Loop BB175_79 Depth 5
	s_wait_xcnt 0x0
	v_mov_b32_e32 v14, v3
	s_mov_b32 s51, 0
	s_mov_b32 s52, s42
.LBB175_62:                             ;   Parent Loop BB175_3 Depth=1
                                        ;     Parent Loop BB175_58 Depth=2
                                        ;       Parent Loop BB175_61 Depth=3
                                        ; =>      This Inner Loop Header: Depth=4
	ds_load_b64 v[16:17], v14
	v_add_nc_u32_e32 v14, 0x200, v14
	s_add_co_i32 s52, s52, -1
	s_wait_dscnt 0x0
	scratch_store_b64 off, v[16:17], s51
	s_wait_xcnt 0x0
	s_add_co_i32 s51, s51, 8
	s_cmp_eq_u32 s52, 0
	s_cbranch_scc0 .LBB175_62
; %bb.63:                               ;   in Loop: Header=BB175_61 Depth=3
	s_cmp_lt_i32 s3, 1
	s_cbranch_scc1 .LBB175_75
; %bb.64:                               ;   in Loop: Header=BB175_61 Depth=3
	s_mov_b32 s51, 0
	s_mov_b32 s52, s47
	s_branch .LBB175_66
.LBB175_65:                             ;   in Loop: Header=BB175_66 Depth=4
	s_add_co_i32 s51, s51, 1
	s_addk_co_i32 s52, 0x200
	s_cmp_eq_u32 s51, s3
	s_cbranch_scc1 .LBB175_75
.LBB175_66:                             ;   Parent Loop BB175_3 Depth=1
                                        ;     Parent Loop BB175_58 Depth=2
                                        ;       Parent Loop BB175_61 Depth=3
                                        ; =>      This Loop Header: Depth=4
                                        ;           Child Loop BB175_68 Depth 5
                                        ;           Child Loop BB175_74 Depth 5
	v_lshl_add_u32 v14, s51, 9, v22
	s_and_b32 vcc_lo, exec_lo, s43
	ds_load_b64 v[14:15], v14
	s_cbranch_vccz .LBB175_70
; %bb.67:                               ;   in Loop: Header=BB175_66 Depth=4
	s_wait_dscnt 0x0
	s_wait_xcnt 0x0
	v_dual_mov_b32 v18, v14 :: v_dual_mov_b32 v19, v14
	v_dual_mov_b32 v16, v15 :: v_dual_mov_b32 v20, v15
	v_mov_b32_e32 v21, v15
	s_mov_b32 s53, s44
	s_mov_b32 s54, s1
	;; [unrolled: 1-line block ×3, first 2 shown]
.LBB175_68:                             ;   Parent Loop BB175_3 Depth=1
                                        ;     Parent Loop BB175_58 Depth=2
                                        ;       Parent Loop BB175_61 Depth=3
                                        ;         Parent Loop BB175_66 Depth=4
                                        ; =>        This Inner Loop Header: Depth=5
	scratch_load_b128 v[24:27], off, s54 offset:-8
	v_mov_b32_e32 v17, s55
	s_add_co_i32 s53, s53, -2
	s_add_co_i32 s55, s55, 16
	ds_load_2addr_b64 v[28:31], v17 offset1:1
	s_wait_dscnt 0x0
	v_dual_mov_b32 v33, v30 :: v_dual_mov_b32 v30, v29
	v_mov_b32_e32 v32, v28
	s_delay_alu instid0(VALU_DEP_2) | instskip(SKIP_1) | instid1(VALU_DEP_2)
	v_pk_mul_f32 v[28:29], v[30:31], v[20:21]
	v_pk_mul_f32 v[30:31], v[30:31], v[18:19]
	v_pk_fma_f32 v[28:29], v[32:33], v[18:19], v[28:29] neg_lo:[0,0,1] neg_hi:[0,0,1]
	s_delay_alu instid0(VALU_DEP_2) | instskip(SKIP_2) | instid1(VALU_DEP_1)
	v_pk_fma_f32 v[30:31], v[32:33], v[20:21], v[30:31]
	s_wait_loadcnt 0x0
	v_dual_mov_b32 v32, v24 :: v_dual_mov_b32 v33, v26
	v_pk_add_f32 v[28:29], v[32:33], v[28:29] neg_lo:[0,1] neg_hi:[0,1]
	s_delay_alu instid0(VALU_DEP_1) | instskip(NEXT) | instid1(VALU_DEP_1)
	v_dual_mov_b32 v26, v25 :: v_dual_mov_b32 v24, v28
	v_pk_add_f32 v[26:27], v[26:27], v[30:31] neg_lo:[0,1] neg_hi:[0,1]
	s_delay_alu instid0(VALU_DEP_1)
	v_dual_mov_b32 v25, v26 :: v_dual_mov_b32 v26, v29
	scratch_store_b128 off, v[24:27], s54 offset:-8
	s_wait_xcnt 0x0
	s_add_co_i32 s54, s54, 16
	s_cmp_lg_u32 s53, 0
	s_cbranch_scc1 .LBB175_68
; %bb.69:                               ;   in Loop: Header=BB175_66 Depth=4
	s_mov_b32 s53, s45
	s_mov_b32 s54, s44
	s_branch .LBB175_72
.LBB175_70:                             ;   in Loop: Header=BB175_66 Depth=4
	s_wait_dscnt 0x0
	v_mov_b32_e32 v16, v15
	s_mov_b32 s53, 0
	s_mov_b32 s54, s44
	s_cbranch_execz .LBB175_72
; %bb.71:                               ;   in Loop: Header=BB175_66 Depth=4
	s_mov_b32 s53, -1
	s_mov_b32 s54, 0
.LBB175_72:                             ;   in Loop: Header=BB175_66 Depth=4
	s_and_not1_b32 vcc_lo, exec_lo, s53
	s_cbranch_vccnz .LBB175_65
; %bb.73:                               ;   in Loop: Header=BB175_66 Depth=4
	v_dual_mov_b32 v17, v15 :: v_dual_mov_b32 v15, v14
	s_sub_co_i32 s53, s42, s54
	s_lshl_b32 s54, s54, 3
.LBB175_74:                             ;   Parent Loop BB175_3 Depth=1
                                        ;     Parent Loop BB175_58 Depth=2
                                        ;       Parent Loop BB175_61 Depth=3
                                        ;         Parent Loop BB175_66 Depth=4
                                        ; =>        This Inner Loop Header: Depth=5
	scratch_load_b64 v[18:19], off, s54
	s_add_co_i32 s56, s52, s54
	s_add_co_i32 s53, s53, -1
	v_mov_b32_e32 v20, s56
	s_mov_b32 s55, s54
	s_wait_xcnt 0x0
	s_add_co_i32 s54, s54, 8
	s_cmp_eq_u32 s53, 0
	ds_load_b64 v[20:21], v20
	s_wait_dscnt 0x0
	v_pk_mul_f32 v[24:25], v[20:21], v[16:17] op_sel:[1,0] op_sel_hi:[0,1]
	s_delay_alu instid0(VALU_DEP_1) | instskip(SKIP_1) | instid1(VALU_DEP_2)
	v_pk_fma_f32 v[26:27], v[20:21], v[14:15], v[24:25]
	v_pk_fma_f32 v[20:21], v[20:21], v[14:15], v[24:25] neg_lo:[0,0,1] neg_hi:[0,0,1]
	v_mov_b32_e32 v21, v27
	s_wait_loadcnt 0x0
	s_delay_alu instid0(VALU_DEP_1)
	v_pk_add_f32 v[18:19], v[18:19], v[20:21] neg_lo:[0,1] neg_hi:[0,1]
	scratch_store_b64 off, v[18:19], s55
	s_cbranch_scc0 .LBB175_74
	s_branch .LBB175_65
.LBB175_75:                             ;   in Loop: Header=BB175_61 Depth=3
	s_mov_b32 s51, 0
	s_mov_b32 s52, s49
	s_branch .LBB175_77
.LBB175_76:                             ;   in Loop: Header=BB175_77 Depth=4
	s_add_co_i32 s53, s51, s3
	s_add_co_i32 s52, s52, 8
	s_wait_xcnt 0x0
	s_mul_i32 s54, s53, 0x208
	s_delay_alu instid0(SALU_CYCLE_1) | instskip(SKIP_2) | instid1(SALU_CYCLE_1)
	v_mov_b32_e32 v15, s54
	s_lshl_b32 s54, s51, 3
	s_add_co_i32 s51, s51, 1
	s_cmp_eq_u32 s51, s42
	s_wait_xcnt 0x0
	ds_load_b64 v[18:19], v15
	s_wait_dscnt 0x0
	v_pk_mul_f32 v[16:17], v[18:19], v[16:17] op_sel:[1,0] op_sel_hi:[0,0]
	s_delay_alu instid0(VALU_DEP_1) | instskip(SKIP_2) | instid1(VALU_DEP_3)
	v_pk_fma_f32 v[20:21], v[18:19], v[14:15], v[16:17] op_sel_hi:[1,0,1]
	v_pk_fma_f32 v[14:15], v[18:19], v[14:15], v[16:17] neg_lo:[0,0,1] neg_hi:[0,0,1]
	v_lshl_add_u32 v16, s53, 9, v22
	v_mov_b32_e32 v15, v21
	scratch_store_b64 off, v[14:15], s54
	ds_store_b64 v16, v[14:15]
	s_cbranch_scc1 .LBB175_60
.LBB175_77:                             ;   Parent Loop BB175_3 Depth=1
                                        ;     Parent Loop BB175_58 Depth=2
                                        ;       Parent Loop BB175_61 Depth=3
                                        ; =>      This Loop Header: Depth=4
                                        ;           Child Loop BB175_79 Depth 5
	s_cmp_lg_u32 s51, 0
	s_cbranch_scc0 .LBB175_81
; %bb.78:                               ;   in Loop: Header=BB175_77 Depth=4
	s_lshl_b32 s53, s51, 3
	s_wait_xcnt 0x0
	s_mov_b32 s54, 0
	scratch_load_b64 v[14:15], off, s53
	s_wait_xcnt 0x1
	s_mov_b32 s55, s52
	s_mov_b32 s56, s51
.LBB175_79:                             ;   Parent Loop BB175_3 Depth=1
                                        ;     Parent Loop BB175_58 Depth=2
                                        ;       Parent Loop BB175_61 Depth=3
                                        ;         Parent Loop BB175_77 Depth=4
                                        ; =>        This Inner Loop Header: Depth=5
	scratch_load_b64 v[16:17], off, s54
	v_mov_b32_e32 v18, s55
	s_add_co_i32 s56, s56, -1
	s_addk_co_i32 s55, 0x200
	s_wait_xcnt 0x0
	s_add_co_i32 s54, s54, 8
	s_cmp_eq_u32 s56, 0
	ds_load_b64 v[18:19], v18
	s_wait_loadcnt_dscnt 0x0
	v_pk_mul_f32 v[20:21], v[18:19], v[16:17] op_sel:[1,1] op_sel_hi:[0,1]
	s_delay_alu instid0(VALU_DEP_1) | instskip(SKIP_1) | instid1(VALU_DEP_2)
	v_pk_fma_f32 v[24:25], v[18:19], v[16:17], v[20:21] op_sel_hi:[1,0,1]
	v_pk_fma_f32 v[16:17], v[18:19], v[16:17], v[20:21] neg_lo:[0,0,1] neg_hi:[0,0,1]
	v_mov_b32_e32 v17, v25
	s_delay_alu instid0(VALU_DEP_1)
	v_pk_add_f32 v[14:15], v[14:15], v[16:17] neg_lo:[0,1] neg_hi:[0,1]
	scratch_store_b64 off, v[14:15], s53
	s_cbranch_scc0 .LBB175_79
; %bb.80:                               ;   in Loop: Header=BB175_77 Depth=4
	v_mov_b32_e32 v16, v15
	s_wait_xcnt 0x0
	s_branch .LBB175_76
.LBB175_81:                             ;   in Loop: Header=BB175_77 Depth=4
                                        ; implicit-def: $vgpr14
                                        ; implicit-def: $vgpr16
	s_cbranch_execz .LBB175_76
; %bb.82:                               ;   in Loop: Header=BB175_77 Depth=4
	scratch_load_b64 v[14:15], off, off
	s_wait_loadcnt 0x0
	v_mov_b32_e32 v16, v15
	s_branch .LBB175_76
.LBB175_83:                             ;   in Loop: Header=BB175_3 Depth=1
	s_wait_storecnt_dscnt 0x0
	s_barrier_signal -1
	s_barrier_wait -1
	s_wait_xcnt 0x0
	s_and_saveexec_b32 s3, s37
	s_cbranch_execz .LBB175_2
; %bb.84:                               ;   in Loop: Header=BB175_3 Depth=1
	v_add_nc_u64_e32 v[14:15], s[26:27], v[4:5]
	v_mov_b32_e32 v3, v22
	s_mov_b32 s14, s33
.LBB175_85:                             ;   Parent Loop BB175_3 Depth=1
                                        ; =>  This Inner Loop Header: Depth=2
	ds_load_b64 v[16:17], v3
	v_add_nc_u32_e32 v3, 0x200, v3
	s_add_co_i32 s14, s14, -1
	s_delay_alu instid0(SALU_CYCLE_1)
	s_cmp_lg_u32 s14, 0
	s_wait_dscnt 0x0
	global_store_b64 v[14:15], v[16:17], off
	s_wait_xcnt 0x0
	v_add_nc_u64_e32 v[14:15], 8, v[14:15]
	s_cbranch_scc1 .LBB175_85
	s_branch .LBB175_2
.LBB175_86:
	s_endpgm
	.section	.rodata,"a",@progbits
	.p2align	6, 0x0
	.amdhsa_kernel _ZL38rocblas_trsm_small_left_device_sharedBILi64ELi32ELb1E19rocblas_complex_numIfES1_PKS1_PS1_Ev13rocblas_fill_18rocblas_operation_17rocblas_diagonal_iiT3_T4_lilT5_lili
		.amdhsa_group_segment_fixed_size 65536
		.amdhsa_private_segment_fixed_size 272
		.amdhsa_kernarg_size 360
		.amdhsa_user_sgpr_count 2
		.amdhsa_user_sgpr_dispatch_ptr 0
		.amdhsa_user_sgpr_queue_ptr 0
		.amdhsa_user_sgpr_kernarg_segment_ptr 1
		.amdhsa_user_sgpr_dispatch_id 0
		.amdhsa_user_sgpr_kernarg_preload_length 0
		.amdhsa_user_sgpr_kernarg_preload_offset 0
		.amdhsa_user_sgpr_private_segment_size 0
		.amdhsa_wavefront_size32 1
		.amdhsa_uses_dynamic_stack 0
		.amdhsa_enable_private_segment 1
		.amdhsa_system_sgpr_workgroup_id_x 1
		.amdhsa_system_sgpr_workgroup_id_y 0
		.amdhsa_system_sgpr_workgroup_id_z 1
		.amdhsa_system_sgpr_workgroup_info 0
		.amdhsa_system_vgpr_workitem_id 0
		.amdhsa_next_free_vgpr 257
		.amdhsa_next_free_sgpr 60
		.amdhsa_named_barrier_count 0
		.amdhsa_reserve_vcc 1
		.amdhsa_float_round_mode_32 0
		.amdhsa_float_round_mode_16_64 0
		.amdhsa_float_denorm_mode_32 3
		.amdhsa_float_denorm_mode_16_64 3
		.amdhsa_fp16_overflow 0
		.amdhsa_memory_ordered 1
		.amdhsa_forward_progress 1
		.amdhsa_inst_pref_size 31
		.amdhsa_round_robin_scheduling 0
		.amdhsa_exception_fp_ieee_invalid_op 0
		.amdhsa_exception_fp_denorm_src 0
		.amdhsa_exception_fp_ieee_div_zero 0
		.amdhsa_exception_fp_ieee_overflow 0
		.amdhsa_exception_fp_ieee_underflow 0
		.amdhsa_exception_fp_ieee_inexact 0
		.amdhsa_exception_int_div_zero 0
	.end_amdhsa_kernel
	.section	.text._ZL38rocblas_trsm_small_left_device_sharedBILi64ELi32ELb1E19rocblas_complex_numIfES1_PKS1_PS1_Ev13rocblas_fill_18rocblas_operation_17rocblas_diagonal_iiT3_T4_lilT5_lili,"axG",@progbits,_ZL38rocblas_trsm_small_left_device_sharedBILi64ELi32ELb1E19rocblas_complex_numIfES1_PKS1_PS1_Ev13rocblas_fill_18rocblas_operation_17rocblas_diagonal_iiT3_T4_lilT5_lili,comdat
.Lfunc_end175:
	.size	_ZL38rocblas_trsm_small_left_device_sharedBILi64ELi32ELb1E19rocblas_complex_numIfES1_PKS1_PS1_Ev13rocblas_fill_18rocblas_operation_17rocblas_diagonal_iiT3_T4_lilT5_lili, .Lfunc_end175-_ZL38rocblas_trsm_small_left_device_sharedBILi64ELi32ELb1E19rocblas_complex_numIfES1_PKS1_PS1_Ev13rocblas_fill_18rocblas_operation_17rocblas_diagonal_iiT3_T4_lilT5_lili
                                        ; -- End function
	.set _ZL38rocblas_trsm_small_left_device_sharedBILi64ELi32ELb1E19rocblas_complex_numIfES1_PKS1_PS1_Ev13rocblas_fill_18rocblas_operation_17rocblas_diagonal_iiT3_T4_lilT5_lili.num_vgpr, 34
	.set _ZL38rocblas_trsm_small_left_device_sharedBILi64ELi32ELb1E19rocblas_complex_numIfES1_PKS1_PS1_Ev13rocblas_fill_18rocblas_operation_17rocblas_diagonal_iiT3_T4_lilT5_lili.num_agpr, 0
	.set _ZL38rocblas_trsm_small_left_device_sharedBILi64ELi32ELb1E19rocblas_complex_numIfES1_PKS1_PS1_Ev13rocblas_fill_18rocblas_operation_17rocblas_diagonal_iiT3_T4_lilT5_lili.numbered_sgpr, 60
	.set _ZL38rocblas_trsm_small_left_device_sharedBILi64ELi32ELb1E19rocblas_complex_numIfES1_PKS1_PS1_Ev13rocblas_fill_18rocblas_operation_17rocblas_diagonal_iiT3_T4_lilT5_lili.num_named_barrier, 0
	.set _ZL38rocblas_trsm_small_left_device_sharedBILi64ELi32ELb1E19rocblas_complex_numIfES1_PKS1_PS1_Ev13rocblas_fill_18rocblas_operation_17rocblas_diagonal_iiT3_T4_lilT5_lili.private_seg_size, 272
	.set _ZL38rocblas_trsm_small_left_device_sharedBILi64ELi32ELb1E19rocblas_complex_numIfES1_PKS1_PS1_Ev13rocblas_fill_18rocblas_operation_17rocblas_diagonal_iiT3_T4_lilT5_lili.uses_vcc, 1
	.set _ZL38rocblas_trsm_small_left_device_sharedBILi64ELi32ELb1E19rocblas_complex_numIfES1_PKS1_PS1_Ev13rocblas_fill_18rocblas_operation_17rocblas_diagonal_iiT3_T4_lilT5_lili.uses_flat_scratch, 0
	.set _ZL38rocblas_trsm_small_left_device_sharedBILi64ELi32ELb1E19rocblas_complex_numIfES1_PKS1_PS1_Ev13rocblas_fill_18rocblas_operation_17rocblas_diagonal_iiT3_T4_lilT5_lili.has_dyn_sized_stack, 0
	.set _ZL38rocblas_trsm_small_left_device_sharedBILi64ELi32ELb1E19rocblas_complex_numIfES1_PKS1_PS1_Ev13rocblas_fill_18rocblas_operation_17rocblas_diagonal_iiT3_T4_lilT5_lili.has_recursion, 0
	.set _ZL38rocblas_trsm_small_left_device_sharedBILi64ELi32ELb1E19rocblas_complex_numIfES1_PKS1_PS1_Ev13rocblas_fill_18rocblas_operation_17rocblas_diagonal_iiT3_T4_lilT5_lili.has_indirect_call, 0
	.section	.AMDGPU.csdata,"",@progbits
; Kernel info:
; codeLenInByte = 3920
; TotalNumSgprs: 62
; NumVgprs: 34
; ScratchSize: 272
; MemoryBound: 0
; FloatMode: 240
; IeeeMode: 1
; LDSByteSize: 65536 bytes/workgroup (compile time only)
; SGPRBlocks: 0
; VGPRBlocks: 16
; NumSGPRsForWavesPerEU: 62
; NumVGPRsForWavesPerEU: 257
; NamedBarCnt: 0
; Occupancy: 3
; WaveLimiterHint : 0
; COMPUTE_PGM_RSRC2:SCRATCH_EN: 1
; COMPUTE_PGM_RSRC2:USER_SGPR: 2
; COMPUTE_PGM_RSRC2:TRAP_HANDLER: 0
; COMPUTE_PGM_RSRC2:TGID_X_EN: 1
; COMPUTE_PGM_RSRC2:TGID_Y_EN: 0
; COMPUTE_PGM_RSRC2:TGID_Z_EN: 1
; COMPUTE_PGM_RSRC2:TIDIG_COMP_CNT: 0
	.section	.text._ZL30rocblas_trsm_small_left_deviceILi64ELi32ELb1E19rocblas_complex_numIfES1_PKS1_PS1_Ev13rocblas_fill_18rocblas_operation_17rocblas_diagonal_iiT3_T4_lilT5_lili,"axG",@progbits,_ZL30rocblas_trsm_small_left_deviceILi64ELi32ELb1E19rocblas_complex_numIfES1_PKS1_PS1_Ev13rocblas_fill_18rocblas_operation_17rocblas_diagonal_iiT3_T4_lilT5_lili,comdat
	.globl	_ZL30rocblas_trsm_small_left_deviceILi64ELi32ELb1E19rocblas_complex_numIfES1_PKS1_PS1_Ev13rocblas_fill_18rocblas_operation_17rocblas_diagonal_iiT3_T4_lilT5_lili ; -- Begin function _ZL30rocblas_trsm_small_left_deviceILi64ELi32ELb1E19rocblas_complex_numIfES1_PKS1_PS1_Ev13rocblas_fill_18rocblas_operation_17rocblas_diagonal_iiT3_T4_lilT5_lili
	.p2align	8
	.type	_ZL30rocblas_trsm_small_left_deviceILi64ELi32ELb1E19rocblas_complex_numIfES1_PKS1_PS1_Ev13rocblas_fill_18rocblas_operation_17rocblas_diagonal_iiT3_T4_lilT5_lili,@function
_ZL30rocblas_trsm_small_left_deviceILi64ELi32ELb1E19rocblas_complex_numIfES1_PKS1_PS1_Ev13rocblas_fill_18rocblas_operation_17rocblas_diagonal_iiT3_T4_lilT5_lili: ; @_ZL30rocblas_trsm_small_left_deviceILi64ELi32ELb1E19rocblas_complex_numIfES1_PKS1_PS1_Ev13rocblas_fill_18rocblas_operation_17rocblas_diagonal_iiT3_T4_lilT5_lili
; %bb.0:
	s_load_b32 s28, s[0:1], 0x60
	s_bfe_u32 s2, ttmp6, 0x40014
	s_lshr_b32 s4, ttmp7, 16
	s_add_co_i32 s2, s2, 1
	s_bfe_u32 s5, ttmp6, 0x40008
	s_mul_i32 s2, s4, s2
	s_getreg_b32 s3, hwreg(HW_REG_IB_STS2, 6, 4)
	s_add_co_i32 s5, s5, s2
	s_cmp_eq_u32 s3, 0
	s_mov_b32 s17, 0
	s_cselect_b32 s2, s4, s5
	s_wait_kmcnt 0x0
	s_cmp_ge_u32 s2, s28
	s_cbranch_scc1 .LBB176_88
; %bb.1:
	s_clause 0x5
	s_load_b32 s24, s[0:1], 0x30
	s_load_b96 s[8:10], s[0:1], 0x48
	s_load_b128 s[4:7], s[0:1], 0x4
	s_load_b32 s12, s[0:1], 0x68
	s_load_b64 s[18:19], s[0:1], 0x14
	s_load_b64 s[20:21], s[0:1], 0x58
	v_mov_b64_e32 v[4:5], 0xbf80000000000000
	v_mov_b64_e32 v[10:11], 0x3f800000
	s_get_pc_i64 s[22:23]
	s_add_nc_u64 s[22:23], s[22:23], __const._ZL30rocblas_trsm_small_left_deviceILi64ELi32ELb1E19rocblas_complex_numIfES1_PKS1_PS1_Ev13rocblas_fill_18rocblas_operation_17rocblas_diagonal_iiT3_T4_lilT5_lili.step_sizes@rel64+4
	v_lshlrev_b32_e32 v1, 9, v0
	s_wait_kmcnt 0x0
	s_ashr_i32 s25, s24, 31
	s_ashr_i32 s11, s10, 31
	s_cmp_lg_u32 s4, 0x71
	s_cselect_b32 s29, -1, 0
	s_min_i32 s30, s6, 64
	s_bfe_u32 s6, ttmp6, 0x4000c
	s_lshl_b64 s[26:27], s[8:9], 3
	s_add_co_i32 s6, s6, 1
	s_and_b32 s8, ttmp6, 15
	s_mul_i32 s6, ttmp9, s6
	s_add_co_i32 s16, s12, -1
	s_add_co_i32 s31, s30, -1
	s_add_co_i32 s8, s8, s6
	s_cmp_eq_u32 s3, 0
	s_mov_b32 s36, s18
	s_cselect_b32 s3, ttmp9, s8
	s_mov_b32 s37, s18
	s_lshl_b32 s6, s3, 6
	s_mov_b32 s38, s19
	v_or_b32_e32 v2, s6, v0
	s_mov_b32 s39, s19
	v_mov_b64_e32 v[14:15], s[36:37]
	v_mov_b64_e32 v[12:13], s[38:39]
	s_mov_b32 s37, 0
	v_ashrrev_i32_e32 v3, 31, v2
                                        ; implicit-def: $sgpr38
                                        ; implicit-def: $sgpr39
	s_delay_alu instid0(VALU_DEP_1)
	v_mul_u64_e32 v[6:7], s[10:11], v[2:3]
	s_clause 0x1
	s_load_b128 s[12:15], s[0:1], 0x20
	s_load_b128 s[8:11], s[0:1], 0x38
	s_wait_xcnt 0x0
	s_sub_co_i32 s0, s7, s6
	s_cmp_ge_u32 s3, s16
	v_lshlrev_b32_e32 v2, 3, v0
	s_cselect_b32 s1, s0, 64
	s_cmp_lg_u32 s5, 0x84
	v_mov_b32_e32 v3, 0
	s_cselect_b32 s33, -1, 0
	s_cmp_lg_u32 s4, 0x6f
	v_add_nc_u32_e32 v28, v2, v1
	s_cselect_b32 s34, -1, 0
	v_cmp_gt_i32_e64 s0, s30, v0
	v_cmp_gt_i32_e64 s1, s1, v0
	s_lshl_b32 s3, s30, 3
	s_mov_b32 s6, s19
	s_mov_b32 s7, s18
	s_or_b32 s35, 0, 8
	s_add_co_i32 s36, s3, -8
	s_wait_kmcnt 0x0
	s_lshl_b64 s[4:5], s[14:15], 3
	s_add_nc_u64 s[10:11], s[10:11], s[26:27]
	s_add_nc_u64 s[4:5], s[12:13], s[4:5]
	s_delay_alu instid0(SALU_CYCLE_1) | instskip(SKIP_3) | instid1(VALU_DEP_2)
	v_add_nc_u64_e32 v[8:9], s[4:5], v[2:3]
	s_lshl_b64 s[4:5], s[8:9], 3
	s_lshl_b64 s[8:9], s[24:25], 3
	v_lshl_add_u64 v[0:1], v[6:7], 3, s[10:11]
	v_add_nc_u64_e32 v[6:7], 4, v[8:9]
	s_lshl_b64 s[10:11], s[20:21], 3
	s_delay_alu instid0(VALU_DEP_2)
	v_add_nc_u64_e32 v[8:9], 4, v[0:1]
	s_branch .LBB176_4
.LBB176_2:                              ;   in Loop: Header=BB176_4 Depth=1
	s_add_co_i32 s2, s2, 0x10000
	s_delay_alu instid0(SALU_CYCLE_1)
	s_cmp_ge_u32 s2, s28
	s_cselect_b32 s3, -1, 0
	s_and_not1_b32 s39, s39, exec_lo
	s_or_not1_b32 s12, s3, exec_lo
.LBB176_3:                              ;   in Loop: Header=BB176_4 Depth=1
	s_wait_xcnt 0x0
	s_or_b32 exec_lo, exec_lo, s40
	s_delay_alu instid0(SALU_CYCLE_1) | instskip(NEXT) | instid1(SALU_CYCLE_1)
	s_and_b32 s3, exec_lo, s12
	s_or_b32 s37, s3, s37
	s_and_not1_b32 s3, s38, exec_lo
	s_and_b32 s12, s39, exec_lo
	s_delay_alu instid0(SALU_CYCLE_1)
	s_or_b32 s38, s3, s12
	s_and_not1_b32 exec_lo, exec_lo, s37
	s_cbranch_execz .LBB176_87
.LBB176_4:                              ; =>This Loop Header: Depth=1
                                        ;     Child Loop BB176_7 Depth 2
                                        ;     Child Loop BB176_23 Depth 2
                                        ;       Child Loop BB176_26 Depth 3
                                        ;         Child Loop BB176_28 Depth 4
                                        ;         Child Loop BB176_32 Depth 4
	;; [unrolled: 1-line block ×3, first 2 shown]
                                        ;           Child Loop BB176_38 Depth 5
                                        ;           Child Loop BB176_44 Depth 5
                                        ;         Child Loop BB176_47 Depth 4
                                        ;           Child Loop BB176_49 Depth 5
                                        ;     Child Loop BB176_57 Depth 2
                                        ;       Child Loop BB176_60 Depth 3
                                        ;         Child Loop BB176_62 Depth 4
                                        ;         Child Loop BB176_66 Depth 4
	;; [unrolled: 1-line block ×3, first 2 shown]
                                        ;           Child Loop BB176_72 Depth 5
                                        ;           Child Loop BB176_78 Depth 5
                                        ;         Child Loop BB176_81 Depth 4
                                        ;           Child Loop BB176_83 Depth 5
	s_mov_b32 s3, s17
	s_and_saveexec_b32 s12, s0
	s_cbranch_execz .LBB176_19
; %bb.5:                                ;   in Loop: Header=BB176_4 Depth=1
	v_mad_nc_u64_u32 v[16:17], s4, s2, v[6:7]
	v_mov_b32_e32 v3, v2
	s_mov_b32 s13, s30
	s_delay_alu instid0(VALU_DEP_2)
	v_mad_u32 v17, s5, s2, v17
	s_branch .LBB176_7
.LBB176_6:                              ;   in Loop: Header=BB176_7 Depth=2
	global_load_b32 v18, v[16:17], off offset:-4
	s_wait_xcnt 0x0
	v_add_nc_u64_e32 v[16:17], s[8:9], v[16:17]
	s_add_co_i32 s13, s13, -1
	s_delay_alu instid0(SALU_CYCLE_1)
	s_cmp_eq_u32 s13, 0
	s_wait_loadcnt 0x0
	ds_store_b64 v3, v[18:19]
	v_add_nc_u32_e32 v3, 0x200, v3
	s_cbranch_scc1 .LBB176_11
.LBB176_7:                              ;   Parent Loop BB176_4 Depth=1
                                        ; =>  This Inner Loop Header: Depth=2
	s_and_b32 vcc_lo, exec_lo, s29
	s_mov_b32 s14, -1
                                        ; implicit-def: $vgpr19
	s_cbranch_vccz .LBB176_9
; %bb.8:                                ;   in Loop: Header=BB176_7 Depth=2
	global_load_b32 v19, v[16:17], off
	s_mov_b32 s14, 0
.LBB176_9:                              ;   in Loop: Header=BB176_7 Depth=2
	s_delay_alu instid0(SALU_CYCLE_1)
	s_and_not1_b32 vcc_lo, exec_lo, s14
	s_cbranch_vccnz .LBB176_6
; %bb.10:                               ;   in Loop: Header=BB176_7 Depth=2
	global_load_b32 v18, v[16:17], off
	s_wait_loadcnt 0x0
	v_xor_b32_e32 v19, 0x80000000, v18
	s_branch .LBB176_6
.LBB176_11:                             ;   in Loop: Header=BB176_4 Depth=1
	s_and_b32 vcc_lo, exec_lo, s33
	s_mov_b32 s13, -1
	s_cbranch_vccz .LBB176_17
; %bb.12:                               ;   in Loop: Header=BB176_4 Depth=1
	ds_load_b64 v[16:17], v28
                                        ; implicit-def: $vgpr18_vgpr19
	s_wait_dscnt 0x0
	v_cmp_ngt_f32_e64 s13, |v16|, |v17|
	s_and_saveexec_b32 s14, s13
	s_delay_alu instid0(SALU_CYCLE_1)
	s_xor_b32 s13, exec_lo, s14
	s_cbranch_execz .LBB176_14
; %bb.13:                               ;   in Loop: Header=BB176_4 Depth=1
	v_div_scale_f32 v3, null, v17, v17, v16
	v_div_scale_f32 v20, vcc_lo, v16, v17, v16
	s_delay_alu instid0(VALU_DEP_2) | instskip(SKIP_1) | instid1(TRANS32_DEP_1)
	v_rcp_f32_e32 v18, v3
	v_nop
	v_fma_f32 v19, -v3, v18, 1.0
	s_delay_alu instid0(VALU_DEP_1) | instskip(NEXT) | instid1(VALU_DEP_1)
	v_fmac_f32_e32 v18, v19, v18
	v_mul_f32_e32 v19, v20, v18
	s_delay_alu instid0(VALU_DEP_1) | instskip(NEXT) | instid1(VALU_DEP_1)
	v_fma_f32 v21, -v3, v19, v20
	v_fmac_f32_e32 v19, v21, v18
	s_delay_alu instid0(VALU_DEP_1) | instskip(NEXT) | instid1(VALU_DEP_1)
	v_fma_f32 v3, -v3, v19, v20
	v_div_fmas_f32 v3, v3, v18, v19
	s_delay_alu instid0(VALU_DEP_1) | instskip(NEXT) | instid1(VALU_DEP_1)
	v_div_fixup_f32 v18, v3, v17, v16
	v_fmac_f32_e32 v17, v16, v18
	s_delay_alu instid0(VALU_DEP_1) | instskip(SKIP_1) | instid1(VALU_DEP_2)
	v_div_scale_f32 v3, null, v17, v17, 1.0
	v_div_scale_f32 v20, vcc_lo, 1.0, v17, 1.0
	v_rcp_f32_e32 v16, v3
	v_nop
	s_delay_alu instid0(TRANS32_DEP_1) | instskip(NEXT) | instid1(VALU_DEP_1)
	v_fma_f32 v19, -v3, v16, 1.0
	v_fmac_f32_e32 v16, v19, v16
	s_delay_alu instid0(VALU_DEP_1) | instskip(NEXT) | instid1(VALU_DEP_1)
	v_mul_f32_e32 v19, v20, v16
	v_fma_f32 v21, -v3, v19, v20
	s_delay_alu instid0(VALU_DEP_1) | instskip(NEXT) | instid1(VALU_DEP_1)
	v_fmac_f32_e32 v19, v21, v16
	v_fma_f32 v3, -v3, v19, v20
	s_delay_alu instid0(VALU_DEP_1) | instskip(SKIP_1) | instid1(VALU_DEP_2)
	v_div_fmas_f32 v3, v3, v16, v19
	v_mul_f32_e32 v19, 0, v18
	v_div_fixup_f32 v16, v3, v17, 1.0
	s_delay_alu instid0(VALU_DEP_2) | instskip(NEXT) | instid1(VALU_DEP_1)
	v_pk_add_f32 v[18:19], v[18:19], v[4:5]
	v_pk_mul_f32 v[18:19], v[18:19], v[16:17] op_sel_hi:[1,0]
                                        ; implicit-def: $vgpr16_vgpr17
.LBB176_14:                             ;   in Loop: Header=BB176_4 Depth=1
	s_and_not1_saveexec_b32 s13, s13
	s_cbranch_execz .LBB176_16
; %bb.15:                               ;   in Loop: Header=BB176_4 Depth=1
	v_div_scale_f32 v3, null, v16, v16, v17
	v_div_scale_f32 v20, vcc_lo, v17, v16, v17
	s_delay_alu instid0(VALU_DEP_2) | instskip(SKIP_1) | instid1(TRANS32_DEP_1)
	v_rcp_f32_e32 v18, v3
	v_nop
	v_fma_f32 v19, -v3, v18, 1.0
	s_delay_alu instid0(VALU_DEP_1) | instskip(NEXT) | instid1(VALU_DEP_1)
	v_fmac_f32_e32 v18, v19, v18
	v_mul_f32_e32 v19, v20, v18
	s_delay_alu instid0(VALU_DEP_1) | instskip(NEXT) | instid1(VALU_DEP_1)
	v_fma_f32 v21, -v3, v19, v20
	v_fmac_f32_e32 v19, v21, v18
	s_delay_alu instid0(VALU_DEP_1) | instskip(NEXT) | instid1(VALU_DEP_1)
	v_fma_f32 v3, -v3, v19, v20
	v_div_fmas_f32 v3, v3, v18, v19
	s_delay_alu instid0(VALU_DEP_1) | instskip(NEXT) | instid1(VALU_DEP_1)
	v_div_fixup_f32 v3, v3, v16, v17
	v_fmac_f32_e32 v16, v17, v3
	s_delay_alu instid0(VALU_DEP_1) | instskip(SKIP_1) | instid1(VALU_DEP_2)
	v_div_scale_f32 v17, null, v16, v16, 1.0
	v_div_scale_f32 v20, vcc_lo, 1.0, v16, 1.0
	v_rcp_f32_e32 v18, v17
	v_nop
	s_delay_alu instid0(TRANS32_DEP_1) | instskip(NEXT) | instid1(VALU_DEP_1)
	v_fma_f32 v19, -v17, v18, 1.0
	v_fmac_f32_e32 v18, v19, v18
	s_delay_alu instid0(VALU_DEP_1) | instskip(NEXT) | instid1(VALU_DEP_1)
	v_mul_f32_e32 v19, v20, v18
	v_fma_f32 v21, -v17, v19, v20
	s_delay_alu instid0(VALU_DEP_1) | instskip(NEXT) | instid1(VALU_DEP_1)
	v_fmac_f32_e32 v19, v21, v18
	v_fma_f32 v17, -v17, v19, v20
	v_mul_f32_e32 v20, 0, v3
	s_delay_alu instid0(VALU_DEP_2) | instskip(NEXT) | instid1(VALU_DEP_2)
	v_div_fmas_f32 v17, v17, v18, v19
	v_dual_add_f32 v18, 1.0, v20 :: v_dual_sub_f32 v19, 0, v3
	s_delay_alu instid0(VALU_DEP_2) | instskip(NEXT) | instid1(VALU_DEP_1)
	v_div_fixup_f32 v16, v17, v16, 1.0
	v_pk_mul_f32 v[18:19], v[18:19], v[16:17] op_sel_hi:[1,0]
.LBB176_16:                             ;   in Loop: Header=BB176_4 Depth=1
	s_or_b32 exec_lo, exec_lo, s13
	s_mov_b32 s13, 0
	ds_store_b64 v28, v[18:19]
.LBB176_17:                             ;   in Loop: Header=BB176_4 Depth=1
	s_and_b32 vcc_lo, exec_lo, s13
	s_cbranch_vccz .LBB176_19
; %bb.18:                               ;   in Loop: Header=BB176_4 Depth=1
	ds_store_b64 v28, v[10:11]
.LBB176_19:                             ;   in Loop: Header=BB176_4 Depth=1
	s_or_b32 exec_lo, exec_lo, s12
	s_mov_b32 s12, -1
	s_or_b32 s39, s39, exec_lo
	s_wait_dscnt 0x0
	s_barrier_signal -1
	s_barrier_wait -1
	s_and_saveexec_b32 s40, s1
	s_cbranch_execz .LBB176_3
; %bb.20:                               ;   in Loop: Header=BB176_4 Depth=1
	s_mul_u64 s[12:13], s[20:21], s[2:3]
	s_and_not1_b32 vcc_lo, exec_lo, s34
	v_lshl_add_u64 v[16:17], s[12:13], 3, v[0:1]
	s_mul_u64 s[12:13], s[10:11], s[2:3]
	s_mov_b32 s3, -1
	s_cbranch_vccnz .LBB176_54
; %bb.21:                               ;   in Loop: Header=BB176_4 Depth=1
	v_add_nc_u64_e32 v[18:19], s[12:13], v[8:9]
	s_mov_b32 s3, 0
	s_mov_b32 s14, s31
	s_branch .LBB176_23
.LBB176_22:                             ;   in Loop: Header=BB176_23 Depth=2
	s_cmp_gt_i32 s14, -1
	s_cselect_b32 s15, -1, 0
	s_add_co_i32 s16, s3, 1
	s_cmp_lt_u32 s3, 2
	s_wait_xcnt 0x0
	s_cselect_b32 s3, -1, 0
	s_delay_alu instid0(SALU_CYCLE_1) | instskip(NEXT) | instid1(SALU_CYCLE_1)
	s_and_b32 s3, s15, s3
	s_and_b32 vcc_lo, exec_lo, s3
	s_mov_b32 s3, s16
	s_cbranch_vccz .LBB176_53
.LBB176_23:                             ;   Parent Loop BB176_4 Depth=1
                                        ; =>  This Loop Header: Depth=2
                                        ;       Child Loop BB176_26 Depth 3
                                        ;         Child Loop BB176_28 Depth 4
                                        ;         Child Loop BB176_32 Depth 4
                                        ;         Child Loop BB176_36 Depth 4
                                        ;           Child Loop BB176_38 Depth 5
                                        ;           Child Loop BB176_44 Depth 5
                                        ;         Child Loop BB176_47 Depth 4
                                        ;           Child Loop BB176_49 Depth 5
	s_load_b32 s41, s[22:23], s3 offset:0x0 scale_offset
	s_wait_kmcnt 0x0
	s_add_co_i32 s42, s41, -1
	s_delay_alu instid0(SALU_CYCLE_1)
	s_cmp_lt_i32 s14, s42
	s_cbranch_scc1 .LBB176_22
; %bb.24:                               ;   in Loop: Header=BB176_23 Depth=2
	s_max_i32 s43, s41, 1
	s_cmp_lg_u32 s3, 2
	s_mul_i32 s49, s14, 0x208
	s_cselect_b32 s44, -1, 0
	s_and_b32 s45, s43, 0x7ffffffe
	s_mul_i32 s50, s41, 0xfffffdf8
	s_cmp_lg_u32 s43, s45
	s_cselect_b32 s46, -1, 0
	s_lshl_b32 s15, s14, 9
	s_lshl_b32 s16, s41, 9
	s_add_co_i32 s47, s36, s15
	s_sub_co_i32 s48, 0, s16
	s_branch .LBB176_26
.LBB176_25:                             ;   in Loop: Header=BB176_26 Depth=3
	s_sub_co_i32 s14, s14, s41
	s_add_co_i32 s47, s47, s48
	s_add_co_i32 s49, s49, s50
	s_cmp_lt_i32 s14, s42
	s_cbranch_scc1 .LBB176_22
.LBB176_26:                             ;   Parent Loop BB176_4 Depth=1
                                        ;     Parent Loop BB176_23 Depth=2
                                        ; =>    This Loop Header: Depth=3
                                        ;         Child Loop BB176_28 Depth 4
                                        ;         Child Loop BB176_32 Depth 4
	;; [unrolled: 1-line block ×3, first 2 shown]
                                        ;           Child Loop BB176_38 Depth 5
                                        ;           Child Loop BB176_44 Depth 5
                                        ;         Child Loop BB176_47 Depth 4
                                        ;           Child Loop BB176_49 Depth 5
	s_and_not1_b32 vcc_lo, exec_lo, s44
	s_cbranch_vccnz .LBB176_30
; %bb.27:                               ;   in Loop: Header=BB176_26 Depth=3
	s_mov_b32 s15, s14
	s_mov_b32 s24, 1
	;; [unrolled: 1-line block ×3, first 2 shown]
	s_wait_xcnt 0x0
	s_mov_b32 s26, s45
	s_mov_b32 s27, s35
.LBB176_28:                             ;   Parent Loop BB176_4 Depth=1
                                        ;     Parent Loop BB176_23 Depth=2
                                        ;       Parent Loop BB176_26 Depth=3
                                        ; =>      This Inner Loop Header: Depth=4
	s_sub_co_i32 s52, s15, s24
	s_sub_co_i32 s54, s14, s25
	s_ashr_i32 s53, s52, 31
	s_ashr_i32 s55, s54, 31
	v_lshl_add_u64 v[20:21], s[52:53], 3, v[16:17]
	v_lshl_add_u64 v[22:23], s[54:55], 3, v[16:17]
	s_add_co_i32 s26, s26, -2
	s_add_co_i32 s25, s25, 2
	s_add_co_i32 s24, s24, 2
	s_clause 0x1
	global_load_b64 v[24:25], v[20:21], off
	global_load_b64 v[26:27], v[22:23], off
	s_mov_b32 s16, s45
	s_mov_b32 s51, s46
	s_wait_loadcnt 0x0
	s_wait_xcnt 0x1
	v_dual_mov_b32 v21, v24 :: v_dual_mov_b32 v24, v27
	v_mov_b32_e32 v20, v26
	s_wait_xcnt 0x0
	s_delay_alu instid0(VALU_DEP_2) | instskip(SKIP_1) | instid1(VALU_DEP_2)
	v_pk_mul_f32 v[22:23], v[24:25], v[12:13]
	v_pk_mul_f32 v[24:25], v[24:25], v[14:15]
	v_pk_fma_f32 v[26:27], v[20:21], v[14:15], v[22:23] neg_lo:[0,0,1] neg_hi:[0,0,1]
	s_delay_alu instid0(VALU_DEP_2) | instskip(NEXT) | instid1(VALU_DEP_1)
	v_pk_fma_f32 v[22:23], v[20:21], v[12:13], v[24:25]
	v_dual_mov_b32 v20, v26 :: v_dual_mov_b32 v21, v22
	s_delay_alu instid0(VALU_DEP_3)
	v_mov_b32_e32 v22, v27
	scratch_store_b128 off, v[20:23], s27 offset:-8
	s_wait_xcnt 0x0
	s_add_co_i32 s27, s27, 16
	s_cmp_lg_u32 s26, 0
	s_cbranch_scc1 .LBB176_28
; %bb.29:                               ;   in Loop: Header=BB176_26 Depth=3
	s_and_b32 vcc_lo, exec_lo, s51
	s_ashr_i32 s15, s14, 31
	s_cbranch_vccnz .LBB176_31
	s_branch .LBB176_33
.LBB176_30:                             ;   in Loop: Header=BB176_26 Depth=3
	s_mov_b32 s16, 0
	s_ashr_i32 s15, s14, 31
	s_cbranch_execz .LBB176_33
.LBB176_31:                             ;   in Loop: Header=BB176_26 Depth=3
	s_lshl_b64 s[24:25], s[14:15], 3
	s_wait_xcnt 0x0
	s_lshl_b64 s[26:27], s[16:17], 3
	s_delay_alu instid0(SALU_CYCLE_1) | instskip(NEXT) | instid1(SALU_CYCLE_1)
	s_sub_nc_u64 s[24:25], s[24:25], s[26:27]
	v_add_nc_u64_e32 v[20:21], s[24:25], v[18:19]
	s_lshl_b32 s24, s16, 3
	s_sub_co_i32 s16, s43, s16
.LBB176_32:                             ;   Parent Loop BB176_4 Depth=1
                                        ;     Parent Loop BB176_23 Depth=2
                                        ;       Parent Loop BB176_26 Depth=3
                                        ; =>      This Inner Loop Header: Depth=4
	global_load_b64 v[22:23], v[20:21], off offset:-4
	v_mov_b64_e32 v[24:25], s[6:7]
	v_mov_b64_e32 v[26:27], s[18:19]
	s_wait_xcnt 0x0
	v_add_nc_u64_e32 v[20:21], -8, v[20:21]
	s_add_co_i32 s16, s16, -1
	s_wait_loadcnt 0x0
	s_delay_alu instid0(VALU_DEP_3) | instskip(NEXT) | instid1(VALU_DEP_1)
	v_pk_mul_f32 v[24:25], v[22:23], v[24:25] op_sel:[1,0]
	v_pk_fma_f32 v[30:31], v[22:23], v[26:27], v[24:25] op_sel_hi:[0,1,1]
	v_pk_fma_f32 v[22:23], v[22:23], v[26:27], v[24:25] neg_lo:[0,0,1] neg_hi:[0,0,1]
	s_delay_alu instid0(VALU_DEP_2)
	v_mov_b32_e32 v23, v31
	scratch_store_b64 off, v[22:23], s24
	s_wait_xcnt 0x0
	s_add_co_i32 s24, s24, 8
	s_cmp_eq_u32 s16, 0
	s_cbranch_scc0 .LBB176_32
.LBB176_33:                             ;   in Loop: Header=BB176_26 Depth=3
	s_cmp_le_i32 s31, s14
	s_cbranch_scc1 .LBB176_45
; %bb.34:                               ;   in Loop: Header=BB176_26 Depth=3
	s_mov_b32 s16, s14
	s_wait_xcnt 0x0
	s_mov_b32 s26, s14
	s_mov_b32 s27, s47
	;; [unrolled: 1-line block ×3, first 2 shown]
	s_branch .LBB176_36
.LBB176_35:                             ;   in Loop: Header=BB176_36 Depth=4
	s_add_co_i32 s24, s24, -1
	s_add_co_i32 s27, s27, -8
	s_cmp_le_i32 s24, s14
	s_cbranch_scc1 .LBB176_45
.LBB176_36:                             ;   Parent Loop BB176_4 Depth=1
                                        ;     Parent Loop BB176_23 Depth=2
                                        ;       Parent Loop BB176_26 Depth=3
                                        ; =>      This Loop Header: Depth=4
                                        ;           Child Loop BB176_38 Depth 5
                                        ;           Child Loop BB176_44 Depth 5
	s_ashr_i32 s25, s24, 31
	s_and_b32 vcc_lo, exec_lo, s44
	s_wait_xcnt 0x0
	v_lshl_add_u64 v[20:21], s[24:25], 3, v[16:17]
	global_load_b64 v[20:21], v[20:21], off
	s_cbranch_vccz .LBB176_40
; %bb.37:                               ;   in Loop: Header=BB176_36 Depth=4
	s_wait_loadcnt 0x0
	v_dual_mov_b32 v24, v20 :: v_dual_mov_b32 v25, v20
	v_dual_mov_b32 v22, v21 :: v_dual_mov_b32 v26, v21
	v_mov_b32_e32 v27, v21
	s_lshl_b32 s25, s24, 3
	s_mov_b32 s51, 1
	s_mov_b32 s52, 0
	s_mov_b32 s53, s45
	s_mov_b32 s54, s35
.LBB176_38:                             ;   Parent Loop BB176_4 Depth=1
                                        ;     Parent Loop BB176_23 Depth=2
                                        ;       Parent Loop BB176_26 Depth=3
                                        ;         Parent Loop BB176_36 Depth=4
                                        ; =>        This Inner Loop Header: Depth=5
	scratch_load_b128 v[30:33], off, s54 offset:-8
	s_sub_co_i32 s55, s26, s51
	s_sub_co_i32 s56, s16, s52
	s_lshl_b32 s55, s55, 9
	s_lshl_b32 s56, s56, 9
	s_add_co_i32 s55, s25, s55
	s_add_co_i32 s56, s25, s56
	s_delay_alu instid0(SALU_CYCLE_1)
	v_dual_mov_b32 v3, s55 :: v_dual_mov_b32 v23, s56
	s_add_co_i32 s53, s53, -2
	s_add_co_i32 s52, s52, 2
	ds_load_b64 v[34:35], v3
	ds_load_b64 v[36:37], v23
	s_add_co_i32 s51, s51, 2
	s_wait_dscnt 0x0
	v_dual_mov_b32 v39, v34 :: v_dual_mov_b32 v34, v37
	v_mov_b32_e32 v38, v36
	s_delay_alu instid0(VALU_DEP_2) | instskip(SKIP_1) | instid1(VALU_DEP_2)
	v_pk_mul_f32 v[36:37], v[34:35], v[26:27]
	v_pk_mul_f32 v[34:35], v[34:35], v[24:25]
	v_pk_fma_f32 v[36:37], v[38:39], v[24:25], v[36:37] neg_lo:[0,0,1] neg_hi:[0,0,1]
	s_delay_alu instid0(VALU_DEP_2) | instskip(SKIP_3) | instid1(VALU_DEP_2)
	v_pk_fma_f32 v[34:35], v[38:39], v[26:27], v[34:35]
	s_wait_loadcnt 0x0
	v_dual_mov_b32 v38, v30 :: v_dual_mov_b32 v39, v32
	v_mov_b32_e32 v32, v31
	v_pk_add_f32 v[36:37], v[38:39], v[36:37] neg_lo:[0,1] neg_hi:[0,1]
	s_delay_alu instid0(VALU_DEP_2) | instskip(NEXT) | instid1(VALU_DEP_1)
	v_pk_add_f32 v[32:33], v[32:33], v[34:35] neg_lo:[0,1] neg_hi:[0,1]
	v_dual_mov_b32 v30, v36 :: v_dual_mov_b32 v31, v32
	s_delay_alu instid0(VALU_DEP_3)
	v_mov_b32_e32 v32, v37
	scratch_store_b128 off, v[30:33], s54 offset:-8
	s_wait_xcnt 0x0
	s_add_co_i32 s54, s54, 16
	s_cmp_lg_u32 s53, 0
	s_cbranch_scc1 .LBB176_38
; %bb.39:                               ;   in Loop: Header=BB176_36 Depth=4
	s_mov_b32 s25, s46
	s_mov_b32 s51, s45
	s_branch .LBB176_42
.LBB176_40:                             ;   in Loop: Header=BB176_36 Depth=4
	s_wait_loadcnt 0x0
	v_mov_b32_e32 v22, v21
	s_mov_b32 s25, 0
	s_mov_b32 s51, s45
	s_cbranch_execz .LBB176_42
; %bb.41:                               ;   in Loop: Header=BB176_36 Depth=4
	s_mov_b32 s25, -1
	s_mov_b32 s51, 0
.LBB176_42:                             ;   in Loop: Header=BB176_36 Depth=4
	s_and_not1_b32 vcc_lo, exec_lo, s25
	s_cbranch_vccnz .LBB176_35
; %bb.43:                               ;   in Loop: Header=BB176_36 Depth=4
	s_wait_xcnt 0x0
	v_dual_mov_b32 v23, v21 :: v_dual_mov_b32 v21, v20
	s_lshl_b32 s52, s51, 9
	s_lshl_b32 s53, s51, 3
	s_sub_co_i32 s25, s43, s51
	s_sub_co_i32 s51, s27, s52
	s_mov_b32 s52, s53
.LBB176_44:                             ;   Parent Loop BB176_4 Depth=1
                                        ;     Parent Loop BB176_23 Depth=2
                                        ;       Parent Loop BB176_26 Depth=3
                                        ;         Parent Loop BB176_36 Depth=4
                                        ; =>        This Inner Loop Header: Depth=5
	scratch_load_b64 v[24:25], off, s52
	v_mov_b32_e32 v3, s51
	s_add_co_i32 s25, s25, -1
	s_addk_co_i32 s51, 0xfe00
	ds_load_b64 v[26:27], v3
	s_wait_dscnt 0x0
	v_pk_mul_f32 v[30:31], v[26:27], v[22:23] op_sel:[1,0] op_sel_hi:[0,1]
	s_delay_alu instid0(VALU_DEP_1) | instskip(SKIP_1) | instid1(VALU_DEP_2)
	v_pk_fma_f32 v[32:33], v[26:27], v[20:21], v[30:31]
	v_pk_fma_f32 v[26:27], v[26:27], v[20:21], v[30:31] neg_lo:[0,0,1] neg_hi:[0,0,1]
	v_mov_b32_e32 v27, v33
	s_wait_loadcnt 0x0
	s_delay_alu instid0(VALU_DEP_1)
	v_pk_add_f32 v[24:25], v[24:25], v[26:27] neg_lo:[0,1] neg_hi:[0,1]
	scratch_store_b64 off, v[24:25], s52
	s_wait_xcnt 0x0
	s_add_co_i32 s52, s52, 8
	s_cmp_eq_u32 s25, 0
	s_cbranch_scc0 .LBB176_44
	s_branch .LBB176_35
.LBB176_45:                             ;   in Loop: Header=BB176_26 Depth=3
	s_mov_b32 s16, 0
	s_mov_b32 s51, s49
	s_branch .LBB176_47
.LBB176_46:                             ;   in Loop: Header=BB176_47 Depth=4
	s_wait_xcnt 0x0
	s_mulk_i32 s26, 0x208
	v_lshl_add_u64 v[30:31], s[24:25], 3, v[16:17]
	v_mov_b32_e32 v3, s26
	s_lshl_b32 s26, s16, 3
	s_add_co_i32 s16, s16, 1
	s_addk_co_i32 s51, 0xfe00
	s_cmp_eq_u32 s16, s43
	ds_load_b64 v[24:25], v3
	s_wait_dscnt 0x0
	v_pk_mul_f32 v[22:23], v[24:25], v[22:23] op_sel:[1,0] op_sel_hi:[0,0]
	s_delay_alu instid0(VALU_DEP_1) | instskip(SKIP_2) | instid1(VALU_DEP_2)
	v_pk_fma_f32 v[26:27], v[24:25], v[20:21], v[22:23] op_sel_hi:[1,0,1]
	s_wait_xcnt 0x0
	v_pk_fma_f32 v[20:21], v[24:25], v[20:21], v[22:23] neg_lo:[0,0,1] neg_hi:[0,0,1]
	v_mov_b32_e32 v21, v27
	scratch_store_b64 off, v[20:21], s26
	global_store_b64 v[30:31], v[20:21], off
	s_cbranch_scc1 .LBB176_25
.LBB176_47:                             ;   Parent Loop BB176_4 Depth=1
                                        ;     Parent Loop BB176_23 Depth=2
                                        ;       Parent Loop BB176_26 Depth=3
                                        ; =>      This Loop Header: Depth=4
                                        ;           Child Loop BB176_49 Depth 5
	s_cmp_lg_u32 s16, 0
	s_cbranch_scc0 .LBB176_51
; %bb.48:                               ;   in Loop: Header=BB176_47 Depth=4
	s_lshl_b32 s24, s16, 3
	s_mov_b32 s25, 0
	scratch_load_b64 v[20:21], off, s24
	s_mov_b32 s26, s51
	s_mov_b32 s27, s16
.LBB176_49:                             ;   Parent Loop BB176_4 Depth=1
                                        ;     Parent Loop BB176_23 Depth=2
                                        ;       Parent Loop BB176_26 Depth=3
                                        ;         Parent Loop BB176_47 Depth=4
                                        ; =>        This Inner Loop Header: Depth=5
	scratch_load_b64 v[22:23], off, s25
	v_mov_b32_e32 v3, s26
	s_add_co_i32 s27, s27, -1
	s_add_co_i32 s26, s26, -8
	s_wait_xcnt 0x0
	s_add_co_i32 s25, s25, 8
	s_cmp_eq_u32 s27, 0
	ds_load_b64 v[24:25], v3
	s_wait_loadcnt_dscnt 0x0
	v_pk_mul_f32 v[26:27], v[24:25], v[22:23] op_sel:[1,1] op_sel_hi:[0,1]
	s_delay_alu instid0(VALU_DEP_1) | instskip(SKIP_1) | instid1(VALU_DEP_2)
	v_pk_fma_f32 v[30:31], v[24:25], v[22:23], v[26:27] op_sel_hi:[1,0,1]
	v_pk_fma_f32 v[22:23], v[24:25], v[22:23], v[26:27] neg_lo:[0,0,1] neg_hi:[0,0,1]
	v_mov_b32_e32 v23, v31
	s_delay_alu instid0(VALU_DEP_1)
	v_pk_add_f32 v[20:21], v[20:21], v[22:23] neg_lo:[0,1] neg_hi:[0,1]
	scratch_store_b64 off, v[20:21], s24
	s_cbranch_scc0 .LBB176_49
; %bb.50:                               ;   in Loop: Header=BB176_47 Depth=4
	s_sub_co_i32 s26, s14, s16
	v_mov_b32_e32 v22, v21
	s_ashr_i32 s27, s26, 31
	s_wait_xcnt 0x0
	s_mov_b64 s[24:25], s[26:27]
	s_branch .LBB176_46
.LBB176_51:                             ;   in Loop: Header=BB176_47 Depth=4
                                        ; implicit-def: $vgpr20
                                        ; implicit-def: $vgpr22
                                        ; implicit-def: $sgpr26
                                        ; implicit-def: $sgpr24_sgpr25
	s_cbranch_execz .LBB176_46
; %bb.52:                               ;   in Loop: Header=BB176_47 Depth=4
	scratch_load_b64 v[20:21], off, off
	s_mov_b64 s[24:25], s[14:15]
	s_mov_b32 s26, s14
	s_wait_loadcnt 0x0
	v_mov_b32_e32 v22, v21
	s_branch .LBB176_46
.LBB176_53:                             ;   in Loop: Header=BB176_4 Depth=1
	s_mov_b32 s3, 0
.LBB176_54:                             ;   in Loop: Header=BB176_4 Depth=1
	s_delay_alu instid0(SALU_CYCLE_1)
	s_and_b32 vcc_lo, exec_lo, s3
	s_cbranch_vccz .LBB176_2
; %bb.55:                               ;   in Loop: Header=BB176_4 Depth=1
	v_add_nc_u64_e32 v[18:19], s[12:13], v[8:9]
	s_mov_b32 s12, 0
	s_mov_b32 s3, 0
	s_branch .LBB176_57
.LBB176_56:                             ;   in Loop: Header=BB176_57 Depth=2
	s_cmp_lt_i32 s12, s30
	s_cselect_b32 s13, -1, 0
	s_add_co_i32 s14, s3, 1
	s_cmp_lt_u32 s3, 2
	s_wait_xcnt 0x0
	s_cselect_b32 s3, -1, 0
	s_delay_alu instid0(SALU_CYCLE_1) | instskip(NEXT) | instid1(SALU_CYCLE_1)
	s_and_b32 s3, s13, s3
	s_and_not1_b32 vcc_lo, exec_lo, s3
	s_mov_b32 s3, s14
	s_cbranch_vccnz .LBB176_2
.LBB176_57:                             ;   Parent Loop BB176_4 Depth=1
                                        ; =>  This Loop Header: Depth=2
                                        ;       Child Loop BB176_60 Depth 3
                                        ;         Child Loop BB176_62 Depth 4
                                        ;         Child Loop BB176_66 Depth 4
	;; [unrolled: 1-line block ×3, first 2 shown]
                                        ;           Child Loop BB176_72 Depth 5
                                        ;           Child Loop BB176_78 Depth 5
                                        ;         Child Loop BB176_81 Depth 4
                                        ;           Child Loop BB176_83 Depth 5
	s_load_b32 s14, s[22:23], s3 offset:0x0 scale_offset
	s_wait_kmcnt 0x0
	s_add_co_i32 s24, s14, -1
	s_delay_alu instid0(SALU_CYCLE_1) | instskip(NEXT) | instid1(SALU_CYCLE_1)
	s_add_co_i32 s13, s24, s12
	s_cmp_ge_i32 s13, s30
	s_cbranch_scc1 .LBB176_56
; %bb.58:                               ;   in Loop: Header=BB176_57 Depth=2
	s_max_i32 s25, s14, 1
	s_cmp_lg_u32 s3, 2
	s_mul_i32 s44, s12, 0x208
	s_cselect_b32 s26, -1, 0
	s_and_b32 s27, s25, 0x7ffffffe
	s_mul_i32 s45, s14, 0x208
	s_cmp_lg_u32 s25, s27
	s_cselect_b32 s41, -1, 0
	s_ashr_i32 s13, s12, 31
	s_ashr_i32 s15, s14, 31
	s_lshl_b32 s42, s12, 3
	s_lshl_b32 s43, s14, 3
	s_branch .LBB176_60
.LBB176_59:                             ;   in Loop: Header=BB176_60 Depth=3
	s_add_nc_u64 s[12:13], s[12:13], s[14:15]
	s_add_co_i32 s42, s42, s43
	s_add_co_i32 s16, s24, s12
	;; [unrolled: 1-line block ×3, first 2 shown]
	s_cmp_ge_i32 s16, s30
	s_cbranch_scc1 .LBB176_56
.LBB176_60:                             ;   Parent Loop BB176_4 Depth=1
                                        ;     Parent Loop BB176_57 Depth=2
                                        ; =>    This Loop Header: Depth=3
                                        ;         Child Loop BB176_62 Depth 4
                                        ;         Child Loop BB176_66 Depth 4
	;; [unrolled: 1-line block ×3, first 2 shown]
                                        ;           Child Loop BB176_72 Depth 5
                                        ;           Child Loop BB176_78 Depth 5
                                        ;         Child Loop BB176_81 Depth 4
                                        ;           Child Loop BB176_83 Depth 5
	s_and_not1_b32 vcc_lo, exec_lo, s26
	s_cbranch_vccnz .LBB176_64
; %bb.61:                               ;   in Loop: Header=BB176_60 Depth=3
	s_mov_b32 s46, s12
	s_wait_xcnt 0x0
	s_mov_b32 s47, s12
	s_mov_b32 s48, 1
	s_mov_b32 s49, 0
	s_mov_b32 s50, s27
	s_mov_b32 s51, s35
.LBB176_62:                             ;   Parent Loop BB176_4 Depth=1
                                        ;     Parent Loop BB176_57 Depth=2
                                        ;       Parent Loop BB176_60 Depth=3
                                        ; =>      This Inner Loop Header: Depth=4
	s_add_co_i32 s52, s48, s47
	s_add_co_i32 s54, s49, s46
	s_ashr_i32 s53, s52, 31
	s_ashr_i32 s55, s54, 31
	v_lshl_add_u64 v[20:21], s[52:53], 3, v[16:17]
	v_lshl_add_u64 v[22:23], s[54:55], 3, v[16:17]
	s_add_co_i32 s50, s50, -2
	s_add_co_i32 s49, s49, 2
	s_add_co_i32 s48, s48, 2
	s_clause 0x1
	global_load_b64 v[24:25], v[20:21], off
	global_load_b64 v[26:27], v[22:23], off
	s_mov_b32 s16, s27
	s_mov_b32 s52, s41
	s_wait_loadcnt 0x0
	s_wait_xcnt 0x1
	v_dual_mov_b32 v21, v24 :: v_dual_mov_b32 v24, v27
	v_mov_b32_e32 v20, v26
	s_wait_xcnt 0x0
	s_delay_alu instid0(VALU_DEP_2) | instskip(SKIP_1) | instid1(VALU_DEP_2)
	v_pk_mul_f32 v[22:23], v[24:25], v[12:13]
	v_pk_mul_f32 v[24:25], v[24:25], v[14:15]
	v_pk_fma_f32 v[26:27], v[20:21], v[14:15], v[22:23] neg_lo:[0,0,1] neg_hi:[0,0,1]
	s_delay_alu instid0(VALU_DEP_2) | instskip(NEXT) | instid1(VALU_DEP_1)
	v_pk_fma_f32 v[22:23], v[20:21], v[12:13], v[24:25]
	v_dual_mov_b32 v20, v26 :: v_dual_mov_b32 v21, v22
	s_delay_alu instid0(VALU_DEP_3)
	v_mov_b32_e32 v22, v27
	scratch_store_b128 off, v[20:23], s51 offset:-8
	s_wait_xcnt 0x0
	s_add_co_i32 s51, s51, 16
	s_cmp_lg_u32 s50, 0
	s_cbranch_scc1 .LBB176_62
; %bb.63:                               ;   in Loop: Header=BB176_60 Depth=3
	s_and_b32 vcc_lo, exec_lo, s52
	s_cbranch_vccnz .LBB176_65
	s_branch .LBB176_67
.LBB176_64:                             ;   in Loop: Header=BB176_60 Depth=3
	s_mov_b32 s16, 0
	s_cbranch_execz .LBB176_67
.LBB176_65:                             ;   in Loop: Header=BB176_60 Depth=3
	s_wait_xcnt 0x0
	s_add_nc_u64 s[46:47], s[12:13], s[16:17]
	s_delay_alu instid0(SALU_CYCLE_1)
	v_lshl_add_u64 v[20:21], s[46:47], 3, v[18:19]
	s_lshl_b32 s46, s16, 3
	s_sub_co_i32 s16, s25, s16
.LBB176_66:                             ;   Parent Loop BB176_4 Depth=1
                                        ;     Parent Loop BB176_57 Depth=2
                                        ;       Parent Loop BB176_60 Depth=3
                                        ; =>      This Inner Loop Header: Depth=4
	global_load_b64 v[22:23], v[20:21], off offset:-4
	v_mov_b64_e32 v[24:25], s[6:7]
	v_mov_b64_e32 v[26:27], s[18:19]
	s_wait_xcnt 0x0
	v_add_nc_u64_e32 v[20:21], 8, v[20:21]
	s_add_co_i32 s16, s16, -1
	s_wait_loadcnt 0x0
	s_delay_alu instid0(VALU_DEP_3) | instskip(NEXT) | instid1(VALU_DEP_1)
	v_pk_mul_f32 v[24:25], v[22:23], v[24:25] op_sel:[1,0]
	v_pk_fma_f32 v[30:31], v[22:23], v[26:27], v[24:25] op_sel_hi:[0,1,1]
	v_pk_fma_f32 v[22:23], v[22:23], v[26:27], v[24:25] neg_lo:[0,0,1] neg_hi:[0,0,1]
	s_delay_alu instid0(VALU_DEP_2)
	v_mov_b32_e32 v23, v31
	scratch_store_b64 off, v[22:23], s46
	s_wait_xcnt 0x0
	s_add_co_i32 s46, s46, 8
	s_cmp_eq_u32 s16, 0
	s_cbranch_scc0 .LBB176_66
.LBB176_67:                             ;   in Loop: Header=BB176_60 Depth=3
	s_cmp_lt_i32 s12, 1
	s_cbranch_scc1 .LBB176_79
; %bb.68:                               ;   in Loop: Header=BB176_60 Depth=3
	s_mov_b32 s16, 0
	s_mov_b32 s46, s42
	s_branch .LBB176_70
.LBB176_69:                             ;   in Loop: Header=BB176_70 Depth=4
	s_add_co_i32 s16, s16, 1
	s_addk_co_i32 s46, 0x200
	s_cmp_eq_u32 s16, s12
	s_cbranch_scc1 .LBB176_79
.LBB176_70:                             ;   Parent Loop BB176_4 Depth=1
                                        ;     Parent Loop BB176_57 Depth=2
                                        ;       Parent Loop BB176_60 Depth=3
                                        ; =>      This Loop Header: Depth=4
                                        ;           Child Loop BB176_72 Depth 5
                                        ;           Child Loop BB176_78 Depth 5
	s_wait_xcnt 0x0
	v_lshl_add_u64 v[20:21], s[16:17], 3, v[16:17]
	s_and_b32 vcc_lo, exec_lo, s26
	global_load_b64 v[20:21], v[20:21], off
	s_cbranch_vccz .LBB176_74
; %bb.71:                               ;   in Loop: Header=BB176_70 Depth=4
	s_wait_loadcnt 0x0
	v_dual_mov_b32 v24, v20 :: v_dual_mov_b32 v25, v20
	v_dual_mov_b32 v22, v21 :: v_dual_mov_b32 v26, v21
	v_mov_b32_e32 v27, v21
	s_mov_b32 s47, s27
	s_mov_b32 s48, s35
	s_mov_b32 s49, s46
.LBB176_72:                             ;   Parent Loop BB176_4 Depth=1
                                        ;     Parent Loop BB176_57 Depth=2
                                        ;       Parent Loop BB176_60 Depth=3
                                        ;         Parent Loop BB176_70 Depth=4
                                        ; =>        This Inner Loop Header: Depth=5
	scratch_load_b128 v[30:33], off, s48 offset:-8
	v_mov_b32_e32 v3, s49
	s_add_co_i32 s47, s47, -2
	s_add_co_i32 s49, s49, 16
	ds_load_2addr_b64 v[34:37], v3 offset1:1
	s_wait_dscnt 0x0
	v_dual_mov_b32 v39, v36 :: v_dual_mov_b32 v36, v35
	v_mov_b32_e32 v38, v34
	s_delay_alu instid0(VALU_DEP_2) | instskip(SKIP_1) | instid1(VALU_DEP_2)
	v_pk_mul_f32 v[34:35], v[36:37], v[26:27]
	v_pk_mul_f32 v[36:37], v[36:37], v[24:25]
	v_pk_fma_f32 v[34:35], v[38:39], v[24:25], v[34:35] neg_lo:[0,0,1] neg_hi:[0,0,1]
	s_delay_alu instid0(VALU_DEP_2) | instskip(SKIP_2) | instid1(VALU_DEP_1)
	v_pk_fma_f32 v[36:37], v[38:39], v[26:27], v[36:37]
	s_wait_loadcnt 0x0
	v_dual_mov_b32 v38, v30 :: v_dual_mov_b32 v39, v32
	v_pk_add_f32 v[34:35], v[38:39], v[34:35] neg_lo:[0,1] neg_hi:[0,1]
	s_delay_alu instid0(VALU_DEP_1) | instskip(NEXT) | instid1(VALU_DEP_1)
	v_dual_mov_b32 v32, v31 :: v_dual_mov_b32 v30, v34
	v_pk_add_f32 v[32:33], v[32:33], v[36:37] neg_lo:[0,1] neg_hi:[0,1]
	s_delay_alu instid0(VALU_DEP_1)
	v_dual_mov_b32 v31, v32 :: v_dual_mov_b32 v32, v35
	scratch_store_b128 off, v[30:33], s48 offset:-8
	s_wait_xcnt 0x0
	s_add_co_i32 s48, s48, 16
	s_cmp_lg_u32 s47, 0
	s_cbranch_scc1 .LBB176_72
; %bb.73:                               ;   in Loop: Header=BB176_70 Depth=4
	s_mov_b32 s47, s41
	s_mov_b32 s48, s27
	s_branch .LBB176_76
.LBB176_74:                             ;   in Loop: Header=BB176_70 Depth=4
	s_wait_loadcnt 0x0
	v_mov_b32_e32 v22, v21
	s_mov_b32 s47, 0
	s_mov_b32 s48, s27
	s_cbranch_execz .LBB176_76
; %bb.75:                               ;   in Loop: Header=BB176_70 Depth=4
	s_mov_b32 s47, -1
	s_mov_b32 s48, 0
.LBB176_76:                             ;   in Loop: Header=BB176_70 Depth=4
	s_and_not1_b32 vcc_lo, exec_lo, s47
	s_cbranch_vccnz .LBB176_69
; %bb.77:                               ;   in Loop: Header=BB176_70 Depth=4
	s_wait_xcnt 0x0
	v_dual_mov_b32 v23, v21 :: v_dual_mov_b32 v21, v20
	s_sub_co_i32 s47, s25, s48
	s_lshl_b32 s48, s48, 3
.LBB176_78:                             ;   Parent Loop BB176_4 Depth=1
                                        ;     Parent Loop BB176_57 Depth=2
                                        ;       Parent Loop BB176_60 Depth=3
                                        ;         Parent Loop BB176_70 Depth=4
                                        ; =>        This Inner Loop Header: Depth=5
	scratch_load_b64 v[24:25], off, s48
	s_add_co_i32 s50, s46, s48
	s_add_co_i32 s47, s47, -1
	v_mov_b32_e32 v3, s50
	s_mov_b32 s49, s48
	s_wait_xcnt 0x0
	s_add_co_i32 s48, s48, 8
	s_cmp_eq_u32 s47, 0
	ds_load_b64 v[26:27], v3
	s_wait_dscnt 0x0
	v_pk_mul_f32 v[30:31], v[26:27], v[22:23] op_sel:[1,0] op_sel_hi:[0,1]
	s_delay_alu instid0(VALU_DEP_1) | instskip(SKIP_1) | instid1(VALU_DEP_2)
	v_pk_fma_f32 v[32:33], v[26:27], v[20:21], v[30:31]
	v_pk_fma_f32 v[26:27], v[26:27], v[20:21], v[30:31] neg_lo:[0,0,1] neg_hi:[0,0,1]
	v_mov_b32_e32 v27, v33
	s_wait_loadcnt 0x0
	s_delay_alu instid0(VALU_DEP_1)
	v_pk_add_f32 v[24:25], v[24:25], v[26:27] neg_lo:[0,1] neg_hi:[0,1]
	scratch_store_b64 off, v[24:25], s49
	s_cbranch_scc0 .LBB176_78
	s_branch .LBB176_69
.LBB176_79:                             ;   in Loop: Header=BB176_60 Depth=3
	s_mov_b32 s16, 0
	s_mov_b32 s46, s44
	s_branch .LBB176_81
.LBB176_80:                             ;   in Loop: Header=BB176_81 Depth=4
	s_add_co_i32 s48, s16, s12
	s_add_co_i32 s46, s46, 8
	s_mul_i32 s47, s48, 0x208
	s_wait_xcnt 0x0
	s_ashr_i32 s49, s48, 31
	v_mov_b32_e32 v3, s47
	s_lshl_b32 s47, s16, 3
	s_add_co_i32 s16, s16, 1
	s_delay_alu instid0(SALU_CYCLE_1) | instskip(SKIP_3) | instid1(VALU_DEP_1)
	s_cmp_eq_u32 s16, s25
	ds_load_b64 v[24:25], v3
	s_wait_dscnt 0x0
	v_pk_mul_f32 v[22:23], v[24:25], v[22:23] op_sel:[1,0] op_sel_hi:[0,0]
	v_pk_fma_f32 v[26:27], v[24:25], v[20:21], v[22:23] op_sel_hi:[1,0,1]
	v_pk_fma_f32 v[20:21], v[24:25], v[20:21], v[22:23] neg_lo:[0,0,1] neg_hi:[0,0,1]
	v_lshl_add_u64 v[22:23], s[48:49], 3, v[16:17]
	s_delay_alu instid0(VALU_DEP_3)
	v_mov_b32_e32 v21, v27
	scratch_store_b64 off, v[20:21], s47
	global_store_b64 v[22:23], v[20:21], off
	s_cbranch_scc1 .LBB176_59
.LBB176_81:                             ;   Parent Loop BB176_4 Depth=1
                                        ;     Parent Loop BB176_57 Depth=2
                                        ;       Parent Loop BB176_60 Depth=3
                                        ; =>      This Loop Header: Depth=4
                                        ;           Child Loop BB176_83 Depth 5
	s_cmp_lg_u32 s16, 0
	s_cbranch_scc0 .LBB176_85
; %bb.82:                               ;   in Loop: Header=BB176_81 Depth=4
	s_wait_xcnt 0x0
	s_lshl_b32 s47, s16, 3
	s_mov_b32 s48, 0
	scratch_load_b64 v[20:21], off, s47
	s_mov_b32 s49, s46
	s_mov_b32 s50, s16
.LBB176_83:                             ;   Parent Loop BB176_4 Depth=1
                                        ;     Parent Loop BB176_57 Depth=2
                                        ;       Parent Loop BB176_60 Depth=3
                                        ;         Parent Loop BB176_81 Depth=4
                                        ; =>        This Inner Loop Header: Depth=5
	scratch_load_b64 v[22:23], off, s48
	v_mov_b32_e32 v3, s49
	s_add_co_i32 s50, s50, -1
	s_addk_co_i32 s49, 0x200
	s_wait_xcnt 0x0
	s_add_co_i32 s48, s48, 8
	s_cmp_eq_u32 s50, 0
	ds_load_b64 v[24:25], v3
	s_wait_loadcnt_dscnt 0x0
	v_pk_mul_f32 v[26:27], v[24:25], v[22:23] op_sel:[1,1] op_sel_hi:[0,1]
	s_delay_alu instid0(VALU_DEP_1) | instskip(SKIP_1) | instid1(VALU_DEP_2)
	v_pk_fma_f32 v[30:31], v[24:25], v[22:23], v[26:27] op_sel_hi:[1,0,1]
	v_pk_fma_f32 v[22:23], v[24:25], v[22:23], v[26:27] neg_lo:[0,0,1] neg_hi:[0,0,1]
	v_mov_b32_e32 v23, v31
	s_delay_alu instid0(VALU_DEP_1)
	v_pk_add_f32 v[20:21], v[20:21], v[22:23] neg_lo:[0,1] neg_hi:[0,1]
	scratch_store_b64 off, v[20:21], s47
	s_cbranch_scc0 .LBB176_83
; %bb.84:                               ;   in Loop: Header=BB176_81 Depth=4
	v_mov_b32_e32 v22, v21
	s_wait_xcnt 0x0
	s_branch .LBB176_80
.LBB176_85:                             ;   in Loop: Header=BB176_81 Depth=4
	s_wait_xcnt 0x0
                                        ; implicit-def: $vgpr20
                                        ; implicit-def: $vgpr22
	s_cbranch_execz .LBB176_80
; %bb.86:                               ;   in Loop: Header=BB176_81 Depth=4
	scratch_load_b64 v[20:21], off, off
	s_wait_loadcnt 0x0
	v_mov_b32_e32 v22, v21
	s_branch .LBB176_80
.LBB176_87:
	s_or_b32 exec_lo, exec_lo, s37
	s_and_saveexec_b32 s0, s38
	s_delay_alu instid0(SALU_CYCLE_1)
	s_xor_b32 s0, exec_lo, s0
.LBB176_88:
	s_endpgm
	.section	.rodata,"a",@progbits
	.p2align	6, 0x0
	.amdhsa_kernel _ZL30rocblas_trsm_small_left_deviceILi64ELi32ELb1E19rocblas_complex_numIfES1_PKS1_PS1_Ev13rocblas_fill_18rocblas_operation_17rocblas_diagonal_iiT3_T4_lilT5_lili
		.amdhsa_group_segment_fixed_size 32768
		.amdhsa_private_segment_fixed_size 272
		.amdhsa_kernarg_size 360
		.amdhsa_user_sgpr_count 2
		.amdhsa_user_sgpr_dispatch_ptr 0
		.amdhsa_user_sgpr_queue_ptr 0
		.amdhsa_user_sgpr_kernarg_segment_ptr 1
		.amdhsa_user_sgpr_dispatch_id 0
		.amdhsa_user_sgpr_kernarg_preload_length 0
		.amdhsa_user_sgpr_kernarg_preload_offset 0
		.amdhsa_user_sgpr_private_segment_size 0
		.amdhsa_wavefront_size32 1
		.amdhsa_uses_dynamic_stack 0
		.amdhsa_enable_private_segment 1
		.amdhsa_system_sgpr_workgroup_id_x 1
		.amdhsa_system_sgpr_workgroup_id_y 0
		.amdhsa_system_sgpr_workgroup_id_z 1
		.amdhsa_system_sgpr_workgroup_info 0
		.amdhsa_system_vgpr_workitem_id 0
		.amdhsa_next_free_vgpr 161
		.amdhsa_next_free_sgpr 57
		.amdhsa_named_barrier_count 0
		.amdhsa_reserve_vcc 1
		.amdhsa_float_round_mode_32 0
		.amdhsa_float_round_mode_16_64 0
		.amdhsa_float_denorm_mode_32 3
		.amdhsa_float_denorm_mode_16_64 3
		.amdhsa_fp16_overflow 0
		.amdhsa_memory_ordered 1
		.amdhsa_forward_progress 1
		.amdhsa_inst_pref_size 32
		.amdhsa_round_robin_scheduling 0
		.amdhsa_exception_fp_ieee_invalid_op 0
		.amdhsa_exception_fp_denorm_src 0
		.amdhsa_exception_fp_ieee_div_zero 0
		.amdhsa_exception_fp_ieee_overflow 0
		.amdhsa_exception_fp_ieee_underflow 0
		.amdhsa_exception_fp_ieee_inexact 0
		.amdhsa_exception_int_div_zero 0
	.end_amdhsa_kernel
	.section	.text._ZL30rocblas_trsm_small_left_deviceILi64ELi32ELb1E19rocblas_complex_numIfES1_PKS1_PS1_Ev13rocblas_fill_18rocblas_operation_17rocblas_diagonal_iiT3_T4_lilT5_lili,"axG",@progbits,_ZL30rocblas_trsm_small_left_deviceILi64ELi32ELb1E19rocblas_complex_numIfES1_PKS1_PS1_Ev13rocblas_fill_18rocblas_operation_17rocblas_diagonal_iiT3_T4_lilT5_lili,comdat
.Lfunc_end176:
	.size	_ZL30rocblas_trsm_small_left_deviceILi64ELi32ELb1E19rocblas_complex_numIfES1_PKS1_PS1_Ev13rocblas_fill_18rocblas_operation_17rocblas_diagonal_iiT3_T4_lilT5_lili, .Lfunc_end176-_ZL30rocblas_trsm_small_left_deviceILi64ELi32ELb1E19rocblas_complex_numIfES1_PKS1_PS1_Ev13rocblas_fill_18rocblas_operation_17rocblas_diagonal_iiT3_T4_lilT5_lili
                                        ; -- End function
	.set _ZL30rocblas_trsm_small_left_deviceILi64ELi32ELb1E19rocblas_complex_numIfES1_PKS1_PS1_Ev13rocblas_fill_18rocblas_operation_17rocblas_diagonal_iiT3_T4_lilT5_lili.num_vgpr, 40
	.set _ZL30rocblas_trsm_small_left_deviceILi64ELi32ELb1E19rocblas_complex_numIfES1_PKS1_PS1_Ev13rocblas_fill_18rocblas_operation_17rocblas_diagonal_iiT3_T4_lilT5_lili.num_agpr, 0
	.set _ZL30rocblas_trsm_small_left_deviceILi64ELi32ELb1E19rocblas_complex_numIfES1_PKS1_PS1_Ev13rocblas_fill_18rocblas_operation_17rocblas_diagonal_iiT3_T4_lilT5_lili.numbered_sgpr, 57
	.set _ZL30rocblas_trsm_small_left_deviceILi64ELi32ELb1E19rocblas_complex_numIfES1_PKS1_PS1_Ev13rocblas_fill_18rocblas_operation_17rocblas_diagonal_iiT3_T4_lilT5_lili.num_named_barrier, 0
	.set _ZL30rocblas_trsm_small_left_deviceILi64ELi32ELb1E19rocblas_complex_numIfES1_PKS1_PS1_Ev13rocblas_fill_18rocblas_operation_17rocblas_diagonal_iiT3_T4_lilT5_lili.private_seg_size, 272
	.set _ZL30rocblas_trsm_small_left_deviceILi64ELi32ELb1E19rocblas_complex_numIfES1_PKS1_PS1_Ev13rocblas_fill_18rocblas_operation_17rocblas_diagonal_iiT3_T4_lilT5_lili.uses_vcc, 1
	.set _ZL30rocblas_trsm_small_left_deviceILi64ELi32ELb1E19rocblas_complex_numIfES1_PKS1_PS1_Ev13rocblas_fill_18rocblas_operation_17rocblas_diagonal_iiT3_T4_lilT5_lili.uses_flat_scratch, 0
	.set _ZL30rocblas_trsm_small_left_deviceILi64ELi32ELb1E19rocblas_complex_numIfES1_PKS1_PS1_Ev13rocblas_fill_18rocblas_operation_17rocblas_diagonal_iiT3_T4_lilT5_lili.has_dyn_sized_stack, 0
	.set _ZL30rocblas_trsm_small_left_deviceILi64ELi32ELb1E19rocblas_complex_numIfES1_PKS1_PS1_Ev13rocblas_fill_18rocblas_operation_17rocblas_diagonal_iiT3_T4_lilT5_lili.has_recursion, 0
	.set _ZL30rocblas_trsm_small_left_deviceILi64ELi32ELb1E19rocblas_complex_numIfES1_PKS1_PS1_Ev13rocblas_fill_18rocblas_operation_17rocblas_diagonal_iiT3_T4_lilT5_lili.has_indirect_call, 0
	.section	.AMDGPU.csdata,"",@progbits
; Kernel info:
; codeLenInByte = 4092
; TotalNumSgprs: 59
; NumVgprs: 40
; ScratchSize: 272
; MemoryBound: 0
; FloatMode: 240
; IeeeMode: 1
; LDSByteSize: 32768 bytes/workgroup (compile time only)
; SGPRBlocks: 0
; VGPRBlocks: 10
; NumSGPRsForWavesPerEU: 59
; NumVGPRsForWavesPerEU: 161
; NamedBarCnt: 0
; Occupancy: 5
; WaveLimiterHint : 1
; COMPUTE_PGM_RSRC2:SCRATCH_EN: 1
; COMPUTE_PGM_RSRC2:USER_SGPR: 2
; COMPUTE_PGM_RSRC2:TRAP_HANDLER: 0
; COMPUTE_PGM_RSRC2:TGID_X_EN: 1
; COMPUTE_PGM_RSRC2:TGID_Y_EN: 0
; COMPUTE_PGM_RSRC2:TGID_Z_EN: 1
; COMPUTE_PGM_RSRC2:TIDIG_COMP_CNT: 0
	.section	.text._ZL31rocblas_trsm_small_right_deviceI19rocblas_complex_numIfES1_PKS1_PS1_Li64EEv13rocblas_fill_18rocblas_operation_17rocblas_diagonal_iiT0_T1_lilT2_lili,"axG",@progbits,_ZL31rocblas_trsm_small_right_deviceI19rocblas_complex_numIfES1_PKS1_PS1_Li64EEv13rocblas_fill_18rocblas_operation_17rocblas_diagonal_iiT0_T1_lilT2_lili,comdat
	.globl	_ZL31rocblas_trsm_small_right_deviceI19rocblas_complex_numIfES1_PKS1_PS1_Li64EEv13rocblas_fill_18rocblas_operation_17rocblas_diagonal_iiT0_T1_lilT2_lili ; -- Begin function _ZL31rocblas_trsm_small_right_deviceI19rocblas_complex_numIfES1_PKS1_PS1_Li64EEv13rocblas_fill_18rocblas_operation_17rocblas_diagonal_iiT0_T1_lilT2_lili
	.p2align	8
	.type	_ZL31rocblas_trsm_small_right_deviceI19rocblas_complex_numIfES1_PKS1_PS1_Li64EEv13rocblas_fill_18rocblas_operation_17rocblas_diagonal_iiT0_T1_lilT2_lili,@function
_ZL31rocblas_trsm_small_right_deviceI19rocblas_complex_numIfES1_PKS1_PS1_Li64EEv13rocblas_fill_18rocblas_operation_17rocblas_diagonal_iiT0_T1_lilT2_lili: ; @_ZL31rocblas_trsm_small_right_deviceI19rocblas_complex_numIfES1_PKS1_PS1_Li64EEv13rocblas_fill_18rocblas_operation_17rocblas_diagonal_iiT0_T1_lilT2_lili
; %bb.0:
	s_load_b32 s33, s[0:1], 0x60
	s_bfe_u32 s2, ttmp6, 0x40014
	s_lshr_b32 s4, ttmp7, 16
	s_add_co_i32 s2, s2, 1
	s_bfe_u32 s5, ttmp6, 0x40008
	s_mul_i32 s2, s4, s2
	s_getreg_b32 s3, hwreg(HW_REG_IB_STS2, 6, 4)
	s_add_co_i32 s5, s5, s2
	s_cmp_eq_u32 s3, 0
	s_mov_b32 s19, 0
	s_cselect_b32 s2, s4, s5
	s_wait_kmcnt 0x0
	s_cmp_ge_u32 s2, s33
	s_cbranch_scc1 .LBB177_155
; %bb.1:
	s_clause 0x7
	s_load_b96 s[20:22], s[0:1], 0x48
	s_load_b32 s26, s[0:1], 0x30
	s_load_b128 s[12:15], s[0:1], 0x0
	s_load_b96 s[16:18], s[0:1], 0x10
	s_load_b32 s23, s[0:1], 0x68
	s_load_b128 s[8:11], s[0:1], 0x20
	s_load_b128 s[4:7], s[0:1], 0x38
	s_load_b64 s[24:25], s[0:1], 0x58
	v_dual_mov_b32 v7, 0 :: v_dual_lshlrev_b32 v4, 3, v0
	v_lshlrev_b32_e32 v1, 9, v0
	v_mov_b64_e32 v[14:15], 0x3f800000
	v_lshlrev_b32_e32 v6, 3, v0
	s_delay_alu instid0(VALU_DEP_4) | instskip(NEXT) | instid1(VALU_DEP_4)
	v_or_b32_e32 v24, 0x8000, v4
	v_dual_mov_b32 v5, v7 :: v_dual_add_nc_u32 v26, v4, v1
	s_wait_kmcnt 0x0
	s_ashr_i32 s29, s22, 31
	s_mov_b32 s28, s22
	s_ashr_i32 s27, s26, 31
	s_cmp_eq_u64 s[28:29], 1
	s_mov_b32 s22, s17
	s_cselect_b32 s34, -1, 0
	s_lshl_b64 s[0:1], s[20:21], 3
	s_cmp_lg_u32 s12, 0x7a
	s_cselect_b32 s35, -1, 0
	s_cmp_lg_u32 s13, 0x71
	s_cselect_b32 s36, -1, 0
	s_bfe_u32 s20, ttmp6, 0x4000c
	s_min_i32 s37, s16, 64
	s_add_co_i32 s20, s20, 1
	s_and_b32 s21, ttmp6, 15
	s_mul_i32 s20, ttmp9, s20
	s_add_co_i32 s23, s23, -1
	s_add_co_i32 s38, s37, -1
	s_add_co_i32 s21, s21, s20
	s_cmp_eq_u32 s3, 0
	s_mov_b32 s20, s17
	s_cselect_b32 s30, ttmp9, s21
	s_mov_b32 s21, s18
	s_lshl_b32 s3, s30, 6
	s_delay_alu instid0(SALU_CYCLE_1)
	s_sub_co_i32 s3, s15, s3
	s_cmp_ge_u32 s30, s23
	s_mov_b32 s23, s17
	s_cselect_b32 s3, s3, 64
	s_ashr_i32 s31, s30, 31
	v_cmp_gt_i32_e32 vcc_lo, s3, v0
	s_lshl_b64 s[30:31], s[30:31], 9
	s_cmp_eq_u32 s14, 0x84
	s_mov_b32 s14, s18
	s_cselect_b32 s39, -1, 0
	s_cmp_gt_i32 s16, 0
	s_mov_b32 s15, s18
	s_cselect_b32 s43, -1, 0
	s_cmp_lg_u32 s13, 0x6f
	s_cselect_b32 s13, -1, 0
	s_cmp_lg_u32 s12, 0x79
	s_mov_b32 s12, s18
	s_cselect_b32 s3, -1, 0
	s_or_b32 s40, s35, s13
	s_or_b32 s41, s3, s13
	s_cmp_gt_i32 s16, 3
	v_cndmask_b32_e64 v25, 0, 1, s3
	s_cselect_b32 s42, -1, 0
	s_and_b32 s43, vcc_lo, s43
	s_cmp_gt_u32 s16, 1
	s_mov_b32 s13, s17
	s_cselect_b32 s3, -1, 0
	s_and_b32 s17, s16, 0x7ffffffe
	s_and_b32 s44, s3, s34
	s_cmp_lg_u32 s16, s17
	s_add_nc_u64 s[34:35], s[6:7], s[0:1]
	s_cselect_b32 s45, -1, 0
	s_lshl_b64 s[10:11], s[10:11], 3
	s_add_nc_u64 s[0:1], s[30:31], s[0:1]
	s_add_nc_u64 s[8:9], s[8:9], s[10:11]
	;; [unrolled: 1-line block ×3, first 2 shown]
	v_add_nc_u64_e32 v[2:3], s[8:9], v[4:5]
	v_add_nc_u64_e32 v[8:9], s[6:7], v[4:5]
	s_lshl_b32 s46, s37, 9
	v_cmp_gt_i32_e64 s0, s37, v0
	s_mul_i32 s1, s37, 0x208
	s_lshl_b32 s48, s37, 3
	s_add_nc_u64 s[6:7], s[34:35], s[30:31]
	v_add_nc_u64_e32 v[10:11], 4, v[2:3]
	v_or_b32_e32 v2, s46, v4
	v_add_nc_u64_e32 v[12:13], 4, v[8:9]
	s_lshl_b64 s[4:5], s[4:5], 3
	s_lshl_b64 s[8:9], s[26:27], 3
	;; [unrolled: 1-line block ×3, first 2 shown]
	v_add_nc_u32_e32 v5, 0x7e00, v2
	s_lshl_b64 s[26:27], s[24:25], 3
	s_addk_co_i32 s46, 0xfe00
	s_add_co_i32 s47, s1, 0xfffff7f8
	s_add_co_i32 s48, s48, -8
	s_branch .LBB177_3
.LBB177_2:                              ;   in Loop: Header=BB177_3 Depth=1
	s_or_b32 exec_lo, exec_lo, s3
	s_add_co_i32 s2, s2, 0x10000
	s_delay_alu instid0(SALU_CYCLE_1)
	s_cmp_lt_u32 s2, s33
	s_cbranch_scc0 .LBB177_155
.LBB177_3:                              ; =>This Loop Header: Depth=1
                                        ;     Child Loop BB177_6 Depth 2
                                        ;     Child Loop BB177_15 Depth 2
	;; [unrolled: 1-line block ×4, first 2 shown]
                                        ;       Child Loop BB177_26 Depth 3
                                        ;     Child Loop BB177_48 Depth 2
                                        ;       Child Loop BB177_49 Depth 3
                                        ;     Child Loop BB177_57 Depth 2
	;; [unrolled: 2-line block ×8, first 2 shown]
	s_mov_b32 s3, s19
	s_and_saveexec_b32 s18, s0
	s_cbranch_execz .LBB177_12
; %bb.4:                                ;   in Loop: Header=BB177_3 Depth=1
	v_mad_nc_u64_u32 v[0:1], s4, s2, v[10:11]
	v_mov_b32_e32 v16, v4
	s_mov_b32 s28, s37
	s_delay_alu instid0(VALU_DEP_2)
	v_mad_u32 v1, s5, s2, v1
	s_branch .LBB177_6
.LBB177_5:                              ;   in Loop: Header=BB177_6 Depth=2
	global_load_b32 v2, v[0:1], off offset:-4
	s_wait_xcnt 0x0
	v_add_nc_u64_e32 v[0:1], s[8:9], v[0:1]
	s_add_co_i32 s28, s28, -1
	s_delay_alu instid0(SALU_CYCLE_1)
	s_cmp_eq_u32 s28, 0
	s_wait_loadcnt 0x0
	ds_store_b64 v16, v[2:3]
	v_add_nc_u32_e32 v16, 0x200, v16
	s_cbranch_scc1 .LBB177_10
.LBB177_6:                              ;   Parent Loop BB177_3 Depth=1
                                        ; =>  This Inner Loop Header: Depth=2
	s_and_b32 vcc_lo, exec_lo, s36
	s_mov_b32 s29, -1
                                        ; implicit-def: $vgpr3
	s_cbranch_vccz .LBB177_8
; %bb.7:                                ;   in Loop: Header=BB177_6 Depth=2
	global_load_b32 v3, v[0:1], off
	s_mov_b32 s29, 0
.LBB177_8:                              ;   in Loop: Header=BB177_6 Depth=2
	s_delay_alu instid0(SALU_CYCLE_1)
	s_and_not1_b32 vcc_lo, exec_lo, s29
	s_cbranch_vccnz .LBB177_5
; %bb.9:                                ;   in Loop: Header=BB177_6 Depth=2
	global_load_b32 v2, v[0:1], off
	s_wait_loadcnt 0x0
	v_xor_b32_e32 v3, 0x80000000, v2
	s_branch .LBB177_5
.LBB177_10:                             ;   in Loop: Header=BB177_3 Depth=1
	s_and_b32 vcc_lo, exec_lo, s39
	s_cbranch_vccz .LBB177_12
; %bb.11:                               ;   in Loop: Header=BB177_3 Depth=1
	ds_store_b64 v26, v[14:15]
.LBB177_12:                             ;   in Loop: Header=BB177_3 Depth=1
	s_or_b32 exec_lo, exec_lo, s18
	s_mul_u64 s[28:29], s[26:27], s[2:3]
	s_and_saveexec_b32 s49, s43
	s_cbranch_execz .LBB177_20
; %bb.13:                               ;   in Loop: Header=BB177_3 Depth=1
	s_and_not1_b32 vcc_lo, exec_lo, s44
	s_cbranch_vccnz .LBB177_17
; %bb.14:                               ;   in Loop: Header=BB177_3 Depth=1
	s_mul_u64 s[30:31], s[24:25], s[2:3]
	s_mov_b32 s18, 0
	s_lshl_b64 s[30:31], s[30:31], 3
	s_mov_b32 s3, s17
	s_add_nc_u64 s[30:31], s[6:7], s[30:31]
	s_delay_alu instid0(SALU_CYCLE_1)
	v_add_nc_u64_e32 v[0:1], s[30:31], v[6:7]
	s_mov_b32 s30, 1
.LBB177_15:                             ;   Parent Loop BB177_3 Depth=1
                                        ; =>  This Inner Loop Header: Depth=2
	s_mov_b32 s31, s19
	s_delay_alu instid0(VALU_DEP_1)
	v_lshl_add_u64 v[2:3], s[18:19], 3, v[0:1]
	v_lshl_add_u64 v[16:17], s[30:31], 3, v[0:1]
	v_lshl_add_u32 v27, s18, 9, v24
	v_lshl_add_u32 v28, s30, 9, v24
	s_add_co_i32 s3, s3, -2
	s_clause 0x1
	global_load_b64 v[18:19], v[2:3], off
	global_load_b64 v[20:21], v[16:17], off
	s_wait_xcnt 0x1
	v_mov_b64_e32 v[2:3], s[14:15]
	s_wait_xcnt 0x0
	v_mov_b64_e32 v[16:17], s[22:23]
	s_add_co_i32 s18, s18, 2
	s_add_co_i32 s30, s30, 2
	s_mov_b32 s34, s17
	s_mov_b32 s31, s45
	s_cmp_lg_u32 s3, 0
	s_wait_loadcnt 0x0
	v_dual_mov_b32 v22, v18 :: v_dual_mov_b32 v23, v20
	v_mov_b32_e32 v20, v19
	s_delay_alu instid0(VALU_DEP_1) | instskip(SKIP_1) | instid1(VALU_DEP_2)
	v_pk_mul_f32 v[18:19], v[2:3], v[20:21]
	v_pk_mul_f32 v[20:21], v[16:17], v[20:21]
	v_pk_fma_f32 v[16:17], v[16:17], v[22:23], v[18:19] neg_lo:[0,0,1] neg_hi:[0,0,1]
	s_delay_alu instid0(VALU_DEP_2)
	v_pk_fma_f32 v[2:3], v[2:3], v[22:23], v[20:21]
	ds_store_b32 v27, v16
	ds_store_b32 v28, v17
	ds_store_b32 v27, v2 offset:4
	ds_store_b32 v28, v3 offset:4
	s_cbranch_scc1 .LBB177_15
; %bb.16:                               ;   in Loop: Header=BB177_3 Depth=1
	s_and_b32 vcc_lo, exec_lo, s31
	s_cbranch_vccnz .LBB177_18
	s_branch .LBB177_20
.LBB177_17:                             ;   in Loop: Header=BB177_3 Depth=1
	s_mov_b32 s34, 0
	s_cbranch_execz .LBB177_20
.LBB177_18:                             ;   in Loop: Header=BB177_3 Depth=1
	s_mov_b32 s35, s19
	v_lshl_add_u32 v2, s34, 9, v24
	s_mul_u64 s[30:31], s[10:11], s[34:35]
	s_sub_co_i32 s3, s16, s34
	s_add_nc_u64 s[30:31], s[30:31], s[28:29]
	s_delay_alu instid0(SALU_CYCLE_1)
	v_add_nc_u64_e32 v[0:1], s[30:31], v[12:13]
.LBB177_19:                             ;   Parent Loop BB177_3 Depth=1
                                        ; =>  This Inner Loop Header: Depth=2
	global_load_b64 v[16:17], v[0:1], off offset:-4
	v_mov_b64_e32 v[18:19], s[12:13]
	v_mov_b64_e32 v[20:21], s[20:21]
	s_wait_xcnt 0x0
	v_add_nc_u64_e32 v[0:1], s[10:11], v[0:1]
	s_add_co_i32 s3, s3, -1
	s_delay_alu instid0(SALU_CYCLE_1) | instskip(SKIP_2) | instid1(VALU_DEP_1)
	s_cmp_lg_u32 s3, 0
	s_wait_loadcnt 0x0
	v_pk_mul_f32 v[18:19], v[18:19], v[16:17] op_sel:[0,1]
	v_pk_fma_f32 v[22:23], v[20:21], v[16:17], v[18:19] op_sel_hi:[1,0,1]
	v_pk_fma_f32 v[16:17], v[20:21], v[16:17], v[18:19] neg_lo:[0,0,1] neg_hi:[0,0,1]
	s_delay_alu instid0(VALU_DEP_2)
	v_mov_b32_e32 v17, v23
	ds_store_b64 v2, v[16:17]
	v_add_nc_u32_e32 v2, 0x200, v2
	s_cbranch_scc1 .LBB177_19
.LBB177_20:                             ;   in Loop: Header=BB177_3 Depth=1
	s_or_b32 exec_lo, exec_lo, s49
	s_delay_alu instid0(SALU_CYCLE_1)
	s_and_b32 vcc_lo, exec_lo, s41
	s_mov_b32 s3, -1
	s_wait_dscnt 0x0
	s_barrier_signal -1
	s_barrier_wait -1
	s_cbranch_vccz .LBB177_120
; %bb.21:                               ;   in Loop: Header=BB177_3 Depth=1
	s_and_b32 vcc_lo, exec_lo, s40
	s_cbranch_vccz .LBB177_87
; %bb.22:                               ;   in Loop: Header=BB177_3 Depth=1
	v_cmp_ne_u32_e32 vcc_lo, 1, v25
	s_cbranch_vccnz .LBB177_55
; %bb.23:                               ;   in Loop: Header=BB177_3 Depth=1
	s_and_not1_b32 vcc_lo, exec_lo, s42
	s_mov_b32 s30, 0
	s_cbranch_vccnz .LBB177_45
; %bb.24:                               ;   in Loop: Header=BB177_3 Depth=1
	s_mov_b32 s3, 0
	s_mov_b32 s18, 0
.LBB177_25:                             ;   Parent Loop BB177_3 Depth=1
                                        ; =>  This Loop Header: Depth=2
                                        ;       Child Loop BB177_26 Depth 3
	s_delay_alu instid0(SALU_CYCLE_1) | instskip(SKIP_3) | instid1(SALU_CYCLE_1)
	s_lshl_b32 s34, s18, 9
	s_or_b32 s35, s18, 1
	s_or_b32 s30, s18, 2
	;; [unrolled: 1-line block ×3, first 2 shown]
	v_dual_add_nc_u32 v30, s34, v24 :: v_dual_add_nc_u32 v27, s31, v24
	v_lshl_add_u32 v29, s35, 9, v24
	v_lshl_add_u32 v28, s30, 9, v24
	ds_load_b64 v[0:1], v30
	ds_load_b64 v[22:23], v29
	;; [unrolled: 1-line block ×4, first 2 shown]
	v_mov_b32_e32 v2, v24
	s_cmp_eq_u32 s18, 0
	s_mov_b32 s31, s3
	s_mov_b32 s49, s18
	s_cbranch_scc1 .LBB177_27
.LBB177_26:                             ;   Parent Loop BB177_3 Depth=1
                                        ;     Parent Loop BB177_25 Depth=2
                                        ; =>    This Inner Loop Header: Depth=3
	v_mov_b32_e32 v3, s31
	s_add_co_i32 s49, s49, -1
	s_addk_co_i32 s31, 0x200
	s_cmp_eq_u32 s49, 0
	ds_load_b64 v[20:21], v2
	ds_load_b128 v[32:35], v3
	ds_load_b128 v[36:39], v3 offset:16
	s_wait_dscnt 0x1
	v_dual_mul_f32 v3, v33, v21 :: v_dual_add_nc_u32 v2, 0x200, v2
	v_dual_mul_f32 v31, v32, v21 :: v_dual_mul_f32 v44, v35, v21
	v_mul_f32_e32 v45, v35, v20
	s_wait_dscnt 0x0
	v_pk_mul_f32 v[40:41], v[36:37], v[20:21] op_sel:[0,1]
	v_pk_mul_f32 v[42:43], v[38:39], v[20:21] op_sel:[0,1]
	v_dual_fma_f32 v3, v32, v20, -v3 :: v_dual_fma_f32 v44, v34, v20, -v44
	v_dual_fmac_f32 v31, v33, v20 :: v_dual_fmac_f32 v45, v34, v21
	s_delay_alu instid0(VALU_DEP_4) | instskip(NEXT) | instid1(VALU_DEP_4)
	v_pk_fma_f32 v[32:33], v[36:37], v[20:21], v[40:41] op_sel:[0,0,1] op_sel_hi:[1,0,0]
	v_pk_fma_f32 v[34:35], v[38:39], v[20:21], v[42:43] op_sel:[0,0,1] op_sel_hi:[1,0,0]
	v_pk_fma_f32 v[36:37], v[36:37], v[20:21], v[40:41] op_sel:[0,0,1] op_sel_hi:[1,1,0] neg_lo:[0,0,1] neg_hi:[0,0,1]
	v_pk_fma_f32 v[20:21], v[38:39], v[20:21], v[42:43] op_sel:[0,0,1] op_sel_hi:[1,1,0] neg_lo:[0,0,1] neg_hi:[0,0,1]
	s_delay_alu instid0(VALU_DEP_4) | instskip(NEXT) | instid1(VALU_DEP_4)
	v_dual_sub_f32 v0, v0, v3 :: v_dual_mov_b32 v37, v33
	v_dual_mov_b32 v21, v35 :: v_dual_sub_f32 v1, v1, v31
	v_dual_sub_f32 v22, v22, v44 :: v_dual_sub_f32 v23, v23, v45
	s_delay_alu instid0(VALU_DEP_3) | instskip(NEXT) | instid1(VALU_DEP_3)
	v_pk_add_f32 v[18:19], v[18:19], v[36:37] neg_lo:[0,1] neg_hi:[0,1]
	v_pk_add_f32 v[16:17], v[16:17], v[20:21] neg_lo:[0,1] neg_hi:[0,1]
	s_cbranch_scc0 .LBB177_26
.LBB177_27:                             ;   in Loop: Header=BB177_25 Depth=2
	s_lshl_b32 s31, s18, 3
	s_mov_b32 s49, -1
	s_add_co_i32 s34, s31, s34
	s_delay_alu instid0(SALU_CYCLE_1) | instskip(SKIP_4) | instid1(VALU_DEP_1)
	v_mov_b32_e32 v2, s34
	ds_load_b64 v[2:3], v2
	s_wait_dscnt 0x0
	v_and_b32_e32 v20, 0x7fffffff, v2
	v_and_b32_e32 v21, 0x7fffffff, v3
	v_cmp_ngt_f32_e32 vcc_lo, v20, v21
                                        ; implicit-def: $vgpr21
	s_cbranch_vccz .LBB177_29
; %bb.28:                               ;   in Loop: Header=BB177_25 Depth=2
	v_div_scale_f32 v20, null, v3, v3, v2
	v_div_scale_f32 v32, vcc_lo, v2, v3, v2
	s_mov_b32 s49, 0
	v_rcp_f32_e32 v21, v20
	v_nop
	v_xor_b32_e32 v20, 0x80000000, v20
	s_delay_alu instid0(TRANS32_DEP_1) | instid1(VALU_DEP_1)
	v_fma_f32 v31, v20, v21, 1.0
	s_delay_alu instid0(VALU_DEP_1) | instskip(NEXT) | instid1(VALU_DEP_1)
	v_fmac_f32_e32 v21, v31, v21
	v_mul_f32_e32 v31, v32, v21
	s_delay_alu instid0(VALU_DEP_1) | instskip(NEXT) | instid1(VALU_DEP_1)
	v_fma_f32 v33, v20, v31, v32
	v_fmac_f32_e32 v31, v33, v21
	s_delay_alu instid0(VALU_DEP_1) | instskip(NEXT) | instid1(VALU_DEP_1)
	v_fmac_f32_e32 v32, v20, v31
	v_div_fmas_f32 v20, v32, v21, v31
	s_delay_alu instid0(VALU_DEP_1) | instskip(NEXT) | instid1(VALU_DEP_1)
	v_div_fixup_f32 v20, v20, v3, v2
	v_fma_f32 v21, v2, v20, v3
	s_delay_alu instid0(VALU_DEP_1) | instskip(SKIP_1) | instid1(VALU_DEP_2)
	v_div_scale_f32 v31, null, v21, v21, 1.0
	v_div_scale_f32 v34, vcc_lo, 1.0, v21, 1.0
	v_rcp_f32_e32 v32, v31
	v_nop
	v_xor_b32_e32 v31, 0x80000000, v31
	s_delay_alu instid0(TRANS32_DEP_1) | instid1(VALU_DEP_1)
	v_fma_f32 v33, v31, v32, 1.0
	s_delay_alu instid0(VALU_DEP_1) | instskip(NEXT) | instid1(VALU_DEP_1)
	v_fmac_f32_e32 v32, v33, v32
	v_mul_f32_e32 v33, v34, v32
	s_delay_alu instid0(VALU_DEP_1) | instskip(NEXT) | instid1(VALU_DEP_1)
	v_fma_f32 v35, v31, v33, v34
	v_fmac_f32_e32 v33, v35, v32
	s_delay_alu instid0(VALU_DEP_1) | instskip(NEXT) | instid1(VALU_DEP_1)
	v_fmac_f32_e32 v34, v31, v33
	v_div_fmas_f32 v31, v34, v32, v33
	v_fma_f32 v32, v0, v20, v1
	s_delay_alu instid0(VALU_DEP_2) | instskip(NEXT) | instid1(VALU_DEP_1)
	v_div_fixup_f32 v21, v31, v21, 1.0
	v_dual_fma_f32 v31, v1, v20, -v0 :: v_dual_mul_f32 v20, v32, v21
	s_delay_alu instid0(VALU_DEP_1)
	v_mul_f32_e32 v21, v31, v21
.LBB177_29:                             ;   in Loop: Header=BB177_25 Depth=2
	s_and_not1_b32 vcc_lo, exec_lo, s49
	s_cbranch_vccnz .LBB177_31
; %bb.30:                               ;   in Loop: Header=BB177_25 Depth=2
	v_div_scale_f32 v20, null, v2, v2, v3
	v_div_scale_f32 v32, vcc_lo, v3, v2, v3
	s_delay_alu instid0(VALU_DEP_2)
	v_rcp_f32_e32 v21, v20
	v_nop
	v_xor_b32_e32 v20, 0x80000000, v20
	s_delay_alu instid0(TRANS32_DEP_1) | instid1(VALU_DEP_1)
	v_fma_f32 v31, v20, v21, 1.0
	s_delay_alu instid0(VALU_DEP_1) | instskip(NEXT) | instid1(VALU_DEP_1)
	v_fmac_f32_e32 v21, v31, v21
	v_mul_f32_e32 v31, v32, v21
	s_delay_alu instid0(VALU_DEP_1) | instskip(NEXT) | instid1(VALU_DEP_1)
	v_fma_f32 v33, v20, v31, v32
	v_fmac_f32_e32 v31, v33, v21
	s_delay_alu instid0(VALU_DEP_1) | instskip(NEXT) | instid1(VALU_DEP_1)
	v_fmac_f32_e32 v32, v20, v31
	v_div_fmas_f32 v20, v32, v21, v31
	s_delay_alu instid0(VALU_DEP_1) | instskip(NEXT) | instid1(VALU_DEP_1)
	v_div_fixup_f32 v20, v20, v2, v3
	v_fmac_f32_e32 v2, v3, v20
	s_delay_alu instid0(VALU_DEP_1) | instskip(SKIP_1) | instid1(VALU_DEP_2)
	v_div_scale_f32 v3, null, v2, v2, 1.0
	v_div_scale_f32 v32, vcc_lo, 1.0, v2, 1.0
	v_rcp_f32_e32 v21, v3
	v_nop
	v_xor_b32_e32 v3, 0x80000000, v3
	s_delay_alu instid0(TRANS32_DEP_1) | instid1(VALU_DEP_1)
	v_fma_f32 v31, v3, v21, 1.0
	s_delay_alu instid0(VALU_DEP_1) | instskip(NEXT) | instid1(VALU_DEP_1)
	v_fmac_f32_e32 v21, v31, v21
	v_mul_f32_e32 v31, v32, v21
	s_delay_alu instid0(VALU_DEP_1) | instskip(NEXT) | instid1(VALU_DEP_1)
	v_fma_f32 v33, v3, v31, v32
	v_fmac_f32_e32 v31, v33, v21
	s_delay_alu instid0(VALU_DEP_1) | instskip(NEXT) | instid1(VALU_DEP_1)
	v_fmac_f32_e32 v32, v3, v31
	v_div_fmas_f32 v3, v32, v21, v31
	v_dual_fma_f32 v21, v1, v20, v0 :: v_dual_fma_f32 v0, -v0, v20, v1
	s_delay_alu instid0(VALU_DEP_2) | instskip(NEXT) | instid1(VALU_DEP_1)
	v_div_fixup_f32 v2, v3, v2, 1.0
	v_dual_mul_f32 v20, v21, v2 :: v_dual_mul_f32 v21, v0, v2
.LBB177_31:                             ;   in Loop: Header=BB177_25 Depth=2
	v_mov_b32_e32 v0, s34
	s_mov_b32 s49, -1
	ds_store_b64 v30, v[20:21]
	ds_load_2addr_b64 v[0:3], v0 offset0:1 offset1:65
	s_wait_dscnt 0x0
	v_dual_mul_f32 v31, v21, v1 :: v_dual_mul_f32 v1, v20, v1
	v_and_b32_e32 v32, 0x7fffffff, v2
	v_and_b32_e32 v33, 0x7fffffff, v3
	s_delay_alu instid0(VALU_DEP_3) | instskip(NEXT) | instid1(VALU_DEP_2)
	v_dual_fma_f32 v31, v20, v0, -v31 :: v_dual_fmac_f32 v1, v21, v0
	v_cmp_ngt_f32_e32 vcc_lo, v32, v33
	s_delay_alu instid0(VALU_DEP_2)
	v_dual_sub_f32 v0, v22, v31 :: v_dual_sub_f32 v1, v23, v1
                                        ; implicit-def: $vgpr23
	s_cbranch_vccz .LBB177_33
; %bb.32:                               ;   in Loop: Header=BB177_25 Depth=2
	v_div_scale_f32 v22, null, v3, v3, v2
	v_div_scale_f32 v31, vcc_lo, v2, v3, v2
	s_mov_b32 s49, 0
	v_rcp_f32_e32 v23, v22
	v_nop
	v_xor_b32_e32 v22, 0x80000000, v22
	s_delay_alu instid0(TRANS32_DEP_1) | instid1(VALU_DEP_1)
	v_fma_f32 v30, v22, v23, 1.0
	s_delay_alu instid0(VALU_DEP_1) | instskip(NEXT) | instid1(VALU_DEP_1)
	v_fmac_f32_e32 v23, v30, v23
	v_mul_f32_e32 v30, v31, v23
	s_delay_alu instid0(VALU_DEP_1) | instskip(NEXT) | instid1(VALU_DEP_1)
	v_fma_f32 v32, v22, v30, v31
	v_fmac_f32_e32 v30, v32, v23
	s_delay_alu instid0(VALU_DEP_1) | instskip(NEXT) | instid1(VALU_DEP_1)
	v_fmac_f32_e32 v31, v22, v30
	v_div_fmas_f32 v22, v31, v23, v30
	s_delay_alu instid0(VALU_DEP_1) | instskip(NEXT) | instid1(VALU_DEP_1)
	v_div_fixup_f32 v22, v22, v3, v2
	v_fma_f32 v23, v2, v22, v3
	s_delay_alu instid0(VALU_DEP_1) | instskip(SKIP_1) | instid1(VALU_DEP_2)
	v_div_scale_f32 v30, null, v23, v23, 1.0
	v_div_scale_f32 v33, vcc_lo, 1.0, v23, 1.0
	v_rcp_f32_e32 v31, v30
	v_nop
	v_xor_b32_e32 v30, 0x80000000, v30
	s_delay_alu instid0(TRANS32_DEP_1) | instid1(VALU_DEP_1)
	v_fma_f32 v32, v30, v31, 1.0
	s_delay_alu instid0(VALU_DEP_1) | instskip(NEXT) | instid1(VALU_DEP_1)
	v_fmac_f32_e32 v31, v32, v31
	v_mul_f32_e32 v32, v33, v31
	s_delay_alu instid0(VALU_DEP_1) | instskip(NEXT) | instid1(VALU_DEP_1)
	v_fma_f32 v34, v30, v32, v33
	v_fmac_f32_e32 v32, v34, v31
	s_delay_alu instid0(VALU_DEP_1) | instskip(NEXT) | instid1(VALU_DEP_1)
	v_fmac_f32_e32 v33, v30, v32
	v_div_fmas_f32 v30, v33, v31, v32
	v_fma_f32 v31, v22, v0, v1
	s_delay_alu instid0(VALU_DEP_2) | instskip(NEXT) | instid1(VALU_DEP_1)
	v_div_fixup_f32 v23, v30, v23, 1.0
	v_dual_fma_f32 v30, v22, v1, -v0 :: v_dual_mul_f32 v22, v31, v23
	s_delay_alu instid0(VALU_DEP_1)
	v_mul_f32_e32 v23, v30, v23
.LBB177_33:                             ;   in Loop: Header=BB177_25 Depth=2
	s_and_not1_b32 vcc_lo, exec_lo, s49
	s_cbranch_vccnz .LBB177_35
; %bb.34:                               ;   in Loop: Header=BB177_25 Depth=2
	v_div_scale_f32 v22, null, v2, v2, v3
	v_div_scale_f32 v31, vcc_lo, v3, v2, v3
	s_delay_alu instid0(VALU_DEP_2)
	v_rcp_f32_e32 v23, v22
	v_nop
	v_xor_b32_e32 v22, 0x80000000, v22
	s_delay_alu instid0(TRANS32_DEP_1) | instid1(VALU_DEP_1)
	v_fma_f32 v30, v22, v23, 1.0
	s_delay_alu instid0(VALU_DEP_1) | instskip(NEXT) | instid1(VALU_DEP_1)
	v_fmac_f32_e32 v23, v30, v23
	v_mul_f32_e32 v30, v31, v23
	s_delay_alu instid0(VALU_DEP_1) | instskip(NEXT) | instid1(VALU_DEP_1)
	v_fma_f32 v32, v22, v30, v31
	v_fmac_f32_e32 v30, v32, v23
	s_delay_alu instid0(VALU_DEP_1) | instskip(NEXT) | instid1(VALU_DEP_1)
	v_fmac_f32_e32 v31, v22, v30
	v_div_fmas_f32 v22, v31, v23, v30
	s_delay_alu instid0(VALU_DEP_1) | instskip(NEXT) | instid1(VALU_DEP_1)
	v_div_fixup_f32 v22, v22, v2, v3
	v_fmac_f32_e32 v2, v3, v22
	s_delay_alu instid0(VALU_DEP_1) | instskip(SKIP_1) | instid1(VALU_DEP_2)
	v_div_scale_f32 v3, null, v2, v2, 1.0
	v_div_scale_f32 v31, vcc_lo, 1.0, v2, 1.0
	v_rcp_f32_e32 v23, v3
	v_nop
	v_xor_b32_e32 v3, 0x80000000, v3
	s_delay_alu instid0(TRANS32_DEP_1) | instid1(VALU_DEP_1)
	v_fma_f32 v30, v3, v23, 1.0
	s_delay_alu instid0(VALU_DEP_1) | instskip(NEXT) | instid1(VALU_DEP_1)
	v_fmac_f32_e32 v23, v30, v23
	v_mul_f32_e32 v30, v31, v23
	s_delay_alu instid0(VALU_DEP_1) | instskip(NEXT) | instid1(VALU_DEP_1)
	v_fma_f32 v32, v3, v30, v31
	v_fmac_f32_e32 v30, v32, v23
	s_delay_alu instid0(VALU_DEP_1) | instskip(NEXT) | instid1(VALU_DEP_1)
	v_fmac_f32_e32 v31, v3, v30
	v_div_fmas_f32 v3, v31, v23, v30
	v_dual_fma_f32 v23, v22, v1, v0 :: v_dual_fma_f32 v0, -v22, v0, v1
	s_delay_alu instid0(VALU_DEP_2) | instskip(NEXT) | instid1(VALU_DEP_1)
	v_div_fixup_f32 v2, v3, v2, 1.0
	v_dual_mul_f32 v22, v23, v2 :: v_dual_mul_f32 v23, v0, v2
.LBB177_35:                             ;   in Loop: Header=BB177_25 Depth=2
	s_add_co_i32 s49, s34, 0x208
	s_lshl_b32 s35, s35, 3
	s_delay_alu instid0(VALU_DEP_1) | instskip(SKIP_3) | instid1(SALU_CYCLE_1)
	v_dual_mov_b32 v32, v21 :: v_dual_mov_b32 v34, v23
	s_sub_co_i32 s35, s49, s35
	s_mov_b32 s50, -1
	s_add_co_i32 s35, s35, s31
	v_dual_mov_b32 v0, s34 :: v_dual_mov_b32 v30, s35
	ds_store_b64 v29, v[22:23]
	ds_load_2addr_b64 v[0:3], v0 offset0:2 offset1:130
	ds_load_b64 v[30:31], v30 offset:16
	s_wait_dscnt 0x1
	v_pk_mul_f32 v[32:33], v[32:33], v[0:1] op_sel_hi:[0,1]
	s_wait_dscnt 0x0
	v_pk_mul_f32 v[34:35], v[34:35], v[30:31] op_sel_hi:[0,1]
	s_delay_alu instid0(VALU_DEP_2) | instskip(SKIP_1) | instid1(VALU_DEP_3)
	v_pk_fma_f32 v[36:37], v[20:21], v[0:1], v[32:33] op_sel:[0,0,1] op_sel_hi:[0,1,0]
	v_pk_fma_f32 v[0:1], v[20:21], v[0:1], v[32:33] op_sel:[0,0,1] op_sel_hi:[1,1,0] neg_lo:[0,0,1] neg_hi:[0,0,1]
	v_pk_fma_f32 v[32:33], v[22:23], v[30:31], v[34:35] op_sel:[0,0,1] op_sel_hi:[0,1,0]
	v_and_b32_e32 v32, 0x7fffffff, v2
	v_and_b32_e32 v36, 0x7fffffff, v3
	v_mov_b32_e32 v1, v37
	s_delay_alu instid0(VALU_DEP_2) | instskip(NEXT) | instid1(VALU_DEP_2)
	v_cmp_ngt_f32_e32 vcc_lo, v32, v36
	v_pk_add_f32 v[0:1], v[18:19], v[0:1] neg_lo:[0,1] neg_hi:[0,1]
	v_pk_fma_f32 v[18:19], v[22:23], v[30:31], v[34:35] op_sel:[0,0,1] op_sel_hi:[1,1,0] neg_lo:[0,0,1] neg_hi:[0,0,1]
	v_mov_b32_e32 v19, v33
	s_delay_alu instid0(VALU_DEP_1)
	v_pk_add_f32 v[0:1], v[0:1], v[18:19] neg_lo:[0,1] neg_hi:[0,1]
                                        ; implicit-def: $vgpr18_vgpr19
	s_cbranch_vccz .LBB177_37
; %bb.36:                               ;   in Loop: Header=BB177_25 Depth=2
	v_div_scale_f32 v18, null, v3, v3, v2
	v_div_scale_f32 v30, vcc_lo, v2, v3, v2
	s_mov_b32 s50, 0
	v_rcp_f32_e32 v19, v18
	v_nop
	v_xor_b32_e32 v18, 0x80000000, v18
	s_delay_alu instid0(TRANS32_DEP_1) | instid1(VALU_DEP_1)
	v_fma_f32 v29, v18, v19, 1.0
	s_delay_alu instid0(VALU_DEP_1) | instskip(NEXT) | instid1(VALU_DEP_1)
	v_fmac_f32_e32 v19, v29, v19
	v_mul_f32_e32 v29, v30, v19
	s_delay_alu instid0(VALU_DEP_1) | instskip(NEXT) | instid1(VALU_DEP_1)
	v_fma_f32 v31, v18, v29, v30
	v_fmac_f32_e32 v29, v31, v19
	s_delay_alu instid0(VALU_DEP_1) | instskip(NEXT) | instid1(VALU_DEP_1)
	v_fmac_f32_e32 v30, v18, v29
	v_div_fmas_f32 v18, v30, v19, v29
	s_delay_alu instid0(VALU_DEP_1) | instskip(NEXT) | instid1(VALU_DEP_1)
	v_div_fixup_f32 v18, v18, v3, v2
	v_fma_f32 v19, v2, v18, v3
	s_delay_alu instid0(VALU_DEP_1) | instskip(SKIP_1) | instid1(VALU_DEP_2)
	v_div_scale_f32 v29, null, v19, v19, 1.0
	v_div_scale_f32 v32, vcc_lo, 1.0, v19, 1.0
	v_rcp_f32_e32 v31, v29
	v_nop
	v_xor_b32_e32 v29, 0x80000000, v29
	s_delay_alu instid0(TRANS32_DEP_1) | instid1(VALU_DEP_1)
	v_fma_f32 v30, v29, v31, 1.0
	s_delay_alu instid0(VALU_DEP_1) | instskip(NEXT) | instid1(VALU_DEP_1)
	v_fmac_f32_e32 v31, v30, v31
	v_mul_f32_e32 v33, v32, v31
	s_delay_alu instid0(VALU_DEP_1) | instskip(NEXT) | instid1(VALU_DEP_1)
	v_fma_f32 v30, v29, v33, v32
	v_dual_fmac_f32 v33, v30, v31 :: v_dual_mov_b32 v30, v1
	s_delay_alu instid0(VALU_DEP_1) | instskip(NEXT) | instid1(VALU_DEP_1)
	v_fmac_f32_e32 v32, v29, v33
	v_div_fmas_f32 v29, v32, v31, v33
	s_delay_alu instid0(VALU_DEP_3) | instskip(NEXT) | instid1(VALU_DEP_2)
	v_pk_fma_f32 v[30:31], v[18:19], v[0:1], v[30:31]
	v_div_fixup_f32 v31, v29, v19, 1.0
	s_delay_alu instid0(VALU_DEP_1) | instskip(NEXT) | instid1(VALU_DEP_1)
	v_dual_fma_f32 v19, v18, v1, -v0 :: v_dual_mov_b32 v18, v31
	v_pk_mul_f32 v[18:19], v[30:31], v[18:19]
.LBB177_37:                             ;   in Loop: Header=BB177_25 Depth=2
	s_and_not1_b32 vcc_lo, exec_lo, s50
	s_cbranch_vccnz .LBB177_39
; %bb.38:                               ;   in Loop: Header=BB177_25 Depth=2
	v_div_scale_f32 v18, null, v2, v2, v3
	v_div_scale_f32 v30, vcc_lo, v3, v2, v3
	s_delay_alu instid0(VALU_DEP_2)
	v_rcp_f32_e32 v19, v18
	v_nop
	v_xor_b32_e32 v18, 0x80000000, v18
	s_delay_alu instid0(TRANS32_DEP_1) | instid1(VALU_DEP_1)
	v_fma_f32 v29, v18, v19, 1.0
	s_delay_alu instid0(VALU_DEP_1) | instskip(NEXT) | instid1(VALU_DEP_1)
	v_fmac_f32_e32 v19, v29, v19
	v_mul_f32_e32 v29, v30, v19
	s_delay_alu instid0(VALU_DEP_1) | instskip(NEXT) | instid1(VALU_DEP_1)
	v_fma_f32 v31, v18, v29, v30
	v_fmac_f32_e32 v29, v31, v19
	s_delay_alu instid0(VALU_DEP_1) | instskip(NEXT) | instid1(VALU_DEP_1)
	v_fmac_f32_e32 v30, v18, v29
	v_div_fmas_f32 v18, v30, v19, v29
	s_delay_alu instid0(VALU_DEP_1) | instskip(NEXT) | instid1(VALU_DEP_1)
	v_div_fixup_f32 v18, v18, v2, v3
	v_fma_f32 v19, v3, v18, v2
	s_delay_alu instid0(VALU_DEP_1) | instskip(SKIP_1) | instid1(VALU_DEP_2)
	v_div_scale_f32 v2, null, v19, v19, 1.0
	v_div_scale_f32 v30, vcc_lo, 1.0, v19, 1.0
	v_rcp_f32_e32 v3, v2
	v_nop
	v_xor_b32_e32 v2, 0x80000000, v2
	s_delay_alu instid0(TRANS32_DEP_1) | instid1(VALU_DEP_1)
	v_fma_f32 v29, v2, v3, 1.0
	s_delay_alu instid0(VALU_DEP_1) | instskip(NEXT) | instid1(VALU_DEP_1)
	v_fmac_f32_e32 v3, v29, v3
	v_mul_f32_e32 v29, v30, v3
	s_delay_alu instid0(VALU_DEP_1) | instskip(NEXT) | instid1(VALU_DEP_1)
	v_fma_f32 v31, v2, v29, v30
	v_fmac_f32_e32 v29, v31, v3
	s_delay_alu instid0(VALU_DEP_1) | instskip(NEXT) | instid1(VALU_DEP_1)
	v_fmac_f32_e32 v30, v2, v29
	v_div_fmas_f32 v29, v30, v3, v29
	v_pk_fma_f32 v[2:3], v[18:19], v[0:1], v[0:1] op_sel:[0,1,0] op_sel_hi:[0,0,1] neg_lo:[1,0,0] neg_hi:[1,0,0]
	v_pk_fma_f32 v[0:1], v[18:19], v[0:1], v[0:1] op_sel:[0,1,0] op_sel_hi:[1,0,1]
	s_delay_alu instid0(VALU_DEP_3) | instskip(NEXT) | instid1(VALU_DEP_3)
	v_div_fixup_f32 v2, v29, v19, 1.0
	v_mov_b32_e32 v1, v3
	s_delay_alu instid0(VALU_DEP_1)
	v_pk_mul_f32 v[18:19], v[0:1], v[2:3] op_sel_hi:[1,0]
.LBB177_39:                             ;   in Loop: Header=BB177_25 Depth=2
	v_dual_mov_b32 v0, s34 :: v_dual_mov_b32 v29, s35
	s_lshl_b32 s30, s30, 3
	v_mov_b32_e32 v35, v21
	s_sub_co_i32 s30, s49, s30
	ds_load_2addr_b64 v[0:3], v0 offset0:3 offset1:195
	s_add_co_i32 s30, s30, s31
	ds_load_b64 v[30:31], v29 offset:24
	v_dual_mov_b32 v29, s30 :: v_dual_mov_b32 v34, v21
	v_dual_mov_b32 v21, v20 :: v_dual_mov_b32 v36, v23
	v_mov_b32_e32 v37, v23
	ds_load_b64 v[32:33], v29 offset:544
	s_mov_b32 s30, -1
	ds_store_b64 v28, v[18:19]
	s_wait_dscnt 0x3
	v_pk_mul_f32 v[34:35], v[34:35], v[0:1]
	v_and_b32_e32 v29, 0x7fffffff, v3
	s_wait_dscnt 0x2
	v_pk_mul_f32 v[36:37], v[36:37], v[30:31]
	s_delay_alu instid0(VALU_DEP_3)
	v_pk_fma_f32 v[38:39], v[20:21], v[0:1], v[34:35] op_sel:[0,0,1] op_sel_hi:[1,1,0]
	v_mov_b32_e32 v23, v22
	v_pk_fma_f32 v[0:1], v[20:21], v[0:1], v[34:35] op_sel:[0,0,1] op_sel_hi:[1,1,0] neg_lo:[0,0,1] neg_hi:[0,0,1]
	s_wait_dscnt 0x1
	v_pk_mul_f32 v[34:35], v[18:19], v[32:33] op_sel:[1,1] op_sel_hi:[1,0]
	v_mov_b32_e32 v1, v39
	v_pk_fma_f32 v[20:21], v[22:23], v[30:31], v[36:37] op_sel:[0,0,1] op_sel_hi:[1,1,0]
	v_pk_fma_f32 v[22:23], v[22:23], v[30:31], v[36:37] op_sel:[0,0,1] op_sel_hi:[1,1,0] neg_lo:[0,0,1] neg_hi:[0,0,1]
	s_delay_alu instid0(VALU_DEP_3) | instskip(SKIP_1) | instid1(VALU_DEP_4)
	v_pk_add_f32 v[0:1], v[16:17], v[0:1] neg_lo:[0,1] neg_hi:[0,1]
	v_pk_fma_f32 v[16:17], v[18:19], v[32:33], v[34:35] op_sel_hi:[0,1,1]
	v_mov_b32_e32 v23, v21
	v_and_b32_e32 v16, 0x7fffffff, v2
	v_pk_fma_f32 v[20:21], v[18:19], v[32:33], v[34:35] neg_lo:[0,0,1] neg_hi:[0,0,1]
	s_delay_alu instid0(VALU_DEP_4) | instskip(NEXT) | instid1(VALU_DEP_4)
	v_mov_b32_e32 v21, v17
	v_pk_add_f32 v[0:1], v[0:1], v[22:23] neg_lo:[0,1] neg_hi:[0,1]
	s_delay_alu instid0(VALU_DEP_4) | instskip(NEXT) | instid1(VALU_DEP_2)
	v_cmp_ngt_f32_e32 vcc_lo, v16, v29
                                        ; implicit-def: $vgpr16_vgpr17
	v_pk_add_f32 v[0:1], v[0:1], v[20:21] neg_lo:[0,1] neg_hi:[0,1]
	s_cbranch_vccz .LBB177_41
; %bb.40:                               ;   in Loop: Header=BB177_25 Depth=2
	v_div_scale_f32 v16, null, v3, v3, v2
	v_div_scale_f32 v19, vcc_lo, v2, v3, v2
	s_mov_b32 s30, 0
	v_rcp_f32_e32 v17, v16
	v_nop
	v_xor_b32_e32 v16, 0x80000000, v16
	s_delay_alu instid0(TRANS32_DEP_1) | instid1(VALU_DEP_1)
	v_fma_f32 v18, v16, v17, 1.0
	s_delay_alu instid0(VALU_DEP_1) | instskip(NEXT) | instid1(VALU_DEP_1)
	v_fmac_f32_e32 v17, v18, v17
	v_mul_f32_e32 v18, v19, v17
	s_delay_alu instid0(VALU_DEP_1) | instskip(NEXT) | instid1(VALU_DEP_1)
	v_fma_f32 v20, v16, v18, v19
	v_fmac_f32_e32 v18, v20, v17
	s_delay_alu instid0(VALU_DEP_1) | instskip(NEXT) | instid1(VALU_DEP_1)
	v_fmac_f32_e32 v19, v16, v18
	v_div_fmas_f32 v16, v19, v17, v18
	s_delay_alu instid0(VALU_DEP_1) | instskip(NEXT) | instid1(VALU_DEP_1)
	v_div_fixup_f32 v16, v16, v3, v2
	v_fma_f32 v17, v2, v16, v3
	s_delay_alu instid0(VALU_DEP_1) | instskip(NEXT) | instid1(VALU_DEP_1)
	v_div_scale_f32 v18, null, v17, v17, 1.0
	v_rcp_f32_e32 v19, v18
	v_nop
	v_xor_b32_e32 v18, 0x80000000, v18
	s_delay_alu instid0(TRANS32_DEP_1) | instid1(VALU_DEP_1)
	v_fma_f32 v20, v18, v19, 1.0
	s_delay_alu instid0(VALU_DEP_1) | instskip(SKIP_1) | instid1(VALU_DEP_1)
	v_fmac_f32_e32 v19, v20, v19
	v_div_scale_f32 v20, vcc_lo, 1.0, v17, 1.0
	v_mul_f32_e32 v21, v20, v19
	s_delay_alu instid0(VALU_DEP_1) | instskip(NEXT) | instid1(VALU_DEP_1)
	v_fma_f32 v22, v18, v21, v20
	v_fmac_f32_e32 v21, v22, v19
	s_delay_alu instid0(VALU_DEP_1) | instskip(NEXT) | instid1(VALU_DEP_1)
	v_dual_fmac_f32 v20, v18, v21 :: v_dual_mov_b32 v18, v1
	v_div_fmas_f32 v20, v20, v19, v21
	s_delay_alu instid0(VALU_DEP_2) | instskip(NEXT) | instid1(VALU_DEP_2)
	v_pk_fma_f32 v[18:19], v[16:17], v[0:1], v[18:19]
	v_div_fixup_f32 v19, v20, v17, 1.0
	s_delay_alu instid0(VALU_DEP_1) | instskip(NEXT) | instid1(VALU_DEP_1)
	v_dual_fma_f32 v17, v16, v1, -v0 :: v_dual_mov_b32 v16, v19
	v_pk_mul_f32 v[16:17], v[18:19], v[16:17]
.LBB177_41:                             ;   in Loop: Header=BB177_25 Depth=2
	s_and_not1_b32 vcc_lo, exec_lo, s30
	s_cbranch_vccnz .LBB177_43
; %bb.42:                               ;   in Loop: Header=BB177_25 Depth=2
	v_div_scale_f32 v16, null, v2, v2, v3
	v_div_scale_f32 v19, vcc_lo, v3, v2, v3
	s_delay_alu instid0(VALU_DEP_2)
	v_rcp_f32_e32 v17, v16
	v_nop
	v_xor_b32_e32 v16, 0x80000000, v16
	s_delay_alu instid0(TRANS32_DEP_1) | instid1(VALU_DEP_1)
	v_fma_f32 v18, v16, v17, 1.0
	s_delay_alu instid0(VALU_DEP_1) | instskip(NEXT) | instid1(VALU_DEP_1)
	v_fmac_f32_e32 v17, v18, v17
	v_mul_f32_e32 v18, v19, v17
	s_delay_alu instid0(VALU_DEP_1) | instskip(NEXT) | instid1(VALU_DEP_1)
	v_fma_f32 v20, v16, v18, v19
	v_fmac_f32_e32 v18, v20, v17
	s_delay_alu instid0(VALU_DEP_1) | instskip(NEXT) | instid1(VALU_DEP_1)
	v_fmac_f32_e32 v19, v16, v18
	v_div_fmas_f32 v16, v19, v17, v18
	s_delay_alu instid0(VALU_DEP_1) | instskip(NEXT) | instid1(VALU_DEP_1)
	v_div_fixup_f32 v16, v16, v2, v3
	v_fma_f32 v17, v3, v16, v2
	s_delay_alu instid0(VALU_DEP_1) | instskip(SKIP_1) | instid1(VALU_DEP_2)
	v_div_scale_f32 v2, null, v17, v17, 1.0
	v_div_scale_f32 v19, vcc_lo, 1.0, v17, 1.0
	v_rcp_f32_e32 v3, v2
	v_nop
	v_xor_b32_e32 v2, 0x80000000, v2
	s_delay_alu instid0(TRANS32_DEP_1) | instid1(VALU_DEP_1)
	v_fma_f32 v18, v2, v3, 1.0
	s_delay_alu instid0(VALU_DEP_1) | instskip(NEXT) | instid1(VALU_DEP_1)
	v_fmac_f32_e32 v3, v18, v3
	v_mul_f32_e32 v18, v19, v3
	s_delay_alu instid0(VALU_DEP_1) | instskip(NEXT) | instid1(VALU_DEP_1)
	v_fma_f32 v20, v2, v18, v19
	v_fmac_f32_e32 v18, v20, v3
	s_delay_alu instid0(VALU_DEP_1) | instskip(NEXT) | instid1(VALU_DEP_1)
	v_fmac_f32_e32 v19, v2, v18
	v_div_fmas_f32 v18, v19, v3, v18
	v_pk_fma_f32 v[2:3], v[16:17], v[0:1], v[0:1] op_sel:[0,1,0] op_sel_hi:[0,0,1] neg_lo:[1,0,0] neg_hi:[1,0,0]
	v_pk_fma_f32 v[0:1], v[16:17], v[0:1], v[0:1] op_sel:[0,1,0] op_sel_hi:[1,0,1]
	s_delay_alu instid0(VALU_DEP_3) | instskip(NEXT) | instid1(VALU_DEP_3)
	v_div_fixup_f32 v2, v18, v17, 1.0
	v_mov_b32_e32 v1, v3
	s_delay_alu instid0(VALU_DEP_1)
	v_pk_mul_f32 v[16:17], v[0:1], v[2:3] op_sel_hi:[1,0]
.LBB177_43:                             ;   in Loop: Header=BB177_25 Depth=2
	s_add_co_i32 s30, s18, 4
	s_add_co_i32 s18, s18, 7
	;; [unrolled: 1-line block ×3, first 2 shown]
	s_cmp_ge_i32 s18, s37
	ds_store_b64 v27, v[16:17]
	s_cbranch_scc1 .LBB177_45
; %bb.44:                               ;   in Loop: Header=BB177_25 Depth=2
	s_mov_b32 s18, s30
	s_branch .LBB177_25
.LBB177_45:                             ;   in Loop: Header=BB177_3 Depth=1
	s_cmp_ge_i32 s30, s37
	s_cbranch_scc1 .LBB177_54
; %bb.46:                               ;   in Loop: Header=BB177_3 Depth=1
	s_lshl_b32 s3, s30, 3
	s_branch .LBB177_48
.LBB177_47:                             ;   in Loop: Header=BB177_48 Depth=2
	s_add_co_i32 s30, s30, 1
	s_add_co_i32 s3, s3, 8
	s_cmp_ge_i32 s30, s37
	ds_store_b64 v18, v[16:17]
	s_cbranch_scc1 .LBB177_54
.LBB177_48:                             ;   Parent Loop BB177_3 Depth=1
                                        ; =>  This Loop Header: Depth=2
                                        ;       Child Loop BB177_49 Depth 3
	s_lshl_b32 s18, s30, 9
	s_cmp_eq_u32 s30, 0
	v_dual_add_nc_u32 v18, s18, v24 :: v_dual_mov_b32 v2, v24
	s_mov_b32 s31, s3
	s_mov_b32 s34, s30
	ds_load_b64 v[0:1], v18
	s_cbranch_scc1 .LBB177_50
.LBB177_49:                             ;   Parent Loop BB177_3 Depth=1
                                        ;     Parent Loop BB177_48 Depth=2
                                        ; =>    This Inner Loop Header: Depth=3
	v_mov_b32_e32 v3, s31
	s_add_co_i32 s34, s34, -1
	s_addk_co_i32 s31, 0x200
	s_cmp_eq_u32 s34, 0
	ds_load_b64 v[16:17], v2
	ds_load_b64 v[20:21], v3
	v_add_nc_u32_e32 v2, 0x200, v2
	s_wait_dscnt 0x0
	v_pk_mul_f32 v[22:23], v[20:21], v[16:17] op_sel:[1,1] op_sel_hi:[0,1]
	s_delay_alu instid0(VALU_DEP_1) | instskip(SKIP_1) | instid1(VALU_DEP_2)
	v_pk_fma_f32 v[28:29], v[20:21], v[16:17], v[22:23] op_sel_hi:[1,0,1]
	v_pk_fma_f32 v[16:17], v[20:21], v[16:17], v[22:23] op_sel_hi:[1,0,1] neg_lo:[0,0,1] neg_hi:[0,0,1]
	v_mov_b32_e32 v17, v29
	s_delay_alu instid0(VALU_DEP_1)
	v_pk_add_f32 v[0:1], v[0:1], v[16:17] neg_lo:[0,1] neg_hi:[0,1]
	s_cbranch_scc0 .LBB177_49
.LBB177_50:                             ;   in Loop: Header=BB177_48 Depth=2
	s_lshl_b32 s31, s30, 3
	s_delay_alu instid0(SALU_CYCLE_1) | instskip(NEXT) | instid1(SALU_CYCLE_1)
	s_add_co_i32 s18, s31, s18
	v_mov_b32_e32 v2, s18
	s_mov_b32 s18, -1
	ds_load_b64 v[2:3], v2
	s_wait_dscnt 0x0
	v_and_b32_e32 v16, 0x7fffffff, v2
	v_and_b32_e32 v17, 0x7fffffff, v3
	s_delay_alu instid0(VALU_DEP_1)
	v_cmp_ngt_f32_e32 vcc_lo, v16, v17
                                        ; implicit-def: $vgpr16_vgpr17
	s_cbranch_vccz .LBB177_52
; %bb.51:                               ;   in Loop: Header=BB177_48 Depth=2
	v_div_scale_f32 v16, null, v3, v3, v2
	v_div_scale_f32 v20, vcc_lo, v2, v3, v2
	s_mov_b32 s18, 0
	v_rcp_f32_e32 v17, v16
	v_nop
	v_xor_b32_e32 v16, 0x80000000, v16
	s_delay_alu instid0(TRANS32_DEP_1) | instid1(VALU_DEP_1)
	v_fma_f32 v19, v16, v17, 1.0
	s_delay_alu instid0(VALU_DEP_1) | instskip(NEXT) | instid1(VALU_DEP_1)
	v_fmac_f32_e32 v17, v19, v17
	v_mul_f32_e32 v19, v20, v17
	s_delay_alu instid0(VALU_DEP_1) | instskip(NEXT) | instid1(VALU_DEP_1)
	v_fma_f32 v21, v16, v19, v20
	v_fmac_f32_e32 v19, v21, v17
	s_delay_alu instid0(VALU_DEP_1) | instskip(NEXT) | instid1(VALU_DEP_1)
	v_fmac_f32_e32 v20, v16, v19
	v_div_fmas_f32 v16, v20, v17, v19
	s_delay_alu instid0(VALU_DEP_1) | instskip(NEXT) | instid1(VALU_DEP_1)
	v_div_fixup_f32 v16, v16, v3, v2
	v_fma_f32 v19, v2, v16, v3
	s_delay_alu instid0(VALU_DEP_1) | instskip(SKIP_1) | instid1(VALU_DEP_2)
	v_div_scale_f32 v17, null, v19, v19, 1.0
	v_div_scale_f32 v22, vcc_lo, 1.0, v19, 1.0
	v_rcp_f32_e32 v20, v17
	v_nop
	v_xor_b32_e32 v17, 0x80000000, v17
	s_delay_alu instid0(TRANS32_DEP_1) | instid1(VALU_DEP_1)
	v_fma_f32 v21, v17, v20, 1.0
	s_delay_alu instid0(VALU_DEP_1) | instskip(NEXT) | instid1(VALU_DEP_1)
	v_fmac_f32_e32 v20, v21, v20
	v_mul_f32_e32 v21, v22, v20
	s_delay_alu instid0(VALU_DEP_1) | instskip(NEXT) | instid1(VALU_DEP_1)
	v_fma_f32 v23, v17, v21, v22
	v_fmac_f32_e32 v21, v23, v20
	s_delay_alu instid0(VALU_DEP_1) | instskip(NEXT) | instid1(VALU_DEP_1)
	v_fmac_f32_e32 v22, v17, v21
	v_div_fmas_f32 v22, v22, v20, v21
	v_pk_fma_f32 v[20:21], v[0:1], v[16:17], v[0:1] op_sel:[0,0,1] op_sel_hi:[1,0,0] neg_lo:[0,0,1] neg_hi:[0,0,1]
	v_pk_fma_f32 v[16:17], v[0:1], v[16:17], v[0:1] op_sel:[0,0,1] op_sel_hi:[1,0,0]
	s_delay_alu instid0(VALU_DEP_3) | instskip(NEXT) | instid1(VALU_DEP_3)
	v_div_fixup_f32 v20, v22, v19, 1.0
	v_mov_b32_e32 v17, v21
	s_delay_alu instid0(VALU_DEP_1)
	v_pk_mul_f32 v[16:17], v[16:17], v[20:21] op_sel_hi:[1,0]
.LBB177_52:                             ;   in Loop: Header=BB177_48 Depth=2
	s_and_not1_b32 vcc_lo, exec_lo, s18
	s_cbranch_vccnz .LBB177_47
; %bb.53:                               ;   in Loop: Header=BB177_48 Depth=2
	v_div_scale_f32 v16, null, v2, v2, v3
	v_div_scale_f32 v20, vcc_lo, v3, v2, v3
	s_delay_alu instid0(VALU_DEP_2)
	v_rcp_f32_e32 v17, v16
	v_nop
	v_xor_b32_e32 v16, 0x80000000, v16
	s_delay_alu instid0(TRANS32_DEP_1) | instid1(VALU_DEP_1)
	v_fma_f32 v19, v16, v17, 1.0
	s_delay_alu instid0(VALU_DEP_1) | instskip(NEXT) | instid1(VALU_DEP_1)
	v_fmac_f32_e32 v17, v19, v17
	v_mul_f32_e32 v19, v20, v17
	s_delay_alu instid0(VALU_DEP_1) | instskip(NEXT) | instid1(VALU_DEP_1)
	v_fma_f32 v21, v16, v19, v20
	v_fmac_f32_e32 v19, v21, v17
	s_delay_alu instid0(VALU_DEP_1) | instskip(NEXT) | instid1(VALU_DEP_1)
	v_fmac_f32_e32 v20, v16, v19
	v_div_fmas_f32 v16, v20, v17, v19
	s_delay_alu instid0(VALU_DEP_1) | instskip(NEXT) | instid1(VALU_DEP_1)
	v_div_fixup_f32 v16, v16, v2, v3
	v_fmac_f32_e32 v2, v3, v16
	s_delay_alu instid0(VALU_DEP_1) | instskip(SKIP_1) | instid1(VALU_DEP_2)
	v_div_scale_f32 v3, null, v2, v2, 1.0
	v_div_scale_f32 v20, vcc_lo, 1.0, v2, 1.0
	v_rcp_f32_e32 v17, v3
	v_nop
	v_xor_b32_e32 v3, 0x80000000, v3
	s_delay_alu instid0(TRANS32_DEP_1) | instid1(VALU_DEP_1)
	v_fma_f32 v19, v3, v17, 1.0
	s_delay_alu instid0(VALU_DEP_1) | instskip(NEXT) | instid1(VALU_DEP_1)
	v_fmac_f32_e32 v17, v19, v17
	v_mul_f32_e32 v19, v20, v17
	s_delay_alu instid0(VALU_DEP_1) | instskip(NEXT) | instid1(VALU_DEP_1)
	v_fma_f32 v21, v3, v19, v20
	v_fmac_f32_e32 v19, v21, v17
	s_delay_alu instid0(VALU_DEP_1) | instskip(NEXT) | instid1(VALU_DEP_1)
	v_fmac_f32_e32 v20, v3, v19
	v_div_fmas_f32 v3, v20, v17, v19
	v_pk_fma_f32 v[20:21], v[0:1], v[16:17], v[0:1] op_sel:[1,0,0] op_sel_hi:[0,0,1] neg_lo:[1,0,0] neg_hi:[1,0,0]
	v_pk_fma_f32 v[0:1], v[0:1], v[16:17], v[0:1] op_sel:[1,0,0] op_sel_hi:[0,0,1]
	s_delay_alu instid0(VALU_DEP_3) | instskip(NEXT) | instid1(VALU_DEP_3)
	v_div_fixup_f32 v2, v3, v2, 1.0
	v_mov_b32_e32 v1, v21
	s_delay_alu instid0(VALU_DEP_1)
	v_pk_mul_f32 v[16:17], v[0:1], v[2:3] op_sel_hi:[1,0]
	s_branch .LBB177_47
.LBB177_54:                             ;   in Loop: Header=BB177_3 Depth=1
	s_mov_b32 s3, 0
.LBB177_55:                             ;   in Loop: Header=BB177_3 Depth=1
	s_delay_alu instid0(SALU_CYCLE_1)
	s_and_b32 vcc_lo, exec_lo, s3
	s_cbranch_vccz .LBB177_86
; %bb.56:                               ;   in Loop: Header=BB177_3 Depth=1
	s_mov_b32 s30, s38
	s_and_not1_b32 vcc_lo, exec_lo, s42
	s_mov_b32 s3, s1
	s_mov_b32 s18, s38
	s_cbranch_vccnz .LBB177_77
.LBB177_57:                             ;   Parent Loop BB177_3 Depth=1
                                        ; =>  This Loop Header: Depth=2
                                        ;       Child Loop BB177_58 Depth 3
	s_add_co_i32 s50, s18, -1
	s_add_co_i32 s31, s18, -3
	v_lshl_add_u32 v30, s18, 9, v24
	s_add_co_i32 s49, s18, -2
	v_lshl_add_u32 v29, s50, 9, v24
	s_lshl_b32 s30, s31, 9
	v_lshl_add_u32 v28, s49, 9, v24
	v_dual_mov_b32 v16, v5 :: v_dual_add_nc_u32 v27, s30, v24
	ds_load_b64 v[20:21], v30
	ds_load_b64 v[18:19], v29
	;; [unrolled: 1-line block ×4, first 2 shown]
	s_cmp_le_i32 s38, s18
	s_mov_b32 s34, s3
	s_mov_b32 s35, s38
	s_cbranch_scc1 .LBB177_59
.LBB177_58:                             ;   Parent Loop BB177_3 Depth=1
                                        ;     Parent Loop BB177_57 Depth=2
                                        ; =>    This Inner Loop Header: Depth=3
	s_add_co_i32 s51, s34, 0xfffffdf0
	s_add_co_i32 s52, s34, 0xfffffde0
	s_delay_alu instid0(SALU_CYCLE_1)
	v_dual_mov_b32 v17, s51 :: v_dual_mov_b32 v31, s52
	ds_load_b64 v[22:23], v16
	s_add_co_i32 s35, s35, -1
	s_addk_co_i32 s34, 0xfe00
	ds_load_2addr_b64 v[32:35], v17 offset1:1
	ds_load_2addr_b64 v[36:39], v31 offset1:1
	v_add_nc_u32_e32 v16, 0xfffffe00, v16
	s_cmp_le_i32 s35, s18
	s_wait_dscnt 0x1
	v_dual_mul_f32 v17, v35, v23 :: v_dual_mul_f32 v31, v34, v23
	v_dual_mul_f32 v44, v33, v23 :: v_dual_mul_f32 v45, v33, v22
	s_wait_dscnt 0x0
	v_pk_mul_f32 v[40:41], v[38:39], v[22:23] op_sel:[0,1]
	v_pk_mul_f32 v[42:43], v[36:37], v[22:23] op_sel:[0,1]
	v_dual_fma_f32 v17, v34, v22, -v17 :: v_dual_fmac_f32 v31, v35, v22
	v_dual_fma_f32 v44, v32, v22, -v44 :: v_dual_fmac_f32 v45, v32, v23
	s_delay_alu instid0(VALU_DEP_4) | instskip(NEXT) | instid1(VALU_DEP_4)
	v_pk_fma_f32 v[32:33], v[38:39], v[22:23], v[40:41] op_sel:[0,0,1] op_sel_hi:[1,0,0]
	v_pk_fma_f32 v[34:35], v[36:37], v[22:23], v[42:43] op_sel:[0,0,1] op_sel_hi:[1,0,0]
	v_pk_fma_f32 v[38:39], v[38:39], v[22:23], v[40:41] op_sel:[0,0,1] op_sel_hi:[1,1,0] neg_lo:[0,0,1] neg_hi:[0,0,1]
	v_pk_fma_f32 v[22:23], v[36:37], v[22:23], v[42:43] op_sel:[0,0,1] op_sel_hi:[1,1,0] neg_lo:[0,0,1] neg_hi:[0,0,1]
	s_delay_alu instid0(VALU_DEP_4) | instskip(NEXT) | instid1(VALU_DEP_4)
	v_dual_sub_f32 v20, v20, v17 :: v_dual_mov_b32 v39, v33
	v_dual_mov_b32 v23, v35 :: v_dual_sub_f32 v21, v21, v31
	v_dual_sub_f32 v18, v18, v44 :: v_dual_sub_f32 v19, v19, v45
	s_delay_alu instid0(VALU_DEP_3) | instskip(NEXT) | instid1(VALU_DEP_3)
	v_pk_add_f32 v[2:3], v[2:3], v[38:39] neg_lo:[0,1] neg_hi:[0,1]
	v_pk_add_f32 v[0:1], v[0:1], v[22:23] neg_lo:[0,1] neg_hi:[0,1]
	s_cbranch_scc0 .LBB177_58
.LBB177_59:                             ;   in Loop: Header=BB177_57 Depth=2
	s_lshl_b32 s34, s18, 3
	s_lshl_b32 s35, s18, 9
	s_mov_b32 s51, -1
	s_add_co_i32 s35, s34, s35
	s_delay_alu instid0(SALU_CYCLE_1) | instskip(SKIP_4) | instid1(VALU_DEP_1)
	v_mov_b32_e32 v16, s35
	ds_load_b64 v[22:23], v16
	s_wait_dscnt 0x0
	v_and_b32_e32 v16, 0x7fffffff, v22
	v_and_b32_e32 v17, 0x7fffffff, v23
	v_cmp_ngt_f32_e32 vcc_lo, v16, v17
                                        ; implicit-def: $vgpr17
	s_cbranch_vccz .LBB177_61
; %bb.60:                               ;   in Loop: Header=BB177_57 Depth=2
	v_div_scale_f32 v16, null, v23, v23, v22
	v_div_scale_f32 v32, vcc_lo, v22, v23, v22
	s_mov_b32 s51, 0
	v_rcp_f32_e32 v17, v16
	v_nop
	v_xor_b32_e32 v16, 0x80000000, v16
	s_delay_alu instid0(TRANS32_DEP_1) | instid1(VALU_DEP_1)
	v_fma_f32 v31, v16, v17, 1.0
	s_delay_alu instid0(VALU_DEP_1) | instskip(NEXT) | instid1(VALU_DEP_1)
	v_fmac_f32_e32 v17, v31, v17
	v_mul_f32_e32 v31, v32, v17
	s_delay_alu instid0(VALU_DEP_1) | instskip(NEXT) | instid1(VALU_DEP_1)
	v_fma_f32 v33, v16, v31, v32
	v_fmac_f32_e32 v31, v33, v17
	s_delay_alu instid0(VALU_DEP_1) | instskip(NEXT) | instid1(VALU_DEP_1)
	v_fmac_f32_e32 v32, v16, v31
	v_div_fmas_f32 v16, v32, v17, v31
	s_delay_alu instid0(VALU_DEP_1) | instskip(NEXT) | instid1(VALU_DEP_1)
	v_div_fixup_f32 v16, v16, v23, v22
	v_fma_f32 v17, v22, v16, v23
	s_delay_alu instid0(VALU_DEP_1) | instskip(SKIP_1) | instid1(VALU_DEP_2)
	v_div_scale_f32 v31, null, v17, v17, 1.0
	v_div_scale_f32 v34, vcc_lo, 1.0, v17, 1.0
	v_rcp_f32_e32 v32, v31
	v_nop
	v_xor_b32_e32 v31, 0x80000000, v31
	s_delay_alu instid0(TRANS32_DEP_1) | instid1(VALU_DEP_1)
	v_fma_f32 v33, v31, v32, 1.0
	s_delay_alu instid0(VALU_DEP_1) | instskip(NEXT) | instid1(VALU_DEP_1)
	v_fmac_f32_e32 v32, v33, v32
	v_mul_f32_e32 v33, v34, v32
	s_delay_alu instid0(VALU_DEP_1) | instskip(NEXT) | instid1(VALU_DEP_1)
	v_fma_f32 v35, v31, v33, v34
	v_fmac_f32_e32 v33, v35, v32
	s_delay_alu instid0(VALU_DEP_1) | instskip(NEXT) | instid1(VALU_DEP_1)
	v_fmac_f32_e32 v34, v31, v33
	v_div_fmas_f32 v31, v34, v32, v33
	v_fma_f32 v32, v20, v16, v21
	s_delay_alu instid0(VALU_DEP_2) | instskip(NEXT) | instid1(VALU_DEP_1)
	v_div_fixup_f32 v17, v31, v17, 1.0
	v_dual_fma_f32 v31, v21, v16, -v20 :: v_dual_mul_f32 v16, v32, v17
	s_delay_alu instid0(VALU_DEP_1)
	v_mul_f32_e32 v17, v31, v17
.LBB177_61:                             ;   in Loop: Header=BB177_57 Depth=2
	s_and_not1_b32 vcc_lo, exec_lo, s51
	s_cbranch_vccnz .LBB177_63
; %bb.62:                               ;   in Loop: Header=BB177_57 Depth=2
	v_div_scale_f32 v16, null, v22, v22, v23
	v_div_scale_f32 v32, vcc_lo, v23, v22, v23
	s_delay_alu instid0(VALU_DEP_2)
	v_rcp_f32_e32 v17, v16
	v_nop
	v_xor_b32_e32 v16, 0x80000000, v16
	s_delay_alu instid0(TRANS32_DEP_1) | instid1(VALU_DEP_1)
	v_fma_f32 v31, v16, v17, 1.0
	s_delay_alu instid0(VALU_DEP_1) | instskip(NEXT) | instid1(VALU_DEP_1)
	v_fmac_f32_e32 v17, v31, v17
	v_mul_f32_e32 v31, v32, v17
	s_delay_alu instid0(VALU_DEP_1) | instskip(NEXT) | instid1(VALU_DEP_1)
	v_fma_f32 v33, v16, v31, v32
	v_fmac_f32_e32 v31, v33, v17
	s_delay_alu instid0(VALU_DEP_1) | instskip(NEXT) | instid1(VALU_DEP_1)
	v_fmac_f32_e32 v32, v16, v31
	v_div_fmas_f32 v16, v32, v17, v31
	s_delay_alu instid0(VALU_DEP_1) | instskip(NEXT) | instid1(VALU_DEP_1)
	v_div_fixup_f32 v16, v16, v22, v23
	v_fmac_f32_e32 v22, v23, v16
	s_delay_alu instid0(VALU_DEP_1) | instskip(SKIP_1) | instid1(VALU_DEP_2)
	v_div_scale_f32 v17, null, v22, v22, 1.0
	v_div_scale_f32 v32, vcc_lo, 1.0, v22, 1.0
	v_rcp_f32_e32 v23, v17
	v_nop
	v_xor_b32_e32 v17, 0x80000000, v17
	s_delay_alu instid0(TRANS32_DEP_1) | instid1(VALU_DEP_1)
	v_fma_f32 v31, v17, v23, 1.0
	s_delay_alu instid0(VALU_DEP_1) | instskip(NEXT) | instid1(VALU_DEP_1)
	v_fmac_f32_e32 v23, v31, v23
	v_mul_f32_e32 v31, v32, v23
	s_delay_alu instid0(VALU_DEP_1) | instskip(NEXT) | instid1(VALU_DEP_1)
	v_fma_f32 v33, v17, v31, v32
	v_fmac_f32_e32 v31, v33, v23
	s_delay_alu instid0(VALU_DEP_1) | instskip(NEXT) | instid1(VALU_DEP_1)
	v_fmac_f32_e32 v32, v17, v31
	v_div_fmas_f32 v17, v32, v23, v31
	v_dual_fma_f32 v23, v21, v16, v20 :: v_dual_fma_f32 v20, -v20, v16, v21
	s_delay_alu instid0(VALU_DEP_2) | instskip(NEXT) | instid1(VALU_DEP_1)
	v_div_fixup_f32 v17, v17, v22, 1.0
	v_dual_mul_f32 v16, v23, v17 :: v_dual_mul_f32 v17, v20, v17
.LBB177_63:                             ;   in Loop: Header=BB177_57 Depth=2
	s_lshl_b32 s51, s50, 9
	s_add_co_i32 s52, s35, -8
	s_add_co_i32 s51, s34, s51
	s_delay_alu instid0(SALU_CYCLE_1) | instskip(NEXT) | instid1(SALU_CYCLE_1)
	s_add_co_i32 s51, s51, -8
	v_dual_mov_b32 v20, s52 :: v_dual_mov_b32 v21, s51
	s_mov_b32 s52, -1
	ds_load_b64 v[22:23], v20
	ds_load_b64 v[20:21], v21
	ds_store_b64 v30, v[16:17]
	s_wait_dscnt 0x2
	v_dual_mul_f32 v31, v17, v23 :: v_dual_mul_f32 v23, v16, v23
	s_wait_dscnt 0x1
	v_and_b32_e32 v32, 0x7fffffff, v20
	v_and_b32_e32 v33, 0x7fffffff, v21
	s_delay_alu instid0(VALU_DEP_3) | instskip(SKIP_1) | instid1(VALU_DEP_3)
	v_fmac_f32_e32 v23, v17, v22
	v_fma_f32 v31, v16, v22, -v31
	v_cmp_ngt_f32_e32 vcc_lo, v32, v33
	s_delay_alu instid0(VALU_DEP_3) | instskip(NEXT) | instid1(VALU_DEP_3)
	v_sub_f32_e32 v23, v19, v23
	v_sub_f32_e32 v22, v18, v31
                                        ; implicit-def: $vgpr19
	s_cbranch_vccz .LBB177_65
; %bb.64:                               ;   in Loop: Header=BB177_57 Depth=2
	v_div_scale_f32 v18, null, v21, v21, v20
	v_div_scale_f32 v31, vcc_lo, v20, v21, v20
	s_mov_b32 s52, 0
	v_rcp_f32_e32 v19, v18
	v_nop
	v_xor_b32_e32 v18, 0x80000000, v18
	s_delay_alu instid0(TRANS32_DEP_1) | instid1(VALU_DEP_1)
	v_fma_f32 v30, v18, v19, 1.0
	s_delay_alu instid0(VALU_DEP_1) | instskip(NEXT) | instid1(VALU_DEP_1)
	v_fmac_f32_e32 v19, v30, v19
	v_mul_f32_e32 v30, v31, v19
	s_delay_alu instid0(VALU_DEP_1) | instskip(NEXT) | instid1(VALU_DEP_1)
	v_fma_f32 v32, v18, v30, v31
	v_fmac_f32_e32 v30, v32, v19
	s_delay_alu instid0(VALU_DEP_1) | instskip(NEXT) | instid1(VALU_DEP_1)
	v_fmac_f32_e32 v31, v18, v30
	v_div_fmas_f32 v18, v31, v19, v30
	s_delay_alu instid0(VALU_DEP_1) | instskip(NEXT) | instid1(VALU_DEP_1)
	v_div_fixup_f32 v18, v18, v21, v20
	v_fma_f32 v19, v20, v18, v21
	s_delay_alu instid0(VALU_DEP_1) | instskip(SKIP_1) | instid1(VALU_DEP_2)
	v_div_scale_f32 v30, null, v19, v19, 1.0
	v_div_scale_f32 v33, vcc_lo, 1.0, v19, 1.0
	v_rcp_f32_e32 v31, v30
	v_nop
	v_xor_b32_e32 v30, 0x80000000, v30
	s_delay_alu instid0(TRANS32_DEP_1) | instid1(VALU_DEP_1)
	v_fma_f32 v32, v30, v31, 1.0
	s_delay_alu instid0(VALU_DEP_1) | instskip(NEXT) | instid1(VALU_DEP_1)
	v_fmac_f32_e32 v31, v32, v31
	v_mul_f32_e32 v32, v33, v31
	s_delay_alu instid0(VALU_DEP_1) | instskip(NEXT) | instid1(VALU_DEP_1)
	v_fma_f32 v34, v30, v32, v33
	v_fmac_f32_e32 v32, v34, v31
	s_delay_alu instid0(VALU_DEP_1) | instskip(NEXT) | instid1(VALU_DEP_1)
	v_fmac_f32_e32 v33, v30, v32
	v_div_fmas_f32 v30, v33, v31, v32
	v_fma_f32 v31, v18, v22, v23
	s_delay_alu instid0(VALU_DEP_2) | instskip(SKIP_1) | instid1(VALU_DEP_1)
	v_div_fixup_f32 v19, v30, v19, 1.0
	v_fma_f32 v30, v18, v23, -v22
	v_dual_mul_f32 v18, v31, v19 :: v_dual_mul_f32 v19, v30, v19
.LBB177_65:                             ;   in Loop: Header=BB177_57 Depth=2
	s_and_not1_b32 vcc_lo, exec_lo, s52
	s_cbranch_vccnz .LBB177_67
; %bb.66:                               ;   in Loop: Header=BB177_57 Depth=2
	v_div_scale_f32 v18, null, v20, v20, v21
	v_div_scale_f32 v31, vcc_lo, v21, v20, v21
	s_delay_alu instid0(VALU_DEP_2)
	v_rcp_f32_e32 v19, v18
	v_nop
	v_xor_b32_e32 v18, 0x80000000, v18
	s_delay_alu instid0(TRANS32_DEP_1) | instid1(VALU_DEP_1)
	v_fma_f32 v30, v18, v19, 1.0
	s_delay_alu instid0(VALU_DEP_1) | instskip(NEXT) | instid1(VALU_DEP_1)
	v_fmac_f32_e32 v19, v30, v19
	v_mul_f32_e32 v30, v31, v19
	s_delay_alu instid0(VALU_DEP_1) | instskip(NEXT) | instid1(VALU_DEP_1)
	v_fma_f32 v32, v18, v30, v31
	v_fmac_f32_e32 v30, v32, v19
	s_delay_alu instid0(VALU_DEP_1) | instskip(NEXT) | instid1(VALU_DEP_1)
	v_fmac_f32_e32 v31, v18, v30
	v_div_fmas_f32 v18, v31, v19, v30
	s_delay_alu instid0(VALU_DEP_1) | instskip(NEXT) | instid1(VALU_DEP_1)
	v_div_fixup_f32 v18, v18, v20, v21
	v_fmac_f32_e32 v20, v21, v18
	s_delay_alu instid0(VALU_DEP_1) | instskip(SKIP_1) | instid1(VALU_DEP_2)
	v_div_scale_f32 v19, null, v20, v20, 1.0
	v_div_scale_f32 v31, vcc_lo, 1.0, v20, 1.0
	v_rcp_f32_e32 v21, v19
	v_nop
	v_xor_b32_e32 v19, 0x80000000, v19
	s_delay_alu instid0(TRANS32_DEP_1) | instid1(VALU_DEP_1)
	v_fma_f32 v30, v19, v21, 1.0
	s_delay_alu instid0(VALU_DEP_1) | instskip(NEXT) | instid1(VALU_DEP_1)
	v_fmac_f32_e32 v21, v30, v21
	v_mul_f32_e32 v30, v31, v21
	s_delay_alu instid0(VALU_DEP_1) | instskip(NEXT) | instid1(VALU_DEP_1)
	v_fma_f32 v32, v19, v30, v31
	v_fmac_f32_e32 v30, v32, v21
	s_delay_alu instid0(VALU_DEP_1) | instskip(NEXT) | instid1(VALU_DEP_1)
	v_fmac_f32_e32 v31, v19, v30
	v_div_fmas_f32 v19, v31, v21, v30
	v_fma_f32 v21, v18, v23, v22
	s_delay_alu instid0(VALU_DEP_2) | instskip(NEXT) | instid1(VALU_DEP_1)
	v_div_fixup_f32 v19, v19, v20, 1.0
	v_dual_fma_f32 v20, -v18, v22, v23 :: v_dual_mul_f32 v18, v21, v19
	s_delay_alu instid0(VALU_DEP_1)
	v_mul_f32_e32 v19, v20, v19
.LBB177_67:                             ;   in Loop: Header=BB177_57 Depth=2
	s_add_co_i32 s52, s35, -16
	s_lshl_b32 s50, s50, 3
	v_mov_b32_e32 v20, s52
	s_sub_co_i32 s51, s51, s50
	s_lshl_b32 s50, s49, 3
	s_lshl_b32 s49, s49, 9
	s_add_co_i32 s52, s51, s50
	s_add_co_i32 s49, s34, s49
	v_mov_b32_e32 v21, s52
	ds_load_b64 v[22:23], v20
	s_add_co_i32 s49, s49, -16
	v_mov_b32_e32 v32, v17
	s_mov_b32 s52, -1
	ds_load_b64 v[30:31], v21
	v_mov_b32_e32 v20, s49
	ds_store_b64 v29, v[18:19]
	ds_load_b64 v[20:21], v20
	s_wait_dscnt 0x3
	v_pk_mul_f32 v[32:33], v[32:33], v[22:23] op_sel_hi:[0,1]
	s_delay_alu instid0(VALU_DEP_1) | instskip(SKIP_2) | instid1(VALU_DEP_3)
	v_pk_fma_f32 v[36:37], v[16:17], v[22:23], v[32:33] op_sel:[0,0,1] op_sel_hi:[0,1,0]
	v_mov_b32_e32 v34, v19
	v_pk_fma_f32 v[22:23], v[16:17], v[22:23], v[32:33] op_sel:[0,0,1] op_sel_hi:[1,1,0] neg_lo:[0,0,1] neg_hi:[0,0,1]
	v_mov_b32_e32 v23, v37
	s_wait_dscnt 0x2
	s_delay_alu instid0(VALU_DEP_3) | instskip(SKIP_3) | instid1(VALU_DEP_3)
	v_pk_mul_f32 v[34:35], v[34:35], v[30:31] op_sel_hi:[0,1]
	s_wait_dscnt 0x0
	v_and_b32_e32 v36, 0x7fffffff, v21
	v_pk_add_f32 v[2:3], v[2:3], v[22:23] neg_lo:[0,1] neg_hi:[0,1]
	v_pk_fma_f32 v[32:33], v[18:19], v[30:31], v[34:35] op_sel:[0,0,1] op_sel_hi:[0,1,0]
	v_and_b32_e32 v32, 0x7fffffff, v20
	v_pk_fma_f32 v[30:31], v[18:19], v[30:31], v[34:35] op_sel:[0,0,1] op_sel_hi:[1,1,0] neg_lo:[0,0,1] neg_hi:[0,0,1]
                                        ; implicit-def: $vgpr22_vgpr23
	s_delay_alu instid0(VALU_DEP_3) | instskip(NEXT) | instid1(VALU_DEP_3)
	v_mov_b32_e32 v31, v33
	v_cmp_ngt_f32_e32 vcc_lo, v32, v36
	s_delay_alu instid0(VALU_DEP_2)
	v_pk_add_f32 v[2:3], v[2:3], v[30:31] neg_lo:[0,1] neg_hi:[0,1]
	s_cbranch_vccz .LBB177_69
; %bb.68:                               ;   in Loop: Header=BB177_57 Depth=2
	v_div_scale_f32 v22, null, v21, v21, v20
	v_div_scale_f32 v30, vcc_lo, v20, v21, v20
	s_mov_b32 s52, 0
	v_rcp_f32_e32 v23, v22
	v_nop
	v_xor_b32_e32 v22, 0x80000000, v22
	s_delay_alu instid0(TRANS32_DEP_1) | instid1(VALU_DEP_1)
	v_fma_f32 v29, v22, v23, 1.0
	s_delay_alu instid0(VALU_DEP_1) | instskip(NEXT) | instid1(VALU_DEP_1)
	v_fmac_f32_e32 v23, v29, v23
	v_mul_f32_e32 v29, v30, v23
	s_delay_alu instid0(VALU_DEP_1) | instskip(NEXT) | instid1(VALU_DEP_1)
	v_fma_f32 v31, v22, v29, v30
	v_fmac_f32_e32 v29, v31, v23
	s_delay_alu instid0(VALU_DEP_1) | instskip(NEXT) | instid1(VALU_DEP_1)
	v_fmac_f32_e32 v30, v22, v29
	v_div_fmas_f32 v22, v30, v23, v29
	s_delay_alu instid0(VALU_DEP_1) | instskip(NEXT) | instid1(VALU_DEP_1)
	v_div_fixup_f32 v22, v22, v21, v20
	v_fma_f32 v23, v20, v22, v21
	s_delay_alu instid0(VALU_DEP_1) | instskip(SKIP_1) | instid1(VALU_DEP_2)
	v_div_scale_f32 v29, null, v23, v23, 1.0
	v_div_scale_f32 v32, vcc_lo, 1.0, v23, 1.0
	v_rcp_f32_e32 v31, v29
	v_nop
	v_xor_b32_e32 v29, 0x80000000, v29
	s_delay_alu instid0(TRANS32_DEP_1) | instid1(VALU_DEP_1)
	v_fma_f32 v30, v29, v31, 1.0
	s_delay_alu instid0(VALU_DEP_1) | instskip(NEXT) | instid1(VALU_DEP_1)
	v_fmac_f32_e32 v31, v30, v31
	v_mul_f32_e32 v33, v32, v31
	s_delay_alu instid0(VALU_DEP_1) | instskip(NEXT) | instid1(VALU_DEP_1)
	v_fma_f32 v30, v29, v33, v32
	v_dual_fmac_f32 v33, v30, v31 :: v_dual_mov_b32 v30, v3
	s_delay_alu instid0(VALU_DEP_1) | instskip(NEXT) | instid1(VALU_DEP_1)
	v_fmac_f32_e32 v32, v29, v33
	v_div_fmas_f32 v29, v32, v31, v33
	s_delay_alu instid0(VALU_DEP_3) | instskip(NEXT) | instid1(VALU_DEP_2)
	v_pk_fma_f32 v[30:31], v[22:23], v[2:3], v[30:31]
	v_div_fixup_f32 v31, v29, v23, 1.0
	s_delay_alu instid0(VALU_DEP_1) | instskip(NEXT) | instid1(VALU_DEP_1)
	v_dual_fma_f32 v23, v22, v3, -v2 :: v_dual_mov_b32 v22, v31
	v_pk_mul_f32 v[22:23], v[30:31], v[22:23]
.LBB177_69:                             ;   in Loop: Header=BB177_57 Depth=2
	s_and_not1_b32 vcc_lo, exec_lo, s52
	s_cbranch_vccnz .LBB177_71
; %bb.70:                               ;   in Loop: Header=BB177_57 Depth=2
	v_div_scale_f32 v22, null, v20, v20, v21
	v_div_scale_f32 v30, vcc_lo, v21, v20, v21
	s_delay_alu instid0(VALU_DEP_2)
	v_rcp_f32_e32 v23, v22
	v_nop
	v_xor_b32_e32 v22, 0x80000000, v22
	s_delay_alu instid0(TRANS32_DEP_1) | instid1(VALU_DEP_1)
	v_fma_f32 v29, v22, v23, 1.0
	s_delay_alu instid0(VALU_DEP_1) | instskip(NEXT) | instid1(VALU_DEP_1)
	v_fmac_f32_e32 v23, v29, v23
	v_mul_f32_e32 v29, v30, v23
	s_delay_alu instid0(VALU_DEP_1) | instskip(NEXT) | instid1(VALU_DEP_1)
	v_fma_f32 v31, v22, v29, v30
	v_fmac_f32_e32 v29, v31, v23
	s_delay_alu instid0(VALU_DEP_1) | instskip(NEXT) | instid1(VALU_DEP_1)
	v_fmac_f32_e32 v30, v22, v29
	v_div_fmas_f32 v22, v30, v23, v29
	s_delay_alu instid0(VALU_DEP_1) | instskip(NEXT) | instid1(VALU_DEP_1)
	v_div_fixup_f32 v22, v22, v20, v21
	v_fmac_f32_e32 v20, v21, v22
	s_delay_alu instid0(VALU_DEP_1) | instskip(SKIP_1) | instid1(VALU_DEP_2)
	v_div_scale_f32 v21, null, v20, v20, 1.0
	v_div_scale_f32 v30, vcc_lo, 1.0, v20, 1.0
	v_rcp_f32_e32 v23, v21
	v_nop
	v_xor_b32_e32 v21, 0x80000000, v21
	s_delay_alu instid0(TRANS32_DEP_1) | instid1(VALU_DEP_1)
	v_fma_f32 v29, v21, v23, 1.0
	s_delay_alu instid0(VALU_DEP_1) | instskip(NEXT) | instid1(VALU_DEP_1)
	v_fmac_f32_e32 v23, v29, v23
	v_mul_f32_e32 v29, v30, v23
	s_delay_alu instid0(VALU_DEP_1) | instskip(NEXT) | instid1(VALU_DEP_1)
	v_fma_f32 v31, v21, v29, v30
	v_fmac_f32_e32 v29, v31, v23
	s_delay_alu instid0(VALU_DEP_1) | instskip(NEXT) | instid1(VALU_DEP_1)
	v_fmac_f32_e32 v30, v21, v29
	v_div_fmas_f32 v21, v30, v23, v29
	v_pk_fma_f32 v[30:31], v[22:23], v[2:3], v[2:3] op_sel:[0,1,0] op_sel_hi:[0,0,1] neg_lo:[1,0,0] neg_hi:[1,0,0]
	v_pk_fma_f32 v[2:3], v[22:23], v[2:3], v[2:3] op_sel:[0,1,0] op_sel_hi:[1,0,1]
	s_delay_alu instid0(VALU_DEP_3) | instskip(NEXT) | instid1(VALU_DEP_3)
	v_div_fixup_f32 v20, v21, v20, 1.0
	v_mov_b32_e32 v3, v31
	s_delay_alu instid0(VALU_DEP_1)
	v_pk_mul_f32 v[22:23], v[2:3], v[20:21] op_sel_hi:[1,0]
.LBB177_71:                             ;   in Loop: Header=BB177_57 Depth=2
	s_sub_co_i32 s35, s35, 24
	s_lshl_b32 s31, s31, 3
	v_mov_b32_e32 v2, s35
	s_add_co_i32 s35, s51, s31
	s_add_co_i32 s34, s34, s30
	v_mov_b32_e32 v3, s35
	s_sub_co_i32 s35, s49, s50
	ds_load_b64 v[20:21], v2
	s_add_co_i32 s31, s35, s31
	v_mov_b32_e32 v34, v17
	ds_load_b64 v[30:31], v3
	v_mov_b32_e32 v2, s31
	s_sub_co_i32 s30, s34, 24
	v_dual_mov_b32 v37, v19 :: v_dual_mov_b32 v35, v17
	v_dual_mov_b32 v17, v16 :: v_dual_mov_b32 v36, v19
	ds_load_b64 v[32:33], v2
	v_dual_mov_b32 v2, s30 :: v_dual_mov_b32 v19, v18
	s_mov_b32 s30, -1
	ds_store_b64 v28, v[22:23]
	ds_load_b64 v[2:3], v2
	s_wait_dscnt 0x4
	v_pk_mul_f32 v[34:35], v[34:35], v[20:21]
	s_wait_dscnt 0x3
	v_pk_mul_f32 v[36:37], v[36:37], v[30:31]
	s_delay_alu instid0(VALU_DEP_2) | instskip(SKIP_1) | instid1(VALU_DEP_3)
	v_pk_fma_f32 v[38:39], v[16:17], v[20:21], v[34:35] op_sel:[0,0,1] op_sel_hi:[1,1,0]
	v_pk_fma_f32 v[16:17], v[16:17], v[20:21], v[34:35] op_sel:[0,0,1] op_sel_hi:[1,1,0] neg_lo:[0,0,1] neg_hi:[0,0,1]
	v_pk_fma_f32 v[20:21], v[18:19], v[30:31], v[36:37] op_sel:[0,0,1] op_sel_hi:[1,1,0]
	v_pk_fma_f32 v[18:19], v[18:19], v[30:31], v[36:37] op_sel:[0,0,1] op_sel_hi:[1,1,0] neg_lo:[0,0,1] neg_hi:[0,0,1]
	s_delay_alu instid0(VALU_DEP_4) | instskip(SKIP_3) | instid1(VALU_DEP_3)
	v_mov_b32_e32 v17, v39
	s_wait_dscnt 0x2
	v_pk_mul_f32 v[34:35], v[22:23], v[32:33] op_sel:[1,1] op_sel_hi:[1,0]
	v_mov_b32_e32 v19, v21
	v_pk_add_f32 v[0:1], v[0:1], v[16:17] neg_lo:[0,1] neg_hi:[0,1]
	s_delay_alu instid0(VALU_DEP_3)
	v_pk_fma_f32 v[16:17], v[22:23], v[32:33], v[34:35] op_sel_hi:[0,1,1]
	s_wait_dscnt 0x0
	v_and_b32_e32 v16, 0x7fffffff, v2
	v_and_b32_e32 v29, 0x7fffffff, v3
	v_pk_fma_f32 v[20:21], v[22:23], v[32:33], v[34:35] neg_lo:[0,0,1] neg_hi:[0,0,1]
	v_pk_add_f32 v[0:1], v[0:1], v[18:19] neg_lo:[0,1] neg_hi:[0,1]
	v_mov_b32_e32 v21, v17
	s_delay_alu instid0(VALU_DEP_4) | instskip(NEXT) | instid1(VALU_DEP_2)
	v_cmp_ngt_f32_e32 vcc_lo, v16, v29
                                        ; implicit-def: $vgpr16_vgpr17
	v_pk_add_f32 v[0:1], v[0:1], v[20:21] neg_lo:[0,1] neg_hi:[0,1]
	s_cbranch_vccz .LBB177_73
; %bb.72:                               ;   in Loop: Header=BB177_57 Depth=2
	v_div_scale_f32 v16, null, v3, v3, v2
	v_div_scale_f32 v19, vcc_lo, v2, v3, v2
	s_mov_b32 s30, 0
	v_rcp_f32_e32 v17, v16
	v_nop
	v_xor_b32_e32 v16, 0x80000000, v16
	s_delay_alu instid0(TRANS32_DEP_1) | instid1(VALU_DEP_1)
	v_fma_f32 v18, v16, v17, 1.0
	s_delay_alu instid0(VALU_DEP_1) | instskip(NEXT) | instid1(VALU_DEP_1)
	v_fmac_f32_e32 v17, v18, v17
	v_mul_f32_e32 v18, v19, v17
	s_delay_alu instid0(VALU_DEP_1) | instskip(NEXT) | instid1(VALU_DEP_1)
	v_fma_f32 v20, v16, v18, v19
	v_fmac_f32_e32 v18, v20, v17
	s_delay_alu instid0(VALU_DEP_1) | instskip(NEXT) | instid1(VALU_DEP_1)
	v_fmac_f32_e32 v19, v16, v18
	v_div_fmas_f32 v16, v19, v17, v18
	s_delay_alu instid0(VALU_DEP_1) | instskip(NEXT) | instid1(VALU_DEP_1)
	v_div_fixup_f32 v16, v16, v3, v2
	v_fma_f32 v17, v2, v16, v3
	s_delay_alu instid0(VALU_DEP_1) | instskip(NEXT) | instid1(VALU_DEP_1)
	v_div_scale_f32 v18, null, v17, v17, 1.0
	v_rcp_f32_e32 v19, v18
	v_nop
	v_xor_b32_e32 v18, 0x80000000, v18
	s_delay_alu instid0(TRANS32_DEP_1) | instid1(VALU_DEP_1)
	v_fma_f32 v20, v18, v19, 1.0
	s_delay_alu instid0(VALU_DEP_1) | instskip(SKIP_1) | instid1(VALU_DEP_1)
	v_fmac_f32_e32 v19, v20, v19
	v_div_scale_f32 v20, vcc_lo, 1.0, v17, 1.0
	v_mul_f32_e32 v21, v20, v19
	s_delay_alu instid0(VALU_DEP_1) | instskip(NEXT) | instid1(VALU_DEP_1)
	v_fma_f32 v22, v18, v21, v20
	v_fmac_f32_e32 v21, v22, v19
	s_delay_alu instid0(VALU_DEP_1) | instskip(NEXT) | instid1(VALU_DEP_1)
	v_dual_fmac_f32 v20, v18, v21 :: v_dual_mov_b32 v18, v1
	v_div_fmas_f32 v20, v20, v19, v21
	s_delay_alu instid0(VALU_DEP_2) | instskip(NEXT) | instid1(VALU_DEP_2)
	v_pk_fma_f32 v[18:19], v[16:17], v[0:1], v[18:19]
	v_div_fixup_f32 v19, v20, v17, 1.0
	s_delay_alu instid0(VALU_DEP_1) | instskip(NEXT) | instid1(VALU_DEP_1)
	v_dual_fma_f32 v17, v16, v1, -v0 :: v_dual_mov_b32 v16, v19
	v_pk_mul_f32 v[16:17], v[18:19], v[16:17]
.LBB177_73:                             ;   in Loop: Header=BB177_57 Depth=2
	s_and_not1_b32 vcc_lo, exec_lo, s30
	s_cbranch_vccnz .LBB177_75
; %bb.74:                               ;   in Loop: Header=BB177_57 Depth=2
	v_div_scale_f32 v16, null, v2, v2, v3
	v_div_scale_f32 v19, vcc_lo, v3, v2, v3
	s_delay_alu instid0(VALU_DEP_2)
	v_rcp_f32_e32 v17, v16
	v_nop
	v_xor_b32_e32 v16, 0x80000000, v16
	s_delay_alu instid0(TRANS32_DEP_1) | instid1(VALU_DEP_1)
	v_fma_f32 v18, v16, v17, 1.0
	s_delay_alu instid0(VALU_DEP_1) | instskip(NEXT) | instid1(VALU_DEP_1)
	v_fmac_f32_e32 v17, v18, v17
	v_mul_f32_e32 v18, v19, v17
	s_delay_alu instid0(VALU_DEP_1) | instskip(NEXT) | instid1(VALU_DEP_1)
	v_fma_f32 v20, v16, v18, v19
	v_fmac_f32_e32 v18, v20, v17
	s_delay_alu instid0(VALU_DEP_1) | instskip(NEXT) | instid1(VALU_DEP_1)
	v_fmac_f32_e32 v19, v16, v18
	v_div_fmas_f32 v16, v19, v17, v18
	s_delay_alu instid0(VALU_DEP_1) | instskip(NEXT) | instid1(VALU_DEP_1)
	v_div_fixup_f32 v16, v16, v2, v3
	v_fmac_f32_e32 v2, v3, v16
	s_delay_alu instid0(VALU_DEP_1) | instskip(SKIP_1) | instid1(VALU_DEP_2)
	v_div_scale_f32 v3, null, v2, v2, 1.0
	v_div_scale_f32 v19, vcc_lo, 1.0, v2, 1.0
	v_rcp_f32_e32 v17, v3
	v_nop
	v_xor_b32_e32 v3, 0x80000000, v3
	s_delay_alu instid0(TRANS32_DEP_1) | instid1(VALU_DEP_1)
	v_fma_f32 v18, v3, v17, 1.0
	s_delay_alu instid0(VALU_DEP_1) | instskip(NEXT) | instid1(VALU_DEP_1)
	v_fmac_f32_e32 v17, v18, v17
	v_mul_f32_e32 v18, v19, v17
	s_delay_alu instid0(VALU_DEP_1) | instskip(NEXT) | instid1(VALU_DEP_1)
	v_fma_f32 v20, v3, v18, v19
	v_fmac_f32_e32 v18, v20, v17
	s_delay_alu instid0(VALU_DEP_1) | instskip(NEXT) | instid1(VALU_DEP_1)
	v_fmac_f32_e32 v19, v3, v18
	v_div_fmas_f32 v3, v19, v17, v18
	v_pk_fma_f32 v[18:19], v[16:17], v[0:1], v[0:1] op_sel:[0,1,0] op_sel_hi:[0,0,1] neg_lo:[1,0,0] neg_hi:[1,0,0]
	v_pk_fma_f32 v[0:1], v[16:17], v[0:1], v[0:1] op_sel:[0,1,0] op_sel_hi:[1,0,1]
	s_delay_alu instid0(VALU_DEP_3) | instskip(NEXT) | instid1(VALU_DEP_3)
	v_div_fixup_f32 v2, v3, v2, 1.0
	v_mov_b32_e32 v1, v19
	s_delay_alu instid0(VALU_DEP_1)
	v_pk_mul_f32 v[16:17], v[0:1], v[2:3] op_sel_hi:[1,0]
.LBB177_75:                             ;   in Loop: Header=BB177_57 Depth=2
	s_add_co_i32 s30, s18, -4
	s_sub_co_i32 s3, s3, 32
	s_cmp_lt_i32 s18, 7
	ds_store_b64 v27, v[16:17]
	s_cbranch_scc1 .LBB177_77
; %bb.76:                               ;   in Loop: Header=BB177_57 Depth=2
	s_mov_b32 s18, s30
	s_branch .LBB177_57
.LBB177_77:                             ;   in Loop: Header=BB177_3 Depth=1
	s_cmp_lt_i32 s30, 0
	s_cbranch_scc1 .LBB177_86
; %bb.78:                               ;   in Loop: Header=BB177_3 Depth=1
	s_lshl_b32 s3, s30, 3
	s_delay_alu instid0(SALU_CYCLE_1)
	s_add_co_i32 s3, s46, s3
	s_branch .LBB177_80
.LBB177_79:                             ;   in Loop: Header=BB177_80 Depth=2
	s_add_co_i32 s18, s30, -1
	s_add_co_i32 s3, s3, -8
	s_cmp_lt_i32 s30, 1
	s_mov_b32 s30, s18
	ds_store_b64 v18, v[16:17]
	s_cbranch_scc1 .LBB177_86
.LBB177_80:                             ;   Parent Loop BB177_3 Depth=1
                                        ; =>  This Loop Header: Depth=2
                                        ;       Child Loop BB177_81 Depth 3
	s_lshl_b32 s18, s30, 9
	s_cmp_le_i32 s38, s30
	v_dual_add_nc_u32 v18, s18, v24 :: v_dual_mov_b32 v2, v5
	s_mov_b32 s31, s3
	s_mov_b32 s34, s38
	ds_load_b64 v[0:1], v18
	s_cbranch_scc1 .LBB177_82
.LBB177_81:                             ;   Parent Loop BB177_3 Depth=1
                                        ;     Parent Loop BB177_80 Depth=2
                                        ; =>    This Inner Loop Header: Depth=3
	v_mov_b32_e32 v3, s31
	s_add_co_i32 s34, s34, -1
	s_addk_co_i32 s31, 0xfe00
	s_cmp_le_i32 s34, s30
	ds_load_b64 v[16:17], v2
	ds_load_b64 v[20:21], v3
	v_add_nc_u32_e32 v2, 0xfffffe00, v2
	s_wait_dscnt 0x0
	v_pk_mul_f32 v[22:23], v[20:21], v[16:17] op_sel:[1,1] op_sel_hi:[0,1]
	s_delay_alu instid0(VALU_DEP_1) | instskip(SKIP_1) | instid1(VALU_DEP_2)
	v_pk_fma_f32 v[28:29], v[20:21], v[16:17], v[22:23] op_sel_hi:[1,0,1]
	v_pk_fma_f32 v[16:17], v[20:21], v[16:17], v[22:23] op_sel_hi:[1,0,1] neg_lo:[0,0,1] neg_hi:[0,0,1]
	v_mov_b32_e32 v17, v29
	s_delay_alu instid0(VALU_DEP_1)
	v_pk_add_f32 v[0:1], v[0:1], v[16:17] neg_lo:[0,1] neg_hi:[0,1]
	s_cbranch_scc0 .LBB177_81
.LBB177_82:                             ;   in Loop: Header=BB177_80 Depth=2
	s_lshl_b32 s31, s30, 3
	s_delay_alu instid0(SALU_CYCLE_1) | instskip(NEXT) | instid1(SALU_CYCLE_1)
	s_add_co_i32 s18, s31, s18
	v_mov_b32_e32 v2, s18
	s_mov_b32 s18, -1
	ds_load_b64 v[2:3], v2
	s_wait_dscnt 0x0
	v_and_b32_e32 v16, 0x7fffffff, v2
	v_and_b32_e32 v17, 0x7fffffff, v3
	s_delay_alu instid0(VALU_DEP_1)
	v_cmp_ngt_f32_e32 vcc_lo, v16, v17
                                        ; implicit-def: $vgpr16_vgpr17
	s_cbranch_vccz .LBB177_84
; %bb.83:                               ;   in Loop: Header=BB177_80 Depth=2
	v_div_scale_f32 v16, null, v3, v3, v2
	v_div_scale_f32 v20, vcc_lo, v2, v3, v2
	s_mov_b32 s18, 0
	v_rcp_f32_e32 v17, v16
	v_nop
	v_xor_b32_e32 v16, 0x80000000, v16
	s_delay_alu instid0(TRANS32_DEP_1) | instid1(VALU_DEP_1)
	v_fma_f32 v19, v16, v17, 1.0
	s_delay_alu instid0(VALU_DEP_1) | instskip(NEXT) | instid1(VALU_DEP_1)
	v_fmac_f32_e32 v17, v19, v17
	v_mul_f32_e32 v19, v20, v17
	s_delay_alu instid0(VALU_DEP_1) | instskip(NEXT) | instid1(VALU_DEP_1)
	v_fma_f32 v21, v16, v19, v20
	v_fmac_f32_e32 v19, v21, v17
	s_delay_alu instid0(VALU_DEP_1) | instskip(NEXT) | instid1(VALU_DEP_1)
	v_fmac_f32_e32 v20, v16, v19
	v_div_fmas_f32 v16, v20, v17, v19
	s_delay_alu instid0(VALU_DEP_1) | instskip(NEXT) | instid1(VALU_DEP_1)
	v_div_fixup_f32 v16, v16, v3, v2
	v_fma_f32 v19, v2, v16, v3
	s_delay_alu instid0(VALU_DEP_1) | instskip(SKIP_1) | instid1(VALU_DEP_2)
	v_div_scale_f32 v17, null, v19, v19, 1.0
	v_div_scale_f32 v22, vcc_lo, 1.0, v19, 1.0
	v_rcp_f32_e32 v20, v17
	v_nop
	v_xor_b32_e32 v17, 0x80000000, v17
	s_delay_alu instid0(TRANS32_DEP_1) | instid1(VALU_DEP_1)
	v_fma_f32 v21, v17, v20, 1.0
	s_delay_alu instid0(VALU_DEP_1) | instskip(NEXT) | instid1(VALU_DEP_1)
	v_fmac_f32_e32 v20, v21, v20
	v_mul_f32_e32 v21, v22, v20
	s_delay_alu instid0(VALU_DEP_1) | instskip(NEXT) | instid1(VALU_DEP_1)
	v_fma_f32 v23, v17, v21, v22
	v_fmac_f32_e32 v21, v23, v20
	s_delay_alu instid0(VALU_DEP_1) | instskip(NEXT) | instid1(VALU_DEP_1)
	v_fmac_f32_e32 v22, v17, v21
	v_div_fmas_f32 v22, v22, v20, v21
	v_pk_fma_f32 v[20:21], v[0:1], v[16:17], v[0:1] op_sel:[0,0,1] op_sel_hi:[1,0,0] neg_lo:[0,0,1] neg_hi:[0,0,1]
	v_pk_fma_f32 v[16:17], v[0:1], v[16:17], v[0:1] op_sel:[0,0,1] op_sel_hi:[1,0,0]
	s_delay_alu instid0(VALU_DEP_3) | instskip(NEXT) | instid1(VALU_DEP_3)
	v_div_fixup_f32 v20, v22, v19, 1.0
	v_mov_b32_e32 v17, v21
	s_delay_alu instid0(VALU_DEP_1)
	v_pk_mul_f32 v[16:17], v[16:17], v[20:21] op_sel_hi:[1,0]
.LBB177_84:                             ;   in Loop: Header=BB177_80 Depth=2
	s_and_not1_b32 vcc_lo, exec_lo, s18
	s_cbranch_vccnz .LBB177_79
; %bb.85:                               ;   in Loop: Header=BB177_80 Depth=2
	v_div_scale_f32 v16, null, v2, v2, v3
	v_div_scale_f32 v20, vcc_lo, v3, v2, v3
	s_delay_alu instid0(VALU_DEP_2)
	v_rcp_f32_e32 v17, v16
	v_nop
	v_xor_b32_e32 v16, 0x80000000, v16
	s_delay_alu instid0(TRANS32_DEP_1) | instid1(VALU_DEP_1)
	v_fma_f32 v19, v16, v17, 1.0
	s_delay_alu instid0(VALU_DEP_1) | instskip(NEXT) | instid1(VALU_DEP_1)
	v_fmac_f32_e32 v17, v19, v17
	v_mul_f32_e32 v19, v20, v17
	s_delay_alu instid0(VALU_DEP_1) | instskip(NEXT) | instid1(VALU_DEP_1)
	v_fma_f32 v21, v16, v19, v20
	v_fmac_f32_e32 v19, v21, v17
	s_delay_alu instid0(VALU_DEP_1) | instskip(NEXT) | instid1(VALU_DEP_1)
	v_fmac_f32_e32 v20, v16, v19
	v_div_fmas_f32 v16, v20, v17, v19
	s_delay_alu instid0(VALU_DEP_1) | instskip(NEXT) | instid1(VALU_DEP_1)
	v_div_fixup_f32 v16, v16, v2, v3
	v_fmac_f32_e32 v2, v3, v16
	s_delay_alu instid0(VALU_DEP_1) | instskip(SKIP_1) | instid1(VALU_DEP_2)
	v_div_scale_f32 v3, null, v2, v2, 1.0
	v_div_scale_f32 v20, vcc_lo, 1.0, v2, 1.0
	v_rcp_f32_e32 v17, v3
	v_nop
	v_xor_b32_e32 v3, 0x80000000, v3
	s_delay_alu instid0(TRANS32_DEP_1) | instid1(VALU_DEP_1)
	v_fma_f32 v19, v3, v17, 1.0
	s_delay_alu instid0(VALU_DEP_1) | instskip(NEXT) | instid1(VALU_DEP_1)
	v_fmac_f32_e32 v17, v19, v17
	v_mul_f32_e32 v19, v20, v17
	s_delay_alu instid0(VALU_DEP_1) | instskip(NEXT) | instid1(VALU_DEP_1)
	v_fma_f32 v21, v3, v19, v20
	v_fmac_f32_e32 v19, v21, v17
	s_delay_alu instid0(VALU_DEP_1) | instskip(NEXT) | instid1(VALU_DEP_1)
	v_fmac_f32_e32 v20, v3, v19
	v_div_fmas_f32 v3, v20, v17, v19
	v_pk_fma_f32 v[20:21], v[0:1], v[16:17], v[0:1] op_sel:[1,0,0] op_sel_hi:[0,0,1] neg_lo:[1,0,0] neg_hi:[1,0,0]
	v_pk_fma_f32 v[0:1], v[0:1], v[16:17], v[0:1] op_sel:[1,0,0] op_sel_hi:[0,0,1]
	s_delay_alu instid0(VALU_DEP_3) | instskip(NEXT) | instid1(VALU_DEP_3)
	v_div_fixup_f32 v2, v3, v2, 1.0
	v_mov_b32_e32 v1, v21
	s_delay_alu instid0(VALU_DEP_1)
	v_pk_mul_f32 v[16:17], v[0:1], v[2:3] op_sel_hi:[1,0]
	s_branch .LBB177_79
.LBB177_86:                             ;   in Loop: Header=BB177_3 Depth=1
	s_mov_b32 s3, 0
.LBB177_87:                             ;   in Loop: Header=BB177_3 Depth=1
	s_delay_alu instid0(SALU_CYCLE_1)
	s_and_not1_b32 vcc_lo, exec_lo, s3
	s_cbranch_vccnz .LBB177_119
; %bb.88:                               ;   in Loop: Header=BB177_3 Depth=1
	s_mov_b32 s30, s38
	s_and_not1_b32 vcc_lo, exec_lo, s42
	s_mov_b32 s3, s47
	s_mov_b32 s18, s38
	s_cbranch_vccnz .LBB177_110
.LBB177_89:                             ;   Parent Loop BB177_3 Depth=1
                                        ; =>  This Loop Header: Depth=2
                                        ;       Child Loop BB177_90 Depth 3
	s_add_co_i32 s49, s18, -1
	v_lshl_add_u32 v30, s18, 9, v24
	s_add_co_i32 s34, s18, -2
	v_lshl_add_u32 v29, s49, 9, v24
	;; [unrolled: 2-line block ×3, first 2 shown]
	v_lshl_add_u32 v27, s30, 9, v24
	ds_load_b64 v[0:1], v30
	ds_load_b64 v[22:23], v29
	;; [unrolled: 1-line block ×4, first 2 shown]
	v_mov_b32_e32 v2, v5
	s_cmp_le_i32 s38, s18
	s_mov_b32 s31, s3
	s_mov_b32 s35, s38
	s_cbranch_scc1 .LBB177_91
.LBB177_90:                             ;   Parent Loop BB177_3 Depth=1
                                        ;     Parent Loop BB177_89 Depth=2
                                        ; =>    This Inner Loop Header: Depth=3
	v_mov_b32_e32 v3, s31
	s_add_co_i32 s35, s35, -1
	s_add_co_i32 s31, s31, -8
	s_cmp_le_i32 s35, s18
	ds_load_b64 v[20:21], v2
	ds_load_2addr_stride64_b64 v[32:35], v3 offset0:2 offset1:3
	ds_load_2addr_stride64_b64 v[36:39], v3 offset1:1
	s_wait_dscnt 0x1
	v_dual_mul_f32 v3, v35, v21 :: v_dual_add_nc_u32 v2, 0xfffffe00, v2
	v_dual_mul_f32 v31, v34, v21 :: v_dual_mul_f32 v44, v33, v21
	v_mul_f32_e32 v45, v33, v20
	s_wait_dscnt 0x0
	v_pk_mul_f32 v[40:41], v[38:39], v[20:21] op_sel:[0,1]
	v_pk_mul_f32 v[42:43], v[36:37], v[20:21] op_sel:[0,1]
	v_dual_fma_f32 v3, v34, v20, -v3 :: v_dual_fma_f32 v44, v32, v20, -v44
	v_dual_fmac_f32 v31, v35, v20 :: v_dual_fmac_f32 v45, v32, v21
	s_delay_alu instid0(VALU_DEP_4) | instskip(NEXT) | instid1(VALU_DEP_4)
	v_pk_fma_f32 v[32:33], v[38:39], v[20:21], v[40:41] op_sel:[0,0,1] op_sel_hi:[1,0,0]
	v_pk_fma_f32 v[34:35], v[36:37], v[20:21], v[42:43] op_sel:[0,0,1] op_sel_hi:[1,0,0]
	v_pk_fma_f32 v[38:39], v[38:39], v[20:21], v[40:41] op_sel:[0,0,1] op_sel_hi:[1,1,0] neg_lo:[0,0,1] neg_hi:[0,0,1]
	v_pk_fma_f32 v[20:21], v[36:37], v[20:21], v[42:43] op_sel:[0,0,1] op_sel_hi:[1,1,0] neg_lo:[0,0,1] neg_hi:[0,0,1]
	s_delay_alu instid0(VALU_DEP_4) | instskip(NEXT) | instid1(VALU_DEP_4)
	v_dual_sub_f32 v0, v0, v3 :: v_dual_mov_b32 v39, v33
	v_dual_mov_b32 v21, v35 :: v_dual_sub_f32 v1, v1, v31
	v_dual_sub_f32 v22, v22, v44 :: v_dual_sub_f32 v23, v23, v45
	s_delay_alu instid0(VALU_DEP_3) | instskip(NEXT) | instid1(VALU_DEP_3)
	v_pk_add_f32 v[18:19], v[18:19], v[38:39] neg_lo:[0,1] neg_hi:[0,1]
	v_pk_add_f32 v[16:17], v[16:17], v[20:21] neg_lo:[0,1] neg_hi:[0,1]
	s_cbranch_scc0 .LBB177_90
.LBB177_91:                             ;   in Loop: Header=BB177_89 Depth=2
	s_lshl_b32 s50, s49, 6
	s_lshl_b32 s35, s34, 6
	;; [unrolled: 1-line block ×3, first 2 shown]
; %bb.92:                               ;   in Loop: Header=BB177_89 Depth=2
	s_mul_i32 s51, s18, 0x208
	s_delay_alu instid0(SALU_CYCLE_1)
	v_mov_b32_e32 v2, s51
	s_mov_b32 s51, -1
	ds_load_b64 v[2:3], v2
	s_wait_dscnt 0x0
	v_and_b32_e32 v20, 0x7fffffff, v2
	v_and_b32_e32 v21, 0x7fffffff, v3
	s_delay_alu instid0(VALU_DEP_1)
	v_cmp_ngt_f32_e32 vcc_lo, v20, v21
                                        ; implicit-def: $vgpr21
	s_cbranch_vccz .LBB177_94
; %bb.93:                               ;   in Loop: Header=BB177_89 Depth=2
	v_div_scale_f32 v20, null, v3, v3, v2
	v_div_scale_f32 v32, vcc_lo, v2, v3, v2
	s_mov_b32 s51, 0
	v_rcp_f32_e32 v21, v20
	v_nop
	v_xor_b32_e32 v20, 0x80000000, v20
	s_delay_alu instid0(TRANS32_DEP_1) | instid1(VALU_DEP_1)
	v_fma_f32 v31, v20, v21, 1.0
	s_delay_alu instid0(VALU_DEP_1) | instskip(NEXT) | instid1(VALU_DEP_1)
	v_fmac_f32_e32 v21, v31, v21
	v_mul_f32_e32 v31, v32, v21
	s_delay_alu instid0(VALU_DEP_1) | instskip(NEXT) | instid1(VALU_DEP_1)
	v_fma_f32 v33, v20, v31, v32
	v_fmac_f32_e32 v31, v33, v21
	s_delay_alu instid0(VALU_DEP_1) | instskip(NEXT) | instid1(VALU_DEP_1)
	v_fmac_f32_e32 v32, v20, v31
	v_div_fmas_f32 v20, v32, v21, v31
	s_delay_alu instid0(VALU_DEP_1) | instskip(NEXT) | instid1(VALU_DEP_1)
	v_div_fixup_f32 v20, v20, v3, v2
	v_fma_f32 v21, v2, v20, v3
	s_delay_alu instid0(VALU_DEP_1) | instskip(SKIP_1) | instid1(VALU_DEP_2)
	v_div_scale_f32 v31, null, v21, v21, 1.0
	v_div_scale_f32 v34, vcc_lo, 1.0, v21, 1.0
	v_rcp_f32_e32 v32, v31
	v_nop
	v_xor_b32_e32 v31, 0x80000000, v31
	s_delay_alu instid0(TRANS32_DEP_1) | instid1(VALU_DEP_1)
	v_fma_f32 v33, v31, v32, 1.0
	s_delay_alu instid0(VALU_DEP_1) | instskip(NEXT) | instid1(VALU_DEP_1)
	v_fmac_f32_e32 v32, v33, v32
	v_mul_f32_e32 v33, v34, v32
	s_delay_alu instid0(VALU_DEP_1) | instskip(NEXT) | instid1(VALU_DEP_1)
	v_fma_f32 v35, v31, v33, v34
	v_fmac_f32_e32 v33, v35, v32
	s_delay_alu instid0(VALU_DEP_1) | instskip(NEXT) | instid1(VALU_DEP_1)
	v_fmac_f32_e32 v34, v31, v33
	v_div_fmas_f32 v31, v34, v32, v33
	v_fma_f32 v32, v0, v20, v1
	s_delay_alu instid0(VALU_DEP_2) | instskip(NEXT) | instid1(VALU_DEP_1)
	v_div_fixup_f32 v21, v31, v21, 1.0
	v_dual_fma_f32 v31, v1, v20, -v0 :: v_dual_mul_f32 v20, v32, v21
	s_delay_alu instid0(VALU_DEP_1)
	v_mul_f32_e32 v21, v31, v21
.LBB177_94:                             ;   in Loop: Header=BB177_89 Depth=2
	s_and_not1_b32 vcc_lo, exec_lo, s51
	s_cbranch_vccnz .LBB177_96
; %bb.95:                               ;   in Loop: Header=BB177_89 Depth=2
	v_div_scale_f32 v20, null, v2, v2, v3
	v_div_scale_f32 v32, vcc_lo, v3, v2, v3
	s_delay_alu instid0(VALU_DEP_2)
	v_rcp_f32_e32 v21, v20
	v_nop
	v_xor_b32_e32 v20, 0x80000000, v20
	s_delay_alu instid0(TRANS32_DEP_1) | instid1(VALU_DEP_1)
	v_fma_f32 v31, v20, v21, 1.0
	s_delay_alu instid0(VALU_DEP_1) | instskip(NEXT) | instid1(VALU_DEP_1)
	v_fmac_f32_e32 v21, v31, v21
	v_mul_f32_e32 v31, v32, v21
	s_delay_alu instid0(VALU_DEP_1) | instskip(NEXT) | instid1(VALU_DEP_1)
	v_fma_f32 v33, v20, v31, v32
	v_fmac_f32_e32 v31, v33, v21
	s_delay_alu instid0(VALU_DEP_1) | instskip(NEXT) | instid1(VALU_DEP_1)
	v_fmac_f32_e32 v32, v20, v31
	v_div_fmas_f32 v20, v32, v21, v31
	s_delay_alu instid0(VALU_DEP_1) | instskip(NEXT) | instid1(VALU_DEP_1)
	v_div_fixup_f32 v20, v20, v2, v3
	v_fmac_f32_e32 v2, v3, v20
	s_delay_alu instid0(VALU_DEP_1) | instskip(SKIP_1) | instid1(VALU_DEP_2)
	v_div_scale_f32 v3, null, v2, v2, 1.0
	v_div_scale_f32 v32, vcc_lo, 1.0, v2, 1.0
	v_rcp_f32_e32 v21, v3
	v_nop
	v_xor_b32_e32 v3, 0x80000000, v3
	s_delay_alu instid0(TRANS32_DEP_1) | instid1(VALU_DEP_1)
	v_fma_f32 v31, v3, v21, 1.0
	s_delay_alu instid0(VALU_DEP_1) | instskip(NEXT) | instid1(VALU_DEP_1)
	v_fmac_f32_e32 v21, v31, v21
	v_mul_f32_e32 v31, v32, v21
	s_delay_alu instid0(VALU_DEP_1) | instskip(NEXT) | instid1(VALU_DEP_1)
	v_fma_f32 v33, v3, v31, v32
	v_fmac_f32_e32 v31, v33, v21
	s_delay_alu instid0(VALU_DEP_1) | instskip(NEXT) | instid1(VALU_DEP_1)
	v_fmac_f32_e32 v32, v3, v31
	v_div_fmas_f32 v3, v32, v21, v31
	v_dual_fma_f32 v21, v1, v20, v0 :: v_dual_fma_f32 v0, -v0, v20, v1
	s_delay_alu instid0(VALU_DEP_2) | instskip(NEXT) | instid1(VALU_DEP_1)
	v_div_fixup_f32 v2, v3, v2, 1.0
	v_dual_mul_f32 v20, v21, v2 :: v_dual_mul_f32 v21, v0, v2
.LBB177_96:                             ;   in Loop: Header=BB177_89 Depth=2
	s_lshl_b32 s50, s50, 3
	s_lshl_b32 s49, s49, 3
	ds_store_b64 v30, v[20:21]
	s_add_co_i32 s49, s50, s49
	s_delay_alu instid0(SALU_CYCLE_1)
	v_mov_b32_e32 v0, s49
	s_mov_b32 s49, -1
	ds_load_2addr_b64 v[0:3], v0 offset1:1
	s_wait_dscnt 0x0
	v_dual_mul_f32 v31, v21, v3 :: v_dual_mul_f32 v3, v20, v3
	v_and_b32_e32 v32, 0x7fffffff, v0
	v_and_b32_e32 v33, 0x7fffffff, v1
	s_delay_alu instid0(VALU_DEP_3) | instskip(NEXT) | instid1(VALU_DEP_4)
	v_fma_f32 v31, v20, v2, -v31
	v_fmac_f32_e32 v3, v21, v2
	s_delay_alu instid0(VALU_DEP_3) | instskip(NEXT) | instid1(VALU_DEP_3)
	v_cmp_ngt_f32_e32 vcc_lo, v32, v33
	v_sub_f32_e32 v2, v22, v31
	s_delay_alu instid0(VALU_DEP_3)
	v_sub_f32_e32 v3, v23, v3
                                        ; implicit-def: $vgpr23
	s_cbranch_vccz .LBB177_98
; %bb.97:                               ;   in Loop: Header=BB177_89 Depth=2
	v_div_scale_f32 v22, null, v1, v1, v0
	v_div_scale_f32 v31, vcc_lo, v0, v1, v0
	s_mov_b32 s49, 0
	v_rcp_f32_e32 v23, v22
	v_nop
	v_xor_b32_e32 v22, 0x80000000, v22
	s_delay_alu instid0(TRANS32_DEP_1) | instid1(VALU_DEP_1)
	v_fma_f32 v30, v22, v23, 1.0
	s_delay_alu instid0(VALU_DEP_1) | instskip(NEXT) | instid1(VALU_DEP_1)
	v_fmac_f32_e32 v23, v30, v23
	v_mul_f32_e32 v30, v31, v23
	s_delay_alu instid0(VALU_DEP_1) | instskip(NEXT) | instid1(VALU_DEP_1)
	v_fma_f32 v32, v22, v30, v31
	v_fmac_f32_e32 v30, v32, v23
	s_delay_alu instid0(VALU_DEP_1) | instskip(NEXT) | instid1(VALU_DEP_1)
	v_fmac_f32_e32 v31, v22, v30
	v_div_fmas_f32 v22, v31, v23, v30
	s_delay_alu instid0(VALU_DEP_1) | instskip(NEXT) | instid1(VALU_DEP_1)
	v_div_fixup_f32 v22, v22, v1, v0
	v_fma_f32 v23, v0, v22, v1
	s_delay_alu instid0(VALU_DEP_1) | instskip(SKIP_1) | instid1(VALU_DEP_2)
	v_div_scale_f32 v30, null, v23, v23, 1.0
	v_div_scale_f32 v33, vcc_lo, 1.0, v23, 1.0
	v_rcp_f32_e32 v31, v30
	v_nop
	v_xor_b32_e32 v30, 0x80000000, v30
	s_delay_alu instid0(TRANS32_DEP_1) | instid1(VALU_DEP_1)
	v_fma_f32 v32, v30, v31, 1.0
	s_delay_alu instid0(VALU_DEP_1) | instskip(NEXT) | instid1(VALU_DEP_1)
	v_fmac_f32_e32 v31, v32, v31
	v_mul_f32_e32 v32, v33, v31
	s_delay_alu instid0(VALU_DEP_1) | instskip(NEXT) | instid1(VALU_DEP_1)
	v_fma_f32 v34, v30, v32, v33
	v_fmac_f32_e32 v32, v34, v31
	s_delay_alu instid0(VALU_DEP_1) | instskip(NEXT) | instid1(VALU_DEP_1)
	v_fmac_f32_e32 v33, v30, v32
	v_div_fmas_f32 v30, v33, v31, v32
	v_fma_f32 v31, v22, v2, v3
	s_delay_alu instid0(VALU_DEP_2) | instskip(SKIP_1) | instid1(VALU_DEP_1)
	v_div_fixup_f32 v23, v30, v23, 1.0
	v_fma_f32 v30, v22, v3, -v2
	v_dual_mul_f32 v22, v31, v23 :: v_dual_mul_f32 v23, v30, v23
.LBB177_98:                             ;   in Loop: Header=BB177_89 Depth=2
	s_and_not1_b32 vcc_lo, exec_lo, s49
	s_cbranch_vccnz .LBB177_100
; %bb.99:                               ;   in Loop: Header=BB177_89 Depth=2
	v_div_scale_f32 v22, null, v0, v0, v1
	v_div_scale_f32 v31, vcc_lo, v1, v0, v1
	s_delay_alu instid0(VALU_DEP_2)
	v_rcp_f32_e32 v23, v22
	v_nop
	v_xor_b32_e32 v22, 0x80000000, v22
	s_delay_alu instid0(TRANS32_DEP_1) | instid1(VALU_DEP_1)
	v_fma_f32 v30, v22, v23, 1.0
	s_delay_alu instid0(VALU_DEP_1) | instskip(NEXT) | instid1(VALU_DEP_1)
	v_fmac_f32_e32 v23, v30, v23
	v_mul_f32_e32 v30, v31, v23
	s_delay_alu instid0(VALU_DEP_1) | instskip(NEXT) | instid1(VALU_DEP_1)
	v_fma_f32 v32, v22, v30, v31
	v_fmac_f32_e32 v30, v32, v23
	s_delay_alu instid0(VALU_DEP_1) | instskip(NEXT) | instid1(VALU_DEP_1)
	v_fmac_f32_e32 v31, v22, v30
	v_div_fmas_f32 v22, v31, v23, v30
	s_delay_alu instid0(VALU_DEP_1) | instskip(NEXT) | instid1(VALU_DEP_1)
	v_div_fixup_f32 v22, v22, v0, v1
	v_fmac_f32_e32 v0, v1, v22
	s_delay_alu instid0(VALU_DEP_1) | instskip(SKIP_1) | instid1(VALU_DEP_2)
	v_div_scale_f32 v1, null, v0, v0, 1.0
	v_div_scale_f32 v31, vcc_lo, 1.0, v0, 1.0
	v_rcp_f32_e32 v23, v1
	v_nop
	v_xor_b32_e32 v1, 0x80000000, v1
	s_delay_alu instid0(TRANS32_DEP_1) | instid1(VALU_DEP_1)
	v_fma_f32 v30, v1, v23, 1.0
	s_delay_alu instid0(VALU_DEP_1) | instskip(NEXT) | instid1(VALU_DEP_1)
	v_fmac_f32_e32 v23, v30, v23
	v_mul_f32_e32 v30, v31, v23
	s_delay_alu instid0(VALU_DEP_1) | instskip(NEXT) | instid1(VALU_DEP_1)
	v_fma_f32 v32, v1, v30, v31
	v_fmac_f32_e32 v30, v32, v23
	s_delay_alu instid0(VALU_DEP_1) | instskip(NEXT) | instid1(VALU_DEP_1)
	v_fmac_f32_e32 v31, v1, v30
	v_div_fmas_f32 v1, v31, v23, v30
	v_fma_f32 v23, v22, v3, v2
	s_delay_alu instid0(VALU_DEP_2) | instskip(NEXT) | instid1(VALU_DEP_1)
	v_div_fixup_f32 v0, v1, v0, 1.0
	v_dual_fma_f32 v1, -v22, v2, v3 :: v_dual_mul_f32 v22, v23, v0
	s_delay_alu instid0(VALU_DEP_1)
	v_mul_f32_e32 v23, v1, v0
.LBB177_100:                            ;   in Loop: Header=BB177_89 Depth=2
	s_lshl_b32 s49, s35, 3
	s_lshl_b32 s35, s18, 3
	;; [unrolled: 1-line block ×3, first 2 shown]
	s_add_co_i32 s50, s49, s35
	s_add_co_i32 s34, s49, s34
	v_dual_mov_b32 v0, s50 :: v_dual_mov_b32 v32, v21
	ds_store_b64 v29, v[22:23]
	v_mov_b32_e32 v34, v23
	ds_load_b64 v[30:31], v0
	v_mov_b32_e32 v0, s34
	s_mov_b32 s34, -1
	ds_load_2addr_b64 v[0:3], v0 offset1:1
	s_wait_dscnt 0x1
	v_pk_mul_f32 v[32:33], v[32:33], v[30:31] op_sel_hi:[0,1]
	s_delay_alu instid0(VALU_DEP_1) | instskip(SKIP_4) | instid1(VALU_DEP_3)
	v_pk_fma_f32 v[36:37], v[20:21], v[30:31], v[32:33] op_sel:[0,0,1] op_sel_hi:[0,1,0]
	s_wait_dscnt 0x0
	v_pk_mul_f32 v[34:35], v[34:35], v[2:3] op_sel_hi:[0,1]
	v_pk_fma_f32 v[30:31], v[20:21], v[30:31], v[32:33] op_sel:[0,0,1] op_sel_hi:[1,1,0] neg_lo:[0,0,1] neg_hi:[0,0,1]
	v_and_b32_e32 v36, 0x7fffffff, v1
	v_pk_fma_f32 v[32:33], v[22:23], v[2:3], v[34:35] op_sel:[0,0,1] op_sel_hi:[0,1,0]
	v_mov_b32_e32 v31, v37
	v_and_b32_e32 v32, 0x7fffffff, v0
	v_pk_fma_f32 v[2:3], v[22:23], v[2:3], v[34:35] op_sel:[0,0,1] op_sel_hi:[1,1,0] neg_lo:[0,0,1] neg_hi:[0,0,1]
	s_delay_alu instid0(VALU_DEP_4) | instskip(NEXT) | instid1(VALU_DEP_4)
	v_mov_b32_e32 v3, v33
	v_pk_add_f32 v[18:19], v[18:19], v[30:31] neg_lo:[0,1] neg_hi:[0,1]
	s_delay_alu instid0(VALU_DEP_4) | instskip(NEXT) | instid1(VALU_DEP_2)
	v_cmp_ngt_f32_e32 vcc_lo, v32, v36
	v_pk_add_f32 v[2:3], v[18:19], v[2:3] neg_lo:[0,1] neg_hi:[0,1]
                                        ; implicit-def: $vgpr18_vgpr19
	s_cbranch_vccz .LBB177_102
; %bb.101:                              ;   in Loop: Header=BB177_89 Depth=2
	v_div_scale_f32 v18, null, v1, v1, v0
	v_div_scale_f32 v30, vcc_lo, v0, v1, v0
	s_mov_b32 s34, 0
	v_rcp_f32_e32 v19, v18
	v_nop
	v_xor_b32_e32 v18, 0x80000000, v18
	s_delay_alu instid0(TRANS32_DEP_1) | instid1(VALU_DEP_1)
	v_fma_f32 v29, v18, v19, 1.0
	s_delay_alu instid0(VALU_DEP_1) | instskip(NEXT) | instid1(VALU_DEP_1)
	v_fmac_f32_e32 v19, v29, v19
	v_mul_f32_e32 v29, v30, v19
	s_delay_alu instid0(VALU_DEP_1) | instskip(NEXT) | instid1(VALU_DEP_1)
	v_fma_f32 v31, v18, v29, v30
	v_fmac_f32_e32 v29, v31, v19
	s_delay_alu instid0(VALU_DEP_1) | instskip(NEXT) | instid1(VALU_DEP_1)
	v_fmac_f32_e32 v30, v18, v29
	v_div_fmas_f32 v18, v30, v19, v29
	s_delay_alu instid0(VALU_DEP_1) | instskip(NEXT) | instid1(VALU_DEP_1)
	v_div_fixup_f32 v18, v18, v1, v0
	v_fma_f32 v19, v0, v18, v1
	s_delay_alu instid0(VALU_DEP_1) | instskip(SKIP_1) | instid1(VALU_DEP_2)
	v_div_scale_f32 v29, null, v19, v19, 1.0
	v_div_scale_f32 v32, vcc_lo, 1.0, v19, 1.0
	v_rcp_f32_e32 v31, v29
	v_nop
	v_xor_b32_e32 v29, 0x80000000, v29
	s_delay_alu instid0(TRANS32_DEP_1) | instid1(VALU_DEP_1)
	v_fma_f32 v30, v29, v31, 1.0
	s_delay_alu instid0(VALU_DEP_1) | instskip(NEXT) | instid1(VALU_DEP_1)
	v_fmac_f32_e32 v31, v30, v31
	v_mul_f32_e32 v33, v32, v31
	s_delay_alu instid0(VALU_DEP_1) | instskip(NEXT) | instid1(VALU_DEP_1)
	v_fma_f32 v30, v29, v33, v32
	v_dual_fmac_f32 v33, v30, v31 :: v_dual_mov_b32 v30, v3
	s_delay_alu instid0(VALU_DEP_1) | instskip(NEXT) | instid1(VALU_DEP_1)
	v_fmac_f32_e32 v32, v29, v33
	v_div_fmas_f32 v29, v32, v31, v33
	s_delay_alu instid0(VALU_DEP_3) | instskip(NEXT) | instid1(VALU_DEP_2)
	v_pk_fma_f32 v[30:31], v[18:19], v[2:3], v[30:31]
	v_div_fixup_f32 v31, v29, v19, 1.0
	s_delay_alu instid0(VALU_DEP_1) | instskip(NEXT) | instid1(VALU_DEP_1)
	v_dual_fma_f32 v19, v18, v3, -v2 :: v_dual_mov_b32 v18, v31
	v_pk_mul_f32 v[18:19], v[30:31], v[18:19]
.LBB177_102:                            ;   in Loop: Header=BB177_89 Depth=2
	s_and_not1_b32 vcc_lo, exec_lo, s34
	s_cbranch_vccnz .LBB177_104
; %bb.103:                              ;   in Loop: Header=BB177_89 Depth=2
	v_div_scale_f32 v18, null, v0, v0, v1
	v_div_scale_f32 v30, vcc_lo, v1, v0, v1
	s_delay_alu instid0(VALU_DEP_2)
	v_rcp_f32_e32 v19, v18
	v_nop
	v_xor_b32_e32 v18, 0x80000000, v18
	s_delay_alu instid0(TRANS32_DEP_1) | instid1(VALU_DEP_1)
	v_fma_f32 v29, v18, v19, 1.0
	s_delay_alu instid0(VALU_DEP_1) | instskip(NEXT) | instid1(VALU_DEP_1)
	v_fmac_f32_e32 v19, v29, v19
	v_mul_f32_e32 v29, v30, v19
	s_delay_alu instid0(VALU_DEP_1) | instskip(NEXT) | instid1(VALU_DEP_1)
	v_fma_f32 v31, v18, v29, v30
	v_fmac_f32_e32 v29, v31, v19
	s_delay_alu instid0(VALU_DEP_1) | instskip(NEXT) | instid1(VALU_DEP_1)
	v_fmac_f32_e32 v30, v18, v29
	v_div_fmas_f32 v18, v30, v19, v29
	s_delay_alu instid0(VALU_DEP_1) | instskip(NEXT) | instid1(VALU_DEP_1)
	v_div_fixup_f32 v18, v18, v0, v1
	v_fmac_f32_e32 v0, v1, v18
	s_delay_alu instid0(VALU_DEP_1) | instskip(SKIP_1) | instid1(VALU_DEP_2)
	v_div_scale_f32 v1, null, v0, v0, 1.0
	v_div_scale_f32 v30, vcc_lo, 1.0, v0, 1.0
	v_rcp_f32_e32 v19, v1
	v_nop
	v_xor_b32_e32 v1, 0x80000000, v1
	s_delay_alu instid0(TRANS32_DEP_1) | instid1(VALU_DEP_1)
	v_fma_f32 v29, v1, v19, 1.0
	s_delay_alu instid0(VALU_DEP_1) | instskip(NEXT) | instid1(VALU_DEP_1)
	v_fmac_f32_e32 v19, v29, v19
	v_mul_f32_e32 v29, v30, v19
	s_delay_alu instid0(VALU_DEP_1) | instskip(NEXT) | instid1(VALU_DEP_1)
	v_fma_f32 v31, v1, v29, v30
	v_fmac_f32_e32 v29, v31, v19
	s_delay_alu instid0(VALU_DEP_1) | instskip(NEXT) | instid1(VALU_DEP_1)
	v_fmac_f32_e32 v30, v1, v29
	v_div_fmas_f32 v1, v30, v19, v29
	v_pk_fma_f32 v[30:31], v[18:19], v[2:3], v[2:3] op_sel:[0,1,0] op_sel_hi:[0,0,1] neg_lo:[1,0,0] neg_hi:[1,0,0]
	v_pk_fma_f32 v[2:3], v[18:19], v[2:3], v[2:3] op_sel:[0,1,0] op_sel_hi:[1,0,1]
	s_delay_alu instid0(VALU_DEP_3) | instskip(NEXT) | instid1(VALU_DEP_3)
	v_div_fixup_f32 v0, v1, v0, 1.0
	v_mov_b32_e32 v3, v31
	s_delay_alu instid0(VALU_DEP_1)
	v_pk_mul_f32 v[18:19], v[2:3], v[0:1] op_sel_hi:[1,0]
.LBB177_104:                            ;   in Loop: Header=BB177_89 Depth=2
	s_lshl_b32 s31, s31, 3
	s_lshl_b32 s30, s30, 3
	s_add_co_i32 s34, s31, s35
	s_add_co_i32 s30, s31, s30
	s_add_co_i32 s34, s34, -8
	v_dual_mov_b32 v34, v21 :: v_dual_mov_b32 v35, v21
	v_dual_mov_b32 v0, s34 :: v_dual_mov_b32 v1, s30
	;; [unrolled: 1-line block ×3, first 2 shown]
	ds_load_2addr_b64 v[30:33], v0 offset1:1
	ds_load_2addr_b64 v[0:3], v1 offset1:1
	v_dual_mov_b32 v21, v20 :: v_dual_mov_b32 v23, v22
	s_mov_b32 s30, -1
	ds_store_b64 v28, v[18:19]
	s_wait_dscnt 0x2
	v_pk_mul_f32 v[34:35], v[34:35], v[32:33]
	v_pk_mul_f32 v[36:37], v[36:37], v[30:31]
	s_wait_dscnt 0x1
	v_dual_mov_b32 v38, v3 :: v_dual_mov_b32 v39, v2
	v_and_b32_e32 v29, 0x7fffffff, v1
	v_pk_fma_f32 v[40:41], v[20:21], v[32:33], v[34:35] op_sel:[0,0,1] op_sel_hi:[1,1,0]
	v_pk_fma_f32 v[20:21], v[20:21], v[32:33], v[34:35] op_sel:[0,0,1] op_sel_hi:[1,1,0] neg_lo:[0,0,1] neg_hi:[0,0,1]
	v_pk_fma_f32 v[32:33], v[22:23], v[30:31], v[36:37] op_sel:[0,0,1] op_sel_hi:[1,1,0]
	v_pk_mul_f32 v[34:35], v[18:19], v[38:39] op_sel:[1,0]
	v_pk_fma_f32 v[22:23], v[22:23], v[30:31], v[36:37] op_sel:[0,0,1] op_sel_hi:[1,1,0] neg_lo:[0,0,1] neg_hi:[0,0,1]
	s_delay_alu instid0(VALU_DEP_3) | instskip(NEXT) | instid1(VALU_DEP_1)
	v_dual_mov_b32 v21, v41 :: v_dual_mov_b32 v23, v33
	v_pk_add_f32 v[16:17], v[16:17], v[20:21] neg_lo:[0,1] neg_hi:[0,1]
	s_delay_alu instid0(VALU_DEP_4) | instskip(SKIP_2) | instid1(VALU_DEP_4)
	v_pk_fma_f32 v[20:21], v[18:19], v[2:3], v[34:35] op_sel_hi:[0,1,1]
	v_and_b32_e32 v20, 0x7fffffff, v0
	v_pk_fma_f32 v[2:3], v[18:19], v[2:3], v[34:35] neg_lo:[0,0,1] neg_hi:[0,0,1]
	v_pk_add_f32 v[16:17], v[16:17], v[22:23] neg_lo:[0,1] neg_hi:[0,1]
	s_delay_alu instid0(VALU_DEP_4) | instskip(NEXT) | instid1(VALU_DEP_4)
	v_mov_b32_e32 v3, v21
	v_cmp_ngt_f32_e32 vcc_lo, v20, v29
	s_delay_alu instid0(VALU_DEP_2)
	v_pk_add_f32 v[2:3], v[16:17], v[2:3] neg_lo:[0,1] neg_hi:[0,1]
                                        ; implicit-def: $vgpr16_vgpr17
	s_cbranch_vccz .LBB177_106
; %bb.105:                              ;   in Loop: Header=BB177_89 Depth=2
	v_div_scale_f32 v16, null, v1, v1, v0
	v_div_scale_f32 v19, vcc_lo, v0, v1, v0
	s_mov_b32 s30, 0
	v_rcp_f32_e32 v17, v16
	v_nop
	v_xor_b32_e32 v16, 0x80000000, v16
	s_delay_alu instid0(TRANS32_DEP_1) | instid1(VALU_DEP_1)
	v_fma_f32 v18, v16, v17, 1.0
	s_delay_alu instid0(VALU_DEP_1) | instskip(NEXT) | instid1(VALU_DEP_1)
	v_fmac_f32_e32 v17, v18, v17
	v_mul_f32_e32 v18, v19, v17
	s_delay_alu instid0(VALU_DEP_1) | instskip(NEXT) | instid1(VALU_DEP_1)
	v_fma_f32 v20, v16, v18, v19
	v_fmac_f32_e32 v18, v20, v17
	s_delay_alu instid0(VALU_DEP_1) | instskip(NEXT) | instid1(VALU_DEP_1)
	v_fmac_f32_e32 v19, v16, v18
	v_div_fmas_f32 v16, v19, v17, v18
	s_delay_alu instid0(VALU_DEP_1) | instskip(NEXT) | instid1(VALU_DEP_1)
	v_div_fixup_f32 v16, v16, v1, v0
	v_fma_f32 v17, v0, v16, v1
	s_delay_alu instid0(VALU_DEP_1) | instskip(NEXT) | instid1(VALU_DEP_1)
	v_div_scale_f32 v18, null, v17, v17, 1.0
	v_rcp_f32_e32 v19, v18
	v_nop
	v_xor_b32_e32 v18, 0x80000000, v18
	s_delay_alu instid0(TRANS32_DEP_1) | instid1(VALU_DEP_1)
	v_fma_f32 v20, v18, v19, 1.0
	s_delay_alu instid0(VALU_DEP_1) | instskip(SKIP_1) | instid1(VALU_DEP_1)
	v_fmac_f32_e32 v19, v20, v19
	v_div_scale_f32 v20, vcc_lo, 1.0, v17, 1.0
	v_mul_f32_e32 v21, v20, v19
	s_delay_alu instid0(VALU_DEP_1) | instskip(NEXT) | instid1(VALU_DEP_1)
	v_fma_f32 v22, v18, v21, v20
	v_fmac_f32_e32 v21, v22, v19
	s_delay_alu instid0(VALU_DEP_1) | instskip(NEXT) | instid1(VALU_DEP_1)
	v_dual_fmac_f32 v20, v18, v21 :: v_dual_mov_b32 v18, v3
	v_div_fmas_f32 v20, v20, v19, v21
	s_delay_alu instid0(VALU_DEP_2) | instskip(NEXT) | instid1(VALU_DEP_2)
	v_pk_fma_f32 v[18:19], v[16:17], v[2:3], v[18:19]
	v_div_fixup_f32 v19, v20, v17, 1.0
	s_delay_alu instid0(VALU_DEP_1) | instskip(NEXT) | instid1(VALU_DEP_1)
	v_dual_fma_f32 v17, v16, v3, -v2 :: v_dual_mov_b32 v16, v19
	v_pk_mul_f32 v[16:17], v[18:19], v[16:17]
.LBB177_106:                            ;   in Loop: Header=BB177_89 Depth=2
	s_and_not1_b32 vcc_lo, exec_lo, s30
	s_cbranch_vccnz .LBB177_108
; %bb.107:                              ;   in Loop: Header=BB177_89 Depth=2
	v_div_scale_f32 v16, null, v0, v0, v1
	v_div_scale_f32 v19, vcc_lo, v1, v0, v1
	s_delay_alu instid0(VALU_DEP_2)
	v_rcp_f32_e32 v17, v16
	v_nop
	v_xor_b32_e32 v16, 0x80000000, v16
	s_delay_alu instid0(TRANS32_DEP_1) | instid1(VALU_DEP_1)
	v_fma_f32 v18, v16, v17, 1.0
	s_delay_alu instid0(VALU_DEP_1) | instskip(NEXT) | instid1(VALU_DEP_1)
	v_fmac_f32_e32 v17, v18, v17
	v_mul_f32_e32 v18, v19, v17
	s_delay_alu instid0(VALU_DEP_1) | instskip(NEXT) | instid1(VALU_DEP_1)
	v_fma_f32 v20, v16, v18, v19
	v_fmac_f32_e32 v18, v20, v17
	s_delay_alu instid0(VALU_DEP_1) | instskip(NEXT) | instid1(VALU_DEP_1)
	v_fmac_f32_e32 v19, v16, v18
	v_div_fmas_f32 v16, v19, v17, v18
	s_delay_alu instid0(VALU_DEP_1) | instskip(NEXT) | instid1(VALU_DEP_1)
	v_div_fixup_f32 v16, v16, v0, v1
	v_fmac_f32_e32 v0, v1, v16
	s_delay_alu instid0(VALU_DEP_1) | instskip(SKIP_1) | instid1(VALU_DEP_2)
	v_div_scale_f32 v1, null, v0, v0, 1.0
	v_div_scale_f32 v19, vcc_lo, 1.0, v0, 1.0
	v_rcp_f32_e32 v17, v1
	v_nop
	v_xor_b32_e32 v1, 0x80000000, v1
	s_delay_alu instid0(TRANS32_DEP_1) | instid1(VALU_DEP_1)
	v_fma_f32 v18, v1, v17, 1.0
	s_delay_alu instid0(VALU_DEP_1) | instskip(NEXT) | instid1(VALU_DEP_1)
	v_fmac_f32_e32 v17, v18, v17
	v_mul_f32_e32 v18, v19, v17
	s_delay_alu instid0(VALU_DEP_1) | instskip(NEXT) | instid1(VALU_DEP_1)
	v_fma_f32 v20, v1, v18, v19
	v_fmac_f32_e32 v18, v20, v17
	s_delay_alu instid0(VALU_DEP_1) | instskip(NEXT) | instid1(VALU_DEP_1)
	v_fmac_f32_e32 v19, v1, v18
	v_div_fmas_f32 v1, v19, v17, v18
	v_pk_fma_f32 v[18:19], v[16:17], v[2:3], v[2:3] op_sel:[0,1,0] op_sel_hi:[0,0,1] neg_lo:[1,0,0] neg_hi:[1,0,0]
	v_pk_fma_f32 v[2:3], v[16:17], v[2:3], v[2:3] op_sel:[0,1,0] op_sel_hi:[1,0,1]
	s_delay_alu instid0(VALU_DEP_3) | instskip(NEXT) | instid1(VALU_DEP_3)
	v_div_fixup_f32 v0, v1, v0, 1.0
	v_mov_b32_e32 v3, v19
	s_delay_alu instid0(VALU_DEP_1)
	v_pk_mul_f32 v[16:17], v[2:3], v[0:1] op_sel_hi:[1,0]
.LBB177_108:                            ;   in Loop: Header=BB177_89 Depth=2
	s_add_co_i32 s30, s18, -4
	s_addk_co_i32 s3, 0xf800
	s_cmp_lt_i32 s18, 7
	ds_store_b64 v27, v[16:17]
	s_cbranch_scc1 .LBB177_110
; %bb.109:                              ;   in Loop: Header=BB177_89 Depth=2
	s_mov_b32 s18, s30
	s_branch .LBB177_89
.LBB177_110:                            ;   in Loop: Header=BB177_3 Depth=1
	s_cmp_lt_i32 s30, 0
	s_cbranch_scc1 .LBB177_119
; %bb.111:                              ;   in Loop: Header=BB177_3 Depth=1
	s_lshl_b32 s3, s30, 9
	s_delay_alu instid0(SALU_CYCLE_1)
	s_add_co_i32 s3, s48, s3
	s_branch .LBB177_113
.LBB177_112:                            ;   in Loop: Header=BB177_113 Depth=2
	v_sub_co_u32 v0, s18, s30, 1
	s_and_b32 vcc_lo, exec_lo, s18
	s_addk_co_i32 s3, 0xfe00
	ds_store_b64 v18, v[16:17]
	v_readfirstlane_b32 s30, v0
	s_cbranch_vccnz .LBB177_119
.LBB177_113:                            ;   Parent Loop BB177_3 Depth=1
                                        ; =>  This Loop Header: Depth=2
                                        ;       Child Loop BB177_114 Depth 3
	v_lshl_add_u32 v18, s30, 9, v24
	v_mov_b32_e32 v2, v5
	s_cmp_le_i32 s38, s30
	s_mov_b32 s18, s3
	s_mov_b32 s31, s38
	ds_load_b64 v[0:1], v18
	s_cbranch_scc1 .LBB177_115
.LBB177_114:                            ;   Parent Loop BB177_3 Depth=1
                                        ;     Parent Loop BB177_113 Depth=2
                                        ; =>    This Inner Loop Header: Depth=3
	v_mov_b32_e32 v3, s18
	s_add_co_i32 s31, s31, -1
	s_add_co_i32 s18, s18, -8
	s_cmp_le_u32 s31, s30
	ds_load_b64 v[16:17], v2
	ds_load_b64 v[20:21], v3
	v_add_nc_u32_e32 v2, 0xfffffe00, v2
	s_wait_dscnt 0x0
	v_pk_mul_f32 v[22:23], v[20:21], v[16:17] op_sel:[1,1] op_sel_hi:[0,1]
	s_delay_alu instid0(VALU_DEP_1) | instskip(SKIP_1) | instid1(VALU_DEP_2)
	v_pk_fma_f32 v[28:29], v[20:21], v[16:17], v[22:23] op_sel_hi:[1,0,1]
	v_pk_fma_f32 v[16:17], v[20:21], v[16:17], v[22:23] op_sel_hi:[1,0,1] neg_lo:[0,0,1] neg_hi:[0,0,1]
	v_mov_b32_e32 v17, v29
	s_delay_alu instid0(VALU_DEP_1)
	v_pk_add_f32 v[0:1], v[0:1], v[16:17] neg_lo:[0,1] neg_hi:[0,1]
	s_cbranch_scc0 .LBB177_114
.LBB177_115:                            ;   in Loop: Header=BB177_113 Depth=2
	s_mul_i32 s18, s30, 0x208
	s_delay_alu instid0(SALU_CYCLE_1)
	v_mov_b32_e32 v2, s18
	s_mov_b32 s18, -1
	ds_load_b64 v[2:3], v2
	s_wait_dscnt 0x0
	v_and_b32_e32 v16, 0x7fffffff, v2
	v_and_b32_e32 v17, 0x7fffffff, v3
	s_delay_alu instid0(VALU_DEP_1)
	v_cmp_ngt_f32_e32 vcc_lo, v16, v17
                                        ; implicit-def: $vgpr16_vgpr17
	s_cbranch_vccz .LBB177_117
; %bb.116:                              ;   in Loop: Header=BB177_113 Depth=2
	v_div_scale_f32 v16, null, v3, v3, v2
	v_div_scale_f32 v20, vcc_lo, v2, v3, v2
	s_mov_b32 s18, 0
	v_rcp_f32_e32 v17, v16
	v_nop
	v_xor_b32_e32 v16, 0x80000000, v16
	s_delay_alu instid0(TRANS32_DEP_1) | instid1(VALU_DEP_1)
	v_fma_f32 v19, v16, v17, 1.0
	s_delay_alu instid0(VALU_DEP_1) | instskip(NEXT) | instid1(VALU_DEP_1)
	v_fmac_f32_e32 v17, v19, v17
	v_mul_f32_e32 v19, v20, v17
	s_delay_alu instid0(VALU_DEP_1) | instskip(NEXT) | instid1(VALU_DEP_1)
	v_fma_f32 v21, v16, v19, v20
	v_fmac_f32_e32 v19, v21, v17
	s_delay_alu instid0(VALU_DEP_1) | instskip(NEXT) | instid1(VALU_DEP_1)
	v_fmac_f32_e32 v20, v16, v19
	v_div_fmas_f32 v16, v20, v17, v19
	s_delay_alu instid0(VALU_DEP_1) | instskip(NEXT) | instid1(VALU_DEP_1)
	v_div_fixup_f32 v16, v16, v3, v2
	v_fma_f32 v19, v2, v16, v3
	s_delay_alu instid0(VALU_DEP_1) | instskip(SKIP_1) | instid1(VALU_DEP_2)
	v_div_scale_f32 v17, null, v19, v19, 1.0
	v_div_scale_f32 v22, vcc_lo, 1.0, v19, 1.0
	v_rcp_f32_e32 v20, v17
	v_nop
	v_xor_b32_e32 v17, 0x80000000, v17
	s_delay_alu instid0(TRANS32_DEP_1) | instid1(VALU_DEP_1)
	v_fma_f32 v21, v17, v20, 1.0
	s_delay_alu instid0(VALU_DEP_1) | instskip(NEXT) | instid1(VALU_DEP_1)
	v_fmac_f32_e32 v20, v21, v20
	v_mul_f32_e32 v21, v22, v20
	s_delay_alu instid0(VALU_DEP_1) | instskip(NEXT) | instid1(VALU_DEP_1)
	v_fma_f32 v23, v17, v21, v22
	v_fmac_f32_e32 v21, v23, v20
	s_delay_alu instid0(VALU_DEP_1) | instskip(NEXT) | instid1(VALU_DEP_1)
	v_fmac_f32_e32 v22, v17, v21
	v_div_fmas_f32 v22, v22, v20, v21
	v_pk_fma_f32 v[20:21], v[0:1], v[16:17], v[0:1] op_sel:[0,0,1] op_sel_hi:[1,0,0] neg_lo:[0,0,1] neg_hi:[0,0,1]
	v_pk_fma_f32 v[16:17], v[0:1], v[16:17], v[0:1] op_sel:[0,0,1] op_sel_hi:[1,0,0]
	s_delay_alu instid0(VALU_DEP_3) | instskip(NEXT) | instid1(VALU_DEP_3)
	v_div_fixup_f32 v20, v22, v19, 1.0
	v_mov_b32_e32 v17, v21
	s_delay_alu instid0(VALU_DEP_1)
	v_pk_mul_f32 v[16:17], v[16:17], v[20:21] op_sel_hi:[1,0]
.LBB177_117:                            ;   in Loop: Header=BB177_113 Depth=2
	s_and_not1_b32 vcc_lo, exec_lo, s18
	s_cbranch_vccnz .LBB177_112
; %bb.118:                              ;   in Loop: Header=BB177_113 Depth=2
	v_div_scale_f32 v16, null, v2, v2, v3
	v_div_scale_f32 v20, vcc_lo, v3, v2, v3
	s_delay_alu instid0(VALU_DEP_2)
	v_rcp_f32_e32 v17, v16
	v_nop
	v_xor_b32_e32 v16, 0x80000000, v16
	s_delay_alu instid0(TRANS32_DEP_1) | instid1(VALU_DEP_1)
	v_fma_f32 v19, v16, v17, 1.0
	s_delay_alu instid0(VALU_DEP_1) | instskip(NEXT) | instid1(VALU_DEP_1)
	v_fmac_f32_e32 v17, v19, v17
	v_mul_f32_e32 v19, v20, v17
	s_delay_alu instid0(VALU_DEP_1) | instskip(NEXT) | instid1(VALU_DEP_1)
	v_fma_f32 v21, v16, v19, v20
	v_fmac_f32_e32 v19, v21, v17
	s_delay_alu instid0(VALU_DEP_1) | instskip(NEXT) | instid1(VALU_DEP_1)
	v_fmac_f32_e32 v20, v16, v19
	v_div_fmas_f32 v16, v20, v17, v19
	s_delay_alu instid0(VALU_DEP_1) | instskip(NEXT) | instid1(VALU_DEP_1)
	v_div_fixup_f32 v16, v16, v2, v3
	v_fmac_f32_e32 v2, v3, v16
	s_delay_alu instid0(VALU_DEP_1) | instskip(SKIP_1) | instid1(VALU_DEP_2)
	v_div_scale_f32 v3, null, v2, v2, 1.0
	v_div_scale_f32 v20, vcc_lo, 1.0, v2, 1.0
	v_rcp_f32_e32 v17, v3
	v_nop
	v_xor_b32_e32 v3, 0x80000000, v3
	s_delay_alu instid0(TRANS32_DEP_1) | instid1(VALU_DEP_1)
	v_fma_f32 v19, v3, v17, 1.0
	s_delay_alu instid0(VALU_DEP_1) | instskip(NEXT) | instid1(VALU_DEP_1)
	v_fmac_f32_e32 v17, v19, v17
	v_mul_f32_e32 v19, v20, v17
	s_delay_alu instid0(VALU_DEP_1) | instskip(NEXT) | instid1(VALU_DEP_1)
	v_fma_f32 v21, v3, v19, v20
	v_fmac_f32_e32 v19, v21, v17
	s_delay_alu instid0(VALU_DEP_1) | instskip(NEXT) | instid1(VALU_DEP_1)
	v_fmac_f32_e32 v20, v3, v19
	v_div_fmas_f32 v3, v20, v17, v19
	v_pk_fma_f32 v[20:21], v[0:1], v[16:17], v[0:1] op_sel:[1,0,0] op_sel_hi:[0,0,1] neg_lo:[1,0,0] neg_hi:[1,0,0]
	v_pk_fma_f32 v[0:1], v[0:1], v[16:17], v[0:1] op_sel:[1,0,0] op_sel_hi:[0,0,1]
	s_delay_alu instid0(VALU_DEP_3) | instskip(NEXT) | instid1(VALU_DEP_3)
	v_div_fixup_f32 v2, v3, v2, 1.0
	v_mov_b32_e32 v1, v21
	s_delay_alu instid0(VALU_DEP_1)
	v_pk_mul_f32 v[16:17], v[0:1], v[2:3] op_sel_hi:[1,0]
	s_branch .LBB177_112
.LBB177_119:                            ;   in Loop: Header=BB177_3 Depth=1
	s_mov_b32 s3, 0
.LBB177_120:                            ;   in Loop: Header=BB177_3 Depth=1
	s_delay_alu instid0(SALU_CYCLE_1)
	s_and_not1_b32 vcc_lo, exec_lo, s3
	s_cbranch_vccnz .LBB177_152
; %bb.121:                              ;   in Loop: Header=BB177_3 Depth=1
	s_and_not1_b32 vcc_lo, exec_lo, s42
	s_mov_b32 s30, 0
	s_cbranch_vccnz .LBB177_143
; %bb.122:                              ;   in Loop: Header=BB177_3 Depth=1
	s_mov_b32 s3, 0
	s_mov_b32 s18, 0
.LBB177_123:                            ;   Parent Loop BB177_3 Depth=1
                                        ; =>  This Loop Header: Depth=2
                                        ;       Child Loop BB177_124 Depth 3
	s_delay_alu instid0(SALU_CYCLE_1)
	s_or_b32 s34, s18, 1
	v_lshl_add_u32 v30, s18, 9, v24
	s_or_b32 s31, s18, 2
	s_or_b32 s30, s18, 3
	v_lshl_add_u32 v29, s34, 9, v24
	v_lshl_add_u32 v28, s31, 9, v24
	;; [unrolled: 1-line block ×3, first 2 shown]
	ds_load_b64 v[0:1], v30
	ds_load_b64 v[22:23], v29
	;; [unrolled: 1-line block ×4, first 2 shown]
	v_mov_b32_e32 v2, v24
	s_cmp_eq_u32 s18, 0
	s_mov_b32 s35, s3
	s_mov_b32 s49, s18
	s_cbranch_scc1 .LBB177_125
.LBB177_124:                            ;   Parent Loop BB177_3 Depth=1
                                        ;     Parent Loop BB177_123 Depth=2
                                        ; =>    This Inner Loop Header: Depth=3
	v_mov_b32_e32 v3, s35
	s_add_co_i32 s49, s49, -1
	s_add_co_i32 s35, s35, 8
	s_cmp_eq_u32 s49, 0
	ds_load_b64 v[20:21], v2
	ds_load_2addr_stride64_b64 v[32:35], v3 offset1:1
	ds_load_2addr_stride64_b64 v[36:39], v3 offset0:2 offset1:3
	s_wait_dscnt 0x1
	v_dual_mul_f32 v3, v33, v21 :: v_dual_add_nc_u32 v2, 0x200, v2
	v_dual_mul_f32 v31, v32, v21 :: v_dual_mul_f32 v44, v35, v21
	v_mul_f32_e32 v45, v35, v20
	s_wait_dscnt 0x0
	v_pk_mul_f32 v[40:41], v[36:37], v[20:21] op_sel:[0,1]
	v_pk_mul_f32 v[42:43], v[38:39], v[20:21] op_sel:[0,1]
	v_dual_fma_f32 v3, v32, v20, -v3 :: v_dual_fma_f32 v44, v34, v20, -v44
	v_dual_fmac_f32 v31, v33, v20 :: v_dual_fmac_f32 v45, v34, v21
	s_delay_alu instid0(VALU_DEP_4) | instskip(NEXT) | instid1(VALU_DEP_4)
	v_pk_fma_f32 v[32:33], v[36:37], v[20:21], v[40:41] op_sel:[0,0,1] op_sel_hi:[1,0,0]
	v_pk_fma_f32 v[34:35], v[38:39], v[20:21], v[42:43] op_sel:[0,0,1] op_sel_hi:[1,0,0]
	v_pk_fma_f32 v[36:37], v[36:37], v[20:21], v[40:41] op_sel:[0,0,1] op_sel_hi:[1,1,0] neg_lo:[0,0,1] neg_hi:[0,0,1]
	v_pk_fma_f32 v[20:21], v[38:39], v[20:21], v[42:43] op_sel:[0,0,1] op_sel_hi:[1,1,0] neg_lo:[0,0,1] neg_hi:[0,0,1]
	s_delay_alu instid0(VALU_DEP_4) | instskip(NEXT) | instid1(VALU_DEP_4)
	v_dual_sub_f32 v0, v0, v3 :: v_dual_mov_b32 v37, v33
	v_dual_mov_b32 v21, v35 :: v_dual_sub_f32 v1, v1, v31
	v_dual_sub_f32 v22, v22, v44 :: v_dual_sub_f32 v23, v23, v45
	s_delay_alu instid0(VALU_DEP_3) | instskip(NEXT) | instid1(VALU_DEP_3)
	v_pk_add_f32 v[18:19], v[18:19], v[36:37] neg_lo:[0,1] neg_hi:[0,1]
	v_pk_add_f32 v[16:17], v[16:17], v[20:21] neg_lo:[0,1] neg_hi:[0,1]
	s_cbranch_scc0 .LBB177_124
.LBB177_125:                            ;   in Loop: Header=BB177_123 Depth=2
	s_mul_i32 s49, s18, 0x208
	s_lshl_b32 s34, s34, 6
	v_mov_b32_e32 v2, s49
	s_lshl_b32 s35, s31, 6
	s_lshl_b32 s30, s30, 6
	s_mov_b32 s49, -1
	ds_load_b64 v[2:3], v2
	s_wait_dscnt 0x0
	v_and_b32_e32 v20, 0x7fffffff, v2
	v_and_b32_e32 v21, 0x7fffffff, v3
	s_delay_alu instid0(VALU_DEP_1)
	v_cmp_ngt_f32_e32 vcc_lo, v20, v21
                                        ; implicit-def: $vgpr21
	s_cbranch_vccz .LBB177_127
; %bb.126:                              ;   in Loop: Header=BB177_123 Depth=2
	v_div_scale_f32 v20, null, v3, v3, v2
	v_div_scale_f32 v32, vcc_lo, v2, v3, v2
	s_mov_b32 s49, 0
	v_rcp_f32_e32 v21, v20
	v_nop
	v_xor_b32_e32 v20, 0x80000000, v20
	s_delay_alu instid0(TRANS32_DEP_1) | instid1(VALU_DEP_1)
	v_fma_f32 v31, v20, v21, 1.0
	s_delay_alu instid0(VALU_DEP_1) | instskip(NEXT) | instid1(VALU_DEP_1)
	v_fmac_f32_e32 v21, v31, v21
	v_mul_f32_e32 v31, v32, v21
	s_delay_alu instid0(VALU_DEP_1) | instskip(NEXT) | instid1(VALU_DEP_1)
	v_fma_f32 v33, v20, v31, v32
	v_fmac_f32_e32 v31, v33, v21
	s_delay_alu instid0(VALU_DEP_1) | instskip(NEXT) | instid1(VALU_DEP_1)
	v_fmac_f32_e32 v32, v20, v31
	v_div_fmas_f32 v20, v32, v21, v31
	s_delay_alu instid0(VALU_DEP_1) | instskip(NEXT) | instid1(VALU_DEP_1)
	v_div_fixup_f32 v20, v20, v3, v2
	v_fma_f32 v21, v2, v20, v3
	s_delay_alu instid0(VALU_DEP_1) | instskip(SKIP_1) | instid1(VALU_DEP_2)
	v_div_scale_f32 v31, null, v21, v21, 1.0
	v_div_scale_f32 v34, vcc_lo, 1.0, v21, 1.0
	v_rcp_f32_e32 v32, v31
	v_nop
	v_xor_b32_e32 v31, 0x80000000, v31
	s_delay_alu instid0(TRANS32_DEP_1) | instid1(VALU_DEP_1)
	v_fma_f32 v33, v31, v32, 1.0
	s_delay_alu instid0(VALU_DEP_1) | instskip(NEXT) | instid1(VALU_DEP_1)
	v_fmac_f32_e32 v32, v33, v32
	v_mul_f32_e32 v33, v34, v32
	s_delay_alu instid0(VALU_DEP_1) | instskip(NEXT) | instid1(VALU_DEP_1)
	v_fma_f32 v35, v31, v33, v34
	v_fmac_f32_e32 v33, v35, v32
	s_delay_alu instid0(VALU_DEP_1) | instskip(NEXT) | instid1(VALU_DEP_1)
	v_fmac_f32_e32 v34, v31, v33
	v_div_fmas_f32 v31, v34, v32, v33
	v_fma_f32 v32, v0, v20, v1
	s_delay_alu instid0(VALU_DEP_2) | instskip(NEXT) | instid1(VALU_DEP_1)
	v_div_fixup_f32 v21, v31, v21, 1.0
	v_dual_fma_f32 v31, v1, v20, -v0 :: v_dual_mul_f32 v20, v32, v21
	s_delay_alu instid0(VALU_DEP_1)
	v_mul_f32_e32 v21, v31, v21
.LBB177_127:                            ;   in Loop: Header=BB177_123 Depth=2
	s_and_not1_b32 vcc_lo, exec_lo, s49
	s_cbranch_vccnz .LBB177_129
; %bb.128:                              ;   in Loop: Header=BB177_123 Depth=2
	v_div_scale_f32 v20, null, v2, v2, v3
	v_div_scale_f32 v32, vcc_lo, v3, v2, v3
	s_delay_alu instid0(VALU_DEP_2)
	v_rcp_f32_e32 v21, v20
	v_nop
	v_xor_b32_e32 v20, 0x80000000, v20
	s_delay_alu instid0(TRANS32_DEP_1) | instid1(VALU_DEP_1)
	v_fma_f32 v31, v20, v21, 1.0
	s_delay_alu instid0(VALU_DEP_1) | instskip(NEXT) | instid1(VALU_DEP_1)
	v_fmac_f32_e32 v21, v31, v21
	v_mul_f32_e32 v31, v32, v21
	s_delay_alu instid0(VALU_DEP_1) | instskip(NEXT) | instid1(VALU_DEP_1)
	v_fma_f32 v33, v20, v31, v32
	v_fmac_f32_e32 v31, v33, v21
	s_delay_alu instid0(VALU_DEP_1) | instskip(NEXT) | instid1(VALU_DEP_1)
	v_fmac_f32_e32 v32, v20, v31
	v_div_fmas_f32 v20, v32, v21, v31
	s_delay_alu instid0(VALU_DEP_1) | instskip(NEXT) | instid1(VALU_DEP_1)
	v_div_fixup_f32 v20, v20, v2, v3
	v_fmac_f32_e32 v2, v3, v20
	s_delay_alu instid0(VALU_DEP_1) | instskip(SKIP_1) | instid1(VALU_DEP_2)
	v_div_scale_f32 v3, null, v2, v2, 1.0
	v_div_scale_f32 v32, vcc_lo, 1.0, v2, 1.0
	v_rcp_f32_e32 v21, v3
	v_nop
	v_xor_b32_e32 v3, 0x80000000, v3
	s_delay_alu instid0(TRANS32_DEP_1) | instid1(VALU_DEP_1)
	v_fma_f32 v31, v3, v21, 1.0
	s_delay_alu instid0(VALU_DEP_1) | instskip(NEXT) | instid1(VALU_DEP_1)
	v_fmac_f32_e32 v21, v31, v21
	v_mul_f32_e32 v31, v32, v21
	s_delay_alu instid0(VALU_DEP_1) | instskip(NEXT) | instid1(VALU_DEP_1)
	v_fma_f32 v33, v3, v31, v32
	v_fmac_f32_e32 v31, v33, v21
	s_delay_alu instid0(VALU_DEP_1) | instskip(NEXT) | instid1(VALU_DEP_1)
	v_fmac_f32_e32 v32, v3, v31
	v_div_fmas_f32 v3, v32, v21, v31
	v_dual_fma_f32 v21, v1, v20, v0 :: v_dual_fma_f32 v0, -v0, v20, v1
	s_delay_alu instid0(VALU_DEP_2) | instskip(NEXT) | instid1(VALU_DEP_1)
	v_div_fixup_f32 v2, v3, v2, 1.0
	v_dual_mul_f32 v20, v21, v2 :: v_dual_mul_f32 v21, v0, v2
.LBB177_129:                            ;   in Loop: Header=BB177_123 Depth=2
	s_lshl_b32 s49, s34, 3
	s_lshl_b32 s34, s18, 3
	ds_store_b64 v30, v[20:21]
	s_add_co_i32 s49, s49, s34
	s_delay_alu instid0(SALU_CYCLE_1)
	v_mov_b32_e32 v0, s49
	s_mov_b32 s49, -1
	ds_load_b128 v[0:3], v0
	s_wait_dscnt 0x0
	v_dual_mul_f32 v31, v21, v1 :: v_dual_mul_f32 v1, v20, v1
	v_and_b32_e32 v32, 0x7fffffff, v2
	v_and_b32_e32 v33, 0x7fffffff, v3
	s_delay_alu instid0(VALU_DEP_3) | instskip(NEXT) | instid1(VALU_DEP_2)
	v_dual_fma_f32 v31, v20, v0, -v31 :: v_dual_fmac_f32 v1, v21, v0
	v_cmp_ngt_f32_e32 vcc_lo, v32, v33
	s_delay_alu instid0(VALU_DEP_2)
	v_dual_sub_f32 v0, v22, v31 :: v_dual_sub_f32 v1, v23, v1
                                        ; implicit-def: $vgpr23
	s_cbranch_vccz .LBB177_131
; %bb.130:                              ;   in Loop: Header=BB177_123 Depth=2
	v_div_scale_f32 v22, null, v3, v3, v2
	v_div_scale_f32 v31, vcc_lo, v2, v3, v2
	s_mov_b32 s49, 0
	v_rcp_f32_e32 v23, v22
	v_nop
	v_xor_b32_e32 v22, 0x80000000, v22
	s_delay_alu instid0(TRANS32_DEP_1) | instid1(VALU_DEP_1)
	v_fma_f32 v30, v22, v23, 1.0
	s_delay_alu instid0(VALU_DEP_1) | instskip(NEXT) | instid1(VALU_DEP_1)
	v_fmac_f32_e32 v23, v30, v23
	v_mul_f32_e32 v30, v31, v23
	s_delay_alu instid0(VALU_DEP_1) | instskip(NEXT) | instid1(VALU_DEP_1)
	v_fma_f32 v32, v22, v30, v31
	v_fmac_f32_e32 v30, v32, v23
	s_delay_alu instid0(VALU_DEP_1) | instskip(NEXT) | instid1(VALU_DEP_1)
	v_fmac_f32_e32 v31, v22, v30
	v_div_fmas_f32 v22, v31, v23, v30
	s_delay_alu instid0(VALU_DEP_1) | instskip(NEXT) | instid1(VALU_DEP_1)
	v_div_fixup_f32 v22, v22, v3, v2
	v_fma_f32 v23, v2, v22, v3
	s_delay_alu instid0(VALU_DEP_1) | instskip(SKIP_1) | instid1(VALU_DEP_2)
	v_div_scale_f32 v30, null, v23, v23, 1.0
	v_div_scale_f32 v33, vcc_lo, 1.0, v23, 1.0
	v_rcp_f32_e32 v31, v30
	v_nop
	v_xor_b32_e32 v30, 0x80000000, v30
	s_delay_alu instid0(TRANS32_DEP_1) | instid1(VALU_DEP_1)
	v_fma_f32 v32, v30, v31, 1.0
	s_delay_alu instid0(VALU_DEP_1) | instskip(NEXT) | instid1(VALU_DEP_1)
	v_fmac_f32_e32 v31, v32, v31
	v_mul_f32_e32 v32, v33, v31
	s_delay_alu instid0(VALU_DEP_1) | instskip(NEXT) | instid1(VALU_DEP_1)
	v_fma_f32 v34, v30, v32, v33
	v_fmac_f32_e32 v32, v34, v31
	s_delay_alu instid0(VALU_DEP_1) | instskip(NEXT) | instid1(VALU_DEP_1)
	v_fmac_f32_e32 v33, v30, v32
	v_div_fmas_f32 v30, v33, v31, v32
	v_fma_f32 v31, v22, v0, v1
	s_delay_alu instid0(VALU_DEP_2) | instskip(NEXT) | instid1(VALU_DEP_1)
	v_div_fixup_f32 v23, v30, v23, 1.0
	v_dual_fma_f32 v30, v22, v1, -v0 :: v_dual_mul_f32 v22, v31, v23
	s_delay_alu instid0(VALU_DEP_1)
	v_mul_f32_e32 v23, v30, v23
.LBB177_131:                            ;   in Loop: Header=BB177_123 Depth=2
	s_and_not1_b32 vcc_lo, exec_lo, s49
	s_cbranch_vccnz .LBB177_133
; %bb.132:                              ;   in Loop: Header=BB177_123 Depth=2
	v_div_scale_f32 v22, null, v2, v2, v3
	v_div_scale_f32 v31, vcc_lo, v3, v2, v3
	s_delay_alu instid0(VALU_DEP_2)
	v_rcp_f32_e32 v23, v22
	v_nop
	v_xor_b32_e32 v22, 0x80000000, v22
	s_delay_alu instid0(TRANS32_DEP_1) | instid1(VALU_DEP_1)
	v_fma_f32 v30, v22, v23, 1.0
	s_delay_alu instid0(VALU_DEP_1) | instskip(NEXT) | instid1(VALU_DEP_1)
	v_fmac_f32_e32 v23, v30, v23
	v_mul_f32_e32 v30, v31, v23
	s_delay_alu instid0(VALU_DEP_1) | instskip(NEXT) | instid1(VALU_DEP_1)
	v_fma_f32 v32, v22, v30, v31
	v_fmac_f32_e32 v30, v32, v23
	s_delay_alu instid0(VALU_DEP_1) | instskip(NEXT) | instid1(VALU_DEP_1)
	v_fmac_f32_e32 v31, v22, v30
	v_div_fmas_f32 v22, v31, v23, v30
	s_delay_alu instid0(VALU_DEP_1) | instskip(NEXT) | instid1(VALU_DEP_1)
	v_div_fixup_f32 v22, v22, v2, v3
	v_fmac_f32_e32 v2, v3, v22
	s_delay_alu instid0(VALU_DEP_1) | instskip(SKIP_1) | instid1(VALU_DEP_2)
	v_div_scale_f32 v3, null, v2, v2, 1.0
	v_div_scale_f32 v31, vcc_lo, 1.0, v2, 1.0
	v_rcp_f32_e32 v23, v3
	v_nop
	v_xor_b32_e32 v3, 0x80000000, v3
	s_delay_alu instid0(TRANS32_DEP_1) | instid1(VALU_DEP_1)
	v_fma_f32 v30, v3, v23, 1.0
	s_delay_alu instid0(VALU_DEP_1) | instskip(NEXT) | instid1(VALU_DEP_1)
	v_fmac_f32_e32 v23, v30, v23
	v_mul_f32_e32 v30, v31, v23
	s_delay_alu instid0(VALU_DEP_1) | instskip(NEXT) | instid1(VALU_DEP_1)
	v_fma_f32 v32, v3, v30, v31
	v_fmac_f32_e32 v30, v32, v23
	s_delay_alu instid0(VALU_DEP_1) | instskip(NEXT) | instid1(VALU_DEP_1)
	v_fmac_f32_e32 v31, v3, v30
	v_div_fmas_f32 v3, v31, v23, v30
	v_dual_fma_f32 v23, v22, v1, v0 :: v_dual_fma_f32 v0, -v22, v0, v1
	s_delay_alu instid0(VALU_DEP_2) | instskip(NEXT) | instid1(VALU_DEP_1)
	v_div_fixup_f32 v2, v3, v2, 1.0
	v_dual_mul_f32 v22, v23, v2 :: v_dual_mul_f32 v23, v0, v2
.LBB177_133:                            ;   in Loop: Header=BB177_123 Depth=2
	s_lshl_b32 s35, s35, 3
	s_lshl_b32 s31, s31, 3
	s_add_co_i32 s49, s35, s34
	s_add_co_i32 s31, s35, s31
	v_dual_mov_b32 v0, s49 :: v_dual_mov_b32 v2, v21
	ds_store_b64 v29, v[22:23]
	v_mov_b32_e32 v34, v23
	ds_load_b128 v[30:33], v0
	v_mov_b32_e32 v0, s31
	s_mov_b32 s31, -1
	ds_load_b64 v[0:1], v0
	s_wait_dscnt 0x1
	v_pk_mul_f32 v[2:3], v[2:3], v[30:31] op_sel_hi:[0,1]
	v_pk_mul_f32 v[34:35], v[34:35], v[32:33] op_sel_hi:[0,1]
	s_delay_alu instid0(VALU_DEP_2) | instskip(SKIP_1) | instid1(VALU_DEP_3)
	v_pk_fma_f32 v[36:37], v[20:21], v[30:31], v[2:3] op_sel:[0,0,1] op_sel_hi:[0,1,0]
	v_pk_fma_f32 v[2:3], v[20:21], v[30:31], v[2:3] op_sel:[0,0,1] op_sel_hi:[1,1,0] neg_lo:[0,0,1] neg_hi:[0,0,1]
	v_pk_fma_f32 v[30:31], v[22:23], v[32:33], v[34:35] op_sel:[0,0,1] op_sel_hi:[0,1,0]
	s_wait_dscnt 0x0
	v_and_b32_e32 v30, 0x7fffffff, v0
	v_and_b32_e32 v36, 0x7fffffff, v1
	v_mov_b32_e32 v3, v37
	v_pk_fma_f32 v[32:33], v[22:23], v[32:33], v[34:35] op_sel:[0,0,1] op_sel_hi:[1,1,0] neg_lo:[0,0,1] neg_hi:[0,0,1]
	v_mov_b32_e32 v33, v31
	s_delay_alu instid0(VALU_DEP_4) | instskip(NEXT) | instid1(VALU_DEP_4)
	v_cmp_ngt_f32_e32 vcc_lo, v30, v36
	v_pk_add_f32 v[2:3], v[18:19], v[2:3] neg_lo:[0,1] neg_hi:[0,1]
                                        ; implicit-def: $vgpr18_vgpr19
	s_delay_alu instid0(VALU_DEP_1)
	v_pk_add_f32 v[2:3], v[2:3], v[32:33] neg_lo:[0,1] neg_hi:[0,1]
	s_cbranch_vccz .LBB177_135
; %bb.134:                              ;   in Loop: Header=BB177_123 Depth=2
	v_div_scale_f32 v18, null, v1, v1, v0
	v_div_scale_f32 v30, vcc_lo, v0, v1, v0
	s_mov_b32 s31, 0
	v_rcp_f32_e32 v19, v18
	v_nop
	v_xor_b32_e32 v18, 0x80000000, v18
	s_delay_alu instid0(TRANS32_DEP_1) | instid1(VALU_DEP_1)
	v_fma_f32 v29, v18, v19, 1.0
	s_delay_alu instid0(VALU_DEP_1) | instskip(NEXT) | instid1(VALU_DEP_1)
	v_fmac_f32_e32 v19, v29, v19
	v_mul_f32_e32 v29, v30, v19
	s_delay_alu instid0(VALU_DEP_1) | instskip(NEXT) | instid1(VALU_DEP_1)
	v_fma_f32 v31, v18, v29, v30
	v_fmac_f32_e32 v29, v31, v19
	s_delay_alu instid0(VALU_DEP_1) | instskip(NEXT) | instid1(VALU_DEP_1)
	v_fmac_f32_e32 v30, v18, v29
	v_div_fmas_f32 v18, v30, v19, v29
	s_delay_alu instid0(VALU_DEP_1) | instskip(NEXT) | instid1(VALU_DEP_1)
	v_div_fixup_f32 v18, v18, v1, v0
	v_fma_f32 v19, v0, v18, v1
	s_delay_alu instid0(VALU_DEP_1) | instskip(SKIP_1) | instid1(VALU_DEP_2)
	v_div_scale_f32 v29, null, v19, v19, 1.0
	v_div_scale_f32 v32, vcc_lo, 1.0, v19, 1.0
	v_rcp_f32_e32 v31, v29
	v_nop
	v_xor_b32_e32 v29, 0x80000000, v29
	s_delay_alu instid0(TRANS32_DEP_1) | instid1(VALU_DEP_1)
	v_fma_f32 v30, v29, v31, 1.0
	s_delay_alu instid0(VALU_DEP_1) | instskip(NEXT) | instid1(VALU_DEP_1)
	v_fmac_f32_e32 v31, v30, v31
	v_mul_f32_e32 v33, v32, v31
	s_delay_alu instid0(VALU_DEP_1) | instskip(NEXT) | instid1(VALU_DEP_1)
	v_fma_f32 v30, v29, v33, v32
	v_dual_fmac_f32 v33, v30, v31 :: v_dual_mov_b32 v30, v3
	s_delay_alu instid0(VALU_DEP_1) | instskip(NEXT) | instid1(VALU_DEP_1)
	v_fmac_f32_e32 v32, v29, v33
	v_div_fmas_f32 v29, v32, v31, v33
	s_delay_alu instid0(VALU_DEP_3) | instskip(NEXT) | instid1(VALU_DEP_2)
	v_pk_fma_f32 v[30:31], v[18:19], v[2:3], v[30:31]
	v_div_fixup_f32 v31, v29, v19, 1.0
	s_delay_alu instid0(VALU_DEP_1) | instskip(NEXT) | instid1(VALU_DEP_1)
	v_dual_fma_f32 v19, v18, v3, -v2 :: v_dual_mov_b32 v18, v31
	v_pk_mul_f32 v[18:19], v[30:31], v[18:19]
.LBB177_135:                            ;   in Loop: Header=BB177_123 Depth=2
	s_and_not1_b32 vcc_lo, exec_lo, s31
	s_cbranch_vccnz .LBB177_137
; %bb.136:                              ;   in Loop: Header=BB177_123 Depth=2
	v_div_scale_f32 v18, null, v0, v0, v1
	v_div_scale_f32 v30, vcc_lo, v1, v0, v1
	s_delay_alu instid0(VALU_DEP_2)
	v_rcp_f32_e32 v19, v18
	v_nop
	v_xor_b32_e32 v18, 0x80000000, v18
	s_delay_alu instid0(TRANS32_DEP_1) | instid1(VALU_DEP_1)
	v_fma_f32 v29, v18, v19, 1.0
	s_delay_alu instid0(VALU_DEP_1) | instskip(NEXT) | instid1(VALU_DEP_1)
	v_fmac_f32_e32 v19, v29, v19
	v_mul_f32_e32 v29, v30, v19
	s_delay_alu instid0(VALU_DEP_1) | instskip(NEXT) | instid1(VALU_DEP_1)
	v_fma_f32 v31, v18, v29, v30
	v_fmac_f32_e32 v29, v31, v19
	s_delay_alu instid0(VALU_DEP_1) | instskip(NEXT) | instid1(VALU_DEP_1)
	v_fmac_f32_e32 v30, v18, v29
	v_div_fmas_f32 v18, v30, v19, v29
	s_delay_alu instid0(VALU_DEP_1) | instskip(NEXT) | instid1(VALU_DEP_1)
	v_div_fixup_f32 v18, v18, v0, v1
	v_fmac_f32_e32 v0, v1, v18
	s_delay_alu instid0(VALU_DEP_1) | instskip(SKIP_1) | instid1(VALU_DEP_2)
	v_div_scale_f32 v1, null, v0, v0, 1.0
	v_div_scale_f32 v30, vcc_lo, 1.0, v0, 1.0
	v_rcp_f32_e32 v19, v1
	v_nop
	v_xor_b32_e32 v1, 0x80000000, v1
	s_delay_alu instid0(TRANS32_DEP_1) | instid1(VALU_DEP_1)
	v_fma_f32 v29, v1, v19, 1.0
	s_delay_alu instid0(VALU_DEP_1) | instskip(NEXT) | instid1(VALU_DEP_1)
	v_fmac_f32_e32 v19, v29, v19
	v_mul_f32_e32 v29, v30, v19
	s_delay_alu instid0(VALU_DEP_1) | instskip(NEXT) | instid1(VALU_DEP_1)
	v_fma_f32 v31, v1, v29, v30
	v_fmac_f32_e32 v29, v31, v19
	s_delay_alu instid0(VALU_DEP_1) | instskip(NEXT) | instid1(VALU_DEP_1)
	v_fmac_f32_e32 v30, v1, v29
	v_div_fmas_f32 v1, v30, v19, v29
	v_pk_fma_f32 v[30:31], v[18:19], v[2:3], v[2:3] op_sel:[0,1,0] op_sel_hi:[0,0,1] neg_lo:[1,0,0] neg_hi:[1,0,0]
	v_pk_fma_f32 v[2:3], v[18:19], v[2:3], v[2:3] op_sel:[0,1,0] op_sel_hi:[1,0,1]
	s_delay_alu instid0(VALU_DEP_3) | instskip(NEXT) | instid1(VALU_DEP_3)
	v_div_fixup_f32 v0, v1, v0, 1.0
	v_mov_b32_e32 v3, v31
	s_delay_alu instid0(VALU_DEP_1)
	v_pk_mul_f32 v[18:19], v[2:3], v[0:1] op_sel_hi:[1,0]
.LBB177_137:                            ;   in Loop: Header=BB177_123 Depth=2
	s_lshl_b32 s30, s30, 3
	v_mov_b32_e32 v35, v21
	s_add_co_i32 s30, s30, s34
	v_dual_mov_b32 v36, v23 :: v_dual_mov_b32 v37, v23
	v_dual_mov_b32 v0, s30 :: v_dual_mov_b32 v34, v21
	v_mov_b32_e32 v21, v20
	s_mov_b32 s30, -1
	ds_load_b128 v[30:33], v0
	ds_load_b128 v[0:3], v0 offset:16
	ds_store_b64 v28, v[18:19]
	s_wait_dscnt 0x2
	v_pk_mul_f32 v[34:35], v[34:35], v[30:31]
	v_pk_mul_f32 v[36:37], v[36:37], v[32:33]
	s_wait_dscnt 0x1
	v_and_b32_e32 v29, 0x7fffffff, v3
	s_delay_alu instid0(VALU_DEP_3) | instskip(SKIP_3) | instid1(VALU_DEP_4)
	v_pk_fma_f32 v[38:39], v[20:21], v[30:31], v[34:35] op_sel:[0,0,1] op_sel_hi:[1,1,0]
	v_mov_b32_e32 v23, v22
	v_pk_fma_f32 v[20:21], v[20:21], v[30:31], v[34:35] op_sel:[0,0,1] op_sel_hi:[1,1,0] neg_lo:[0,0,1] neg_hi:[0,0,1]
	v_pk_mul_f32 v[34:35], v[18:19], v[0:1] op_sel:[1,1] op_sel_hi:[1,0]
	v_mov_b32_e32 v21, v39
	s_delay_alu instid0(VALU_DEP_4) | instskip(SKIP_1) | instid1(VALU_DEP_3)
	v_pk_fma_f32 v[30:31], v[22:23], v[32:33], v[36:37] op_sel:[0,0,1] op_sel_hi:[1,1,0]
	v_pk_fma_f32 v[22:23], v[22:23], v[32:33], v[36:37] op_sel:[0,0,1] op_sel_hi:[1,1,0] neg_lo:[0,0,1] neg_hi:[0,0,1]
	v_pk_add_f32 v[16:17], v[16:17], v[20:21] neg_lo:[0,1] neg_hi:[0,1]
	v_pk_fma_f32 v[20:21], v[18:19], v[0:1], v[34:35] op_sel_hi:[0,1,1]
	s_delay_alu instid0(VALU_DEP_4) | instskip(SKIP_2) | instid1(VALU_DEP_4)
	v_mov_b32_e32 v23, v31
	v_and_b32_e32 v20, 0x7fffffff, v2
	v_pk_fma_f32 v[0:1], v[18:19], v[0:1], v[34:35] neg_lo:[0,0,1] neg_hi:[0,0,1]
	v_mov_b32_e32 v1, v21
	s_delay_alu instid0(VALU_DEP_4) | instskip(NEXT) | instid1(VALU_DEP_4)
	v_pk_add_f32 v[16:17], v[16:17], v[22:23] neg_lo:[0,1] neg_hi:[0,1]
	v_cmp_ngt_f32_e32 vcc_lo, v20, v29
	s_delay_alu instid0(VALU_DEP_2)
	v_pk_add_f32 v[0:1], v[16:17], v[0:1] neg_lo:[0,1] neg_hi:[0,1]
                                        ; implicit-def: $vgpr16_vgpr17
	s_cbranch_vccz .LBB177_139
; %bb.138:                              ;   in Loop: Header=BB177_123 Depth=2
	v_div_scale_f32 v16, null, v3, v3, v2
	v_div_scale_f32 v19, vcc_lo, v2, v3, v2
	s_mov_b32 s30, 0
	v_rcp_f32_e32 v17, v16
	v_nop
	v_xor_b32_e32 v16, 0x80000000, v16
	s_delay_alu instid0(TRANS32_DEP_1) | instid1(VALU_DEP_1)
	v_fma_f32 v18, v16, v17, 1.0
	s_delay_alu instid0(VALU_DEP_1) | instskip(NEXT) | instid1(VALU_DEP_1)
	v_fmac_f32_e32 v17, v18, v17
	v_mul_f32_e32 v18, v19, v17
	s_delay_alu instid0(VALU_DEP_1) | instskip(NEXT) | instid1(VALU_DEP_1)
	v_fma_f32 v20, v16, v18, v19
	v_fmac_f32_e32 v18, v20, v17
	s_delay_alu instid0(VALU_DEP_1) | instskip(NEXT) | instid1(VALU_DEP_1)
	v_fmac_f32_e32 v19, v16, v18
	v_div_fmas_f32 v16, v19, v17, v18
	s_delay_alu instid0(VALU_DEP_1) | instskip(NEXT) | instid1(VALU_DEP_1)
	v_div_fixup_f32 v16, v16, v3, v2
	v_fma_f32 v17, v2, v16, v3
	s_delay_alu instid0(VALU_DEP_1) | instskip(NEXT) | instid1(VALU_DEP_1)
	v_div_scale_f32 v18, null, v17, v17, 1.0
	v_rcp_f32_e32 v19, v18
	v_nop
	v_xor_b32_e32 v18, 0x80000000, v18
	s_delay_alu instid0(TRANS32_DEP_1) | instid1(VALU_DEP_1)
	v_fma_f32 v20, v18, v19, 1.0
	s_delay_alu instid0(VALU_DEP_1) | instskip(SKIP_1) | instid1(VALU_DEP_1)
	v_fmac_f32_e32 v19, v20, v19
	v_div_scale_f32 v20, vcc_lo, 1.0, v17, 1.0
	v_mul_f32_e32 v21, v20, v19
	s_delay_alu instid0(VALU_DEP_1) | instskip(NEXT) | instid1(VALU_DEP_1)
	v_fma_f32 v22, v18, v21, v20
	v_fmac_f32_e32 v21, v22, v19
	s_delay_alu instid0(VALU_DEP_1) | instskip(NEXT) | instid1(VALU_DEP_1)
	v_dual_fmac_f32 v20, v18, v21 :: v_dual_mov_b32 v18, v1
	v_div_fmas_f32 v20, v20, v19, v21
	s_delay_alu instid0(VALU_DEP_2) | instskip(NEXT) | instid1(VALU_DEP_2)
	v_pk_fma_f32 v[18:19], v[16:17], v[0:1], v[18:19]
	v_div_fixup_f32 v19, v20, v17, 1.0
	s_delay_alu instid0(VALU_DEP_1) | instskip(NEXT) | instid1(VALU_DEP_1)
	v_dual_fma_f32 v17, v16, v1, -v0 :: v_dual_mov_b32 v16, v19
	v_pk_mul_f32 v[16:17], v[18:19], v[16:17]
.LBB177_139:                            ;   in Loop: Header=BB177_123 Depth=2
	s_and_not1_b32 vcc_lo, exec_lo, s30
	s_cbranch_vccnz .LBB177_141
; %bb.140:                              ;   in Loop: Header=BB177_123 Depth=2
	v_div_scale_f32 v16, null, v2, v2, v3
	v_div_scale_f32 v19, vcc_lo, v3, v2, v3
	s_delay_alu instid0(VALU_DEP_2)
	v_rcp_f32_e32 v17, v16
	v_nop
	v_xor_b32_e32 v16, 0x80000000, v16
	s_delay_alu instid0(TRANS32_DEP_1) | instid1(VALU_DEP_1)
	v_fma_f32 v18, v16, v17, 1.0
	s_delay_alu instid0(VALU_DEP_1) | instskip(NEXT) | instid1(VALU_DEP_1)
	v_fmac_f32_e32 v17, v18, v17
	v_mul_f32_e32 v18, v19, v17
	s_delay_alu instid0(VALU_DEP_1) | instskip(NEXT) | instid1(VALU_DEP_1)
	v_fma_f32 v20, v16, v18, v19
	v_fmac_f32_e32 v18, v20, v17
	s_delay_alu instid0(VALU_DEP_1) | instskip(NEXT) | instid1(VALU_DEP_1)
	v_fmac_f32_e32 v19, v16, v18
	v_div_fmas_f32 v16, v19, v17, v18
	s_delay_alu instid0(VALU_DEP_1) | instskip(NEXT) | instid1(VALU_DEP_1)
	v_div_fixup_f32 v16, v16, v2, v3
	v_fmac_f32_e32 v2, v3, v16
	s_delay_alu instid0(VALU_DEP_1) | instskip(SKIP_1) | instid1(VALU_DEP_2)
	v_div_scale_f32 v3, null, v2, v2, 1.0
	v_div_scale_f32 v19, vcc_lo, 1.0, v2, 1.0
	v_rcp_f32_e32 v17, v3
	v_nop
	v_xor_b32_e32 v3, 0x80000000, v3
	s_delay_alu instid0(TRANS32_DEP_1) | instid1(VALU_DEP_1)
	v_fma_f32 v18, v3, v17, 1.0
	s_delay_alu instid0(VALU_DEP_1) | instskip(NEXT) | instid1(VALU_DEP_1)
	v_fmac_f32_e32 v17, v18, v17
	v_mul_f32_e32 v18, v19, v17
	s_delay_alu instid0(VALU_DEP_1) | instskip(NEXT) | instid1(VALU_DEP_1)
	v_fma_f32 v20, v3, v18, v19
	v_fmac_f32_e32 v18, v20, v17
	s_delay_alu instid0(VALU_DEP_1) | instskip(NEXT) | instid1(VALU_DEP_1)
	v_fmac_f32_e32 v19, v3, v18
	v_div_fmas_f32 v3, v19, v17, v18
	v_pk_fma_f32 v[18:19], v[16:17], v[0:1], v[0:1] op_sel:[0,1,0] op_sel_hi:[0,0,1] neg_lo:[1,0,0] neg_hi:[1,0,0]
	v_pk_fma_f32 v[0:1], v[16:17], v[0:1], v[0:1] op_sel:[0,1,0] op_sel_hi:[1,0,1]
	s_delay_alu instid0(VALU_DEP_3) | instskip(NEXT) | instid1(VALU_DEP_3)
	v_div_fixup_f32 v2, v3, v2, 1.0
	v_mov_b32_e32 v1, v19
	s_delay_alu instid0(VALU_DEP_1)
	v_pk_mul_f32 v[16:17], v[0:1], v[2:3] op_sel_hi:[1,0]
.LBB177_141:                            ;   in Loop: Header=BB177_123 Depth=2
	s_add_co_i32 s30, s18, 4
	s_add_co_i32 s18, s18, 7
	s_addk_co_i32 s3, 0x800
	s_cmp_ge_i32 s18, s37
	ds_store_b64 v27, v[16:17]
	s_cbranch_scc1 .LBB177_143
; %bb.142:                              ;   in Loop: Header=BB177_123 Depth=2
	s_mov_b32 s18, s30
	s_branch .LBB177_123
.LBB177_143:                            ;   in Loop: Header=BB177_3 Depth=1
	s_cmp_ge_i32 s30, s37
	s_cbranch_scc1 .LBB177_152
; %bb.144:                              ;   in Loop: Header=BB177_3 Depth=1
	s_lshl_b32 s3, s30, 9
	s_branch .LBB177_146
.LBB177_145:                            ;   in Loop: Header=BB177_146 Depth=2
	s_add_co_i32 s30, s30, 1
	s_addk_co_i32 s3, 0x200
	s_cmp_ge_i32 s30, s37
	ds_store_b64 v18, v[16:17]
	s_cbranch_scc1 .LBB177_152
.LBB177_146:                            ;   Parent Loop BB177_3 Depth=1
                                        ; =>  This Loop Header: Depth=2
                                        ;       Child Loop BB177_147 Depth 3
	v_lshl_add_u32 v18, s30, 9, v24
	v_mov_b32_e32 v2, v24
	s_cmp_eq_u32 s30, 0
	s_mov_b32 s18, s3
	s_mov_b32 s31, s30
	ds_load_b64 v[0:1], v18
	s_cbranch_scc1 .LBB177_148
.LBB177_147:                            ;   Parent Loop BB177_3 Depth=1
                                        ;     Parent Loop BB177_146 Depth=2
                                        ; =>    This Inner Loop Header: Depth=3
	v_mov_b32_e32 v3, s18
	s_add_co_i32 s31, s31, -1
	s_add_co_i32 s18, s18, 8
	s_cmp_eq_u32 s31, 0
	ds_load_b64 v[16:17], v2
	ds_load_b64 v[20:21], v3
	v_add_nc_u32_e32 v2, 0x200, v2
	s_wait_dscnt 0x0
	v_pk_mul_f32 v[22:23], v[20:21], v[16:17] op_sel:[1,1] op_sel_hi:[0,1]
	s_delay_alu instid0(VALU_DEP_1) | instskip(SKIP_1) | instid1(VALU_DEP_2)
	v_pk_fma_f32 v[28:29], v[20:21], v[16:17], v[22:23] op_sel_hi:[1,0,1]
	v_pk_fma_f32 v[16:17], v[20:21], v[16:17], v[22:23] op_sel_hi:[1,0,1] neg_lo:[0,0,1] neg_hi:[0,0,1]
	v_mov_b32_e32 v17, v29
	s_delay_alu instid0(VALU_DEP_1)
	v_pk_add_f32 v[0:1], v[0:1], v[16:17] neg_lo:[0,1] neg_hi:[0,1]
	s_cbranch_scc0 .LBB177_147
.LBB177_148:                            ;   in Loop: Header=BB177_146 Depth=2
	s_mul_i32 s18, s30, 0x208
	s_delay_alu instid0(SALU_CYCLE_1)
	v_mov_b32_e32 v2, s18
	s_mov_b32 s18, -1
	ds_load_b64 v[2:3], v2
	s_wait_dscnt 0x0
	v_and_b32_e32 v16, 0x7fffffff, v2
	v_and_b32_e32 v17, 0x7fffffff, v3
	s_delay_alu instid0(VALU_DEP_1)
	v_cmp_ngt_f32_e32 vcc_lo, v16, v17
                                        ; implicit-def: $vgpr16_vgpr17
	s_cbranch_vccz .LBB177_150
; %bb.149:                              ;   in Loop: Header=BB177_146 Depth=2
	v_div_scale_f32 v16, null, v3, v3, v2
	v_div_scale_f32 v20, vcc_lo, v2, v3, v2
	s_mov_b32 s18, 0
	v_rcp_f32_e32 v17, v16
	v_nop
	v_xor_b32_e32 v16, 0x80000000, v16
	s_delay_alu instid0(TRANS32_DEP_1) | instid1(VALU_DEP_1)
	v_fma_f32 v19, v16, v17, 1.0
	s_delay_alu instid0(VALU_DEP_1) | instskip(NEXT) | instid1(VALU_DEP_1)
	v_fmac_f32_e32 v17, v19, v17
	v_mul_f32_e32 v19, v20, v17
	s_delay_alu instid0(VALU_DEP_1) | instskip(NEXT) | instid1(VALU_DEP_1)
	v_fma_f32 v21, v16, v19, v20
	v_fmac_f32_e32 v19, v21, v17
	s_delay_alu instid0(VALU_DEP_1) | instskip(NEXT) | instid1(VALU_DEP_1)
	v_fmac_f32_e32 v20, v16, v19
	v_div_fmas_f32 v16, v20, v17, v19
	s_delay_alu instid0(VALU_DEP_1) | instskip(NEXT) | instid1(VALU_DEP_1)
	v_div_fixup_f32 v16, v16, v3, v2
	v_fma_f32 v19, v2, v16, v3
	s_delay_alu instid0(VALU_DEP_1) | instskip(SKIP_1) | instid1(VALU_DEP_2)
	v_div_scale_f32 v17, null, v19, v19, 1.0
	v_div_scale_f32 v22, vcc_lo, 1.0, v19, 1.0
	v_rcp_f32_e32 v20, v17
	v_nop
	v_xor_b32_e32 v17, 0x80000000, v17
	s_delay_alu instid0(TRANS32_DEP_1) | instid1(VALU_DEP_1)
	v_fma_f32 v21, v17, v20, 1.0
	s_delay_alu instid0(VALU_DEP_1) | instskip(NEXT) | instid1(VALU_DEP_1)
	v_fmac_f32_e32 v20, v21, v20
	v_mul_f32_e32 v21, v22, v20
	s_delay_alu instid0(VALU_DEP_1) | instskip(NEXT) | instid1(VALU_DEP_1)
	v_fma_f32 v23, v17, v21, v22
	v_fmac_f32_e32 v21, v23, v20
	s_delay_alu instid0(VALU_DEP_1) | instskip(NEXT) | instid1(VALU_DEP_1)
	v_fmac_f32_e32 v22, v17, v21
	v_div_fmas_f32 v22, v22, v20, v21
	v_pk_fma_f32 v[20:21], v[0:1], v[16:17], v[0:1] op_sel:[0,0,1] op_sel_hi:[1,0,0] neg_lo:[0,0,1] neg_hi:[0,0,1]
	v_pk_fma_f32 v[16:17], v[0:1], v[16:17], v[0:1] op_sel:[0,0,1] op_sel_hi:[1,0,0]
	s_delay_alu instid0(VALU_DEP_3) | instskip(NEXT) | instid1(VALU_DEP_3)
	v_div_fixup_f32 v20, v22, v19, 1.0
	v_mov_b32_e32 v17, v21
	s_delay_alu instid0(VALU_DEP_1)
	v_pk_mul_f32 v[16:17], v[16:17], v[20:21] op_sel_hi:[1,0]
.LBB177_150:                            ;   in Loop: Header=BB177_146 Depth=2
	s_and_not1_b32 vcc_lo, exec_lo, s18
	s_cbranch_vccnz .LBB177_145
; %bb.151:                              ;   in Loop: Header=BB177_146 Depth=2
	v_div_scale_f32 v16, null, v2, v2, v3
	v_div_scale_f32 v20, vcc_lo, v3, v2, v3
	s_delay_alu instid0(VALU_DEP_2)
	v_rcp_f32_e32 v17, v16
	v_nop
	v_xor_b32_e32 v16, 0x80000000, v16
	s_delay_alu instid0(TRANS32_DEP_1) | instid1(VALU_DEP_1)
	v_fma_f32 v19, v16, v17, 1.0
	s_delay_alu instid0(VALU_DEP_1) | instskip(NEXT) | instid1(VALU_DEP_1)
	v_fmac_f32_e32 v17, v19, v17
	v_mul_f32_e32 v19, v20, v17
	s_delay_alu instid0(VALU_DEP_1) | instskip(NEXT) | instid1(VALU_DEP_1)
	v_fma_f32 v21, v16, v19, v20
	v_fmac_f32_e32 v19, v21, v17
	s_delay_alu instid0(VALU_DEP_1) | instskip(NEXT) | instid1(VALU_DEP_1)
	v_fmac_f32_e32 v20, v16, v19
	v_div_fmas_f32 v16, v20, v17, v19
	s_delay_alu instid0(VALU_DEP_1) | instskip(NEXT) | instid1(VALU_DEP_1)
	v_div_fixup_f32 v16, v16, v2, v3
	v_fmac_f32_e32 v2, v3, v16
	s_delay_alu instid0(VALU_DEP_1) | instskip(SKIP_1) | instid1(VALU_DEP_2)
	v_div_scale_f32 v3, null, v2, v2, 1.0
	v_div_scale_f32 v20, vcc_lo, 1.0, v2, 1.0
	v_rcp_f32_e32 v17, v3
	v_nop
	v_xor_b32_e32 v3, 0x80000000, v3
	s_delay_alu instid0(TRANS32_DEP_1) | instid1(VALU_DEP_1)
	v_fma_f32 v19, v3, v17, 1.0
	s_delay_alu instid0(VALU_DEP_1) | instskip(NEXT) | instid1(VALU_DEP_1)
	v_fmac_f32_e32 v17, v19, v17
	v_mul_f32_e32 v19, v20, v17
	s_delay_alu instid0(VALU_DEP_1) | instskip(NEXT) | instid1(VALU_DEP_1)
	v_fma_f32 v21, v3, v19, v20
	v_fmac_f32_e32 v19, v21, v17
	s_delay_alu instid0(VALU_DEP_1) | instskip(NEXT) | instid1(VALU_DEP_1)
	v_fmac_f32_e32 v20, v3, v19
	v_div_fmas_f32 v3, v20, v17, v19
	v_pk_fma_f32 v[20:21], v[0:1], v[16:17], v[0:1] op_sel:[1,0,0] op_sel_hi:[0,0,1] neg_lo:[1,0,0] neg_hi:[1,0,0]
	v_pk_fma_f32 v[0:1], v[0:1], v[16:17], v[0:1] op_sel:[1,0,0] op_sel_hi:[0,0,1]
	s_delay_alu instid0(VALU_DEP_3) | instskip(NEXT) | instid1(VALU_DEP_3)
	v_div_fixup_f32 v2, v3, v2, 1.0
	v_mov_b32_e32 v1, v21
	s_delay_alu instid0(VALU_DEP_1)
	v_pk_mul_f32 v[16:17], v[0:1], v[2:3] op_sel_hi:[1,0]
	s_branch .LBB177_145
.LBB177_152:                            ;   in Loop: Header=BB177_3 Depth=1
	s_and_saveexec_b32 s3, s43
	s_cbranch_execz .LBB177_2
; %bb.153:                              ;   in Loop: Header=BB177_3 Depth=1
	v_add_nc_u64_e32 v[0:1], s[28:29], v[8:9]
	v_mov_b32_e32 v2, v24
	s_mov_b32 s18, s16
.LBB177_154:                            ;   Parent Loop BB177_3 Depth=1
                                        ; =>  This Inner Loop Header: Depth=2
	ds_load_b64 v[16:17], v2
	v_add_nc_u32_e32 v2, 0x200, v2
	s_add_co_i32 s18, s18, -1
	s_delay_alu instid0(SALU_CYCLE_1)
	s_cmp_lg_u32 s18, 0
	s_wait_dscnt 0x0
	global_store_b64 v[0:1], v[16:17], off
	s_wait_xcnt 0x0
	v_add_nc_u64_e32 v[0:1], s[10:11], v[0:1]
	s_cbranch_scc1 .LBB177_154
	s_branch .LBB177_2
.LBB177_155:
	s_endpgm
	.section	.rodata,"a",@progbits
	.p2align	6, 0x0
	.amdhsa_kernel _ZL31rocblas_trsm_small_right_deviceI19rocblas_complex_numIfES1_PKS1_PS1_Li64EEv13rocblas_fill_18rocblas_operation_17rocblas_diagonal_iiT0_T1_lilT2_lili
		.amdhsa_group_segment_fixed_size 65536
		.amdhsa_private_segment_fixed_size 0
		.amdhsa_kernarg_size 360
		.amdhsa_user_sgpr_count 2
		.amdhsa_user_sgpr_dispatch_ptr 0
		.amdhsa_user_sgpr_queue_ptr 0
		.amdhsa_user_sgpr_kernarg_segment_ptr 1
		.amdhsa_user_sgpr_dispatch_id 0
		.amdhsa_user_sgpr_kernarg_preload_length 0
		.amdhsa_user_sgpr_kernarg_preload_offset 0
		.amdhsa_user_sgpr_private_segment_size 0
		.amdhsa_wavefront_size32 1
		.amdhsa_uses_dynamic_stack 0
		.amdhsa_enable_private_segment 0
		.amdhsa_system_sgpr_workgroup_id_x 1
		.amdhsa_system_sgpr_workgroup_id_y 0
		.amdhsa_system_sgpr_workgroup_id_z 1
		.amdhsa_system_sgpr_workgroup_info 0
		.amdhsa_system_vgpr_workitem_id 0
		.amdhsa_next_free_vgpr 257
		.amdhsa_next_free_sgpr 53
		.amdhsa_named_barrier_count 0
		.amdhsa_reserve_vcc 1
		.amdhsa_float_round_mode_32 0
		.amdhsa_float_round_mode_16_64 0
		.amdhsa_float_denorm_mode_32 3
		.amdhsa_float_denorm_mode_16_64 3
		.amdhsa_fp16_overflow 0
		.amdhsa_memory_ordered 1
		.amdhsa_forward_progress 1
		.amdhsa_inst_pref_size 127
		.amdhsa_round_robin_scheduling 0
		.amdhsa_exception_fp_ieee_invalid_op 0
		.amdhsa_exception_fp_denorm_src 0
		.amdhsa_exception_fp_ieee_div_zero 0
		.amdhsa_exception_fp_ieee_overflow 0
		.amdhsa_exception_fp_ieee_underflow 0
		.amdhsa_exception_fp_ieee_inexact 0
		.amdhsa_exception_int_div_zero 0
	.end_amdhsa_kernel
	.section	.text._ZL31rocblas_trsm_small_right_deviceI19rocblas_complex_numIfES1_PKS1_PS1_Li64EEv13rocblas_fill_18rocblas_operation_17rocblas_diagonal_iiT0_T1_lilT2_lili,"axG",@progbits,_ZL31rocblas_trsm_small_right_deviceI19rocblas_complex_numIfES1_PKS1_PS1_Li64EEv13rocblas_fill_18rocblas_operation_17rocblas_diagonal_iiT0_T1_lilT2_lili,comdat
.Lfunc_end177:
	.size	_ZL31rocblas_trsm_small_right_deviceI19rocblas_complex_numIfES1_PKS1_PS1_Li64EEv13rocblas_fill_18rocblas_operation_17rocblas_diagonal_iiT0_T1_lilT2_lili, .Lfunc_end177-_ZL31rocblas_trsm_small_right_deviceI19rocblas_complex_numIfES1_PKS1_PS1_Li64EEv13rocblas_fill_18rocblas_operation_17rocblas_diagonal_iiT0_T1_lilT2_lili
                                        ; -- End function
	.set _ZL31rocblas_trsm_small_right_deviceI19rocblas_complex_numIfES1_PKS1_PS1_Li64EEv13rocblas_fill_18rocblas_operation_17rocblas_diagonal_iiT0_T1_lilT2_lili.num_vgpr, 46
	.set _ZL31rocblas_trsm_small_right_deviceI19rocblas_complex_numIfES1_PKS1_PS1_Li64EEv13rocblas_fill_18rocblas_operation_17rocblas_diagonal_iiT0_T1_lilT2_lili.num_agpr, 0
	.set _ZL31rocblas_trsm_small_right_deviceI19rocblas_complex_numIfES1_PKS1_PS1_Li64EEv13rocblas_fill_18rocblas_operation_17rocblas_diagonal_iiT0_T1_lilT2_lili.numbered_sgpr, 53
	.set _ZL31rocblas_trsm_small_right_deviceI19rocblas_complex_numIfES1_PKS1_PS1_Li64EEv13rocblas_fill_18rocblas_operation_17rocblas_diagonal_iiT0_T1_lilT2_lili.num_named_barrier, 0
	.set _ZL31rocblas_trsm_small_right_deviceI19rocblas_complex_numIfES1_PKS1_PS1_Li64EEv13rocblas_fill_18rocblas_operation_17rocblas_diagonal_iiT0_T1_lilT2_lili.private_seg_size, 0
	.set _ZL31rocblas_trsm_small_right_deviceI19rocblas_complex_numIfES1_PKS1_PS1_Li64EEv13rocblas_fill_18rocblas_operation_17rocblas_diagonal_iiT0_T1_lilT2_lili.uses_vcc, 1
	.set _ZL31rocblas_trsm_small_right_deviceI19rocblas_complex_numIfES1_PKS1_PS1_Li64EEv13rocblas_fill_18rocblas_operation_17rocblas_diagonal_iiT0_T1_lilT2_lili.uses_flat_scratch, 0
	.set _ZL31rocblas_trsm_small_right_deviceI19rocblas_complex_numIfES1_PKS1_PS1_Li64EEv13rocblas_fill_18rocblas_operation_17rocblas_diagonal_iiT0_T1_lilT2_lili.has_dyn_sized_stack, 0
	.set _ZL31rocblas_trsm_small_right_deviceI19rocblas_complex_numIfES1_PKS1_PS1_Li64EEv13rocblas_fill_18rocblas_operation_17rocblas_diagonal_iiT0_T1_lilT2_lili.has_recursion, 0
	.set _ZL31rocblas_trsm_small_right_deviceI19rocblas_complex_numIfES1_PKS1_PS1_Li64EEv13rocblas_fill_18rocblas_operation_17rocblas_diagonal_iiT0_T1_lilT2_lili.has_indirect_call, 0
	.section	.AMDGPU.csdata,"",@progbits
; Kernel info:
; codeLenInByte = 16172
; TotalNumSgprs: 55
; NumVgprs: 46
; ScratchSize: 0
; MemoryBound: 0
; FloatMode: 240
; IeeeMode: 1
; LDSByteSize: 65536 bytes/workgroup (compile time only)
; SGPRBlocks: 0
; VGPRBlocks: 16
; NumSGPRsForWavesPerEU: 55
; NumVGPRsForWavesPerEU: 257
; NamedBarCnt: 0
; Occupancy: 3
; WaveLimiterHint : 0
; COMPUTE_PGM_RSRC2:SCRATCH_EN: 0
; COMPUTE_PGM_RSRC2:USER_SGPR: 2
; COMPUTE_PGM_RSRC2:TRAP_HANDLER: 0
; COMPUTE_PGM_RSRC2:TGID_X_EN: 1
; COMPUTE_PGM_RSRC2:TGID_Y_EN: 0
; COMPUTE_PGM_RSRC2:TGID_Z_EN: 1
; COMPUTE_PGM_RSRC2:TIDIG_COMP_CNT: 0
	.section	.text._ZL39rocblas_trsm_block_forward_substitutionI19rocblas_complex_numIfES1_PKS1_PS1_Lb0ELb0ELb0EEv18rocblas_operation_llT0_T1_lllT2_lllib,"axG",@progbits,_ZL39rocblas_trsm_block_forward_substitutionI19rocblas_complex_numIfES1_PKS1_PS1_Lb0ELb0ELb0EEv18rocblas_operation_llT0_T1_lllT2_lllib,comdat
	.globl	_ZL39rocblas_trsm_block_forward_substitutionI19rocblas_complex_numIfES1_PKS1_PS1_Lb0ELb0ELb0EEv18rocblas_operation_llT0_T1_lllT2_lllib ; -- Begin function _ZL39rocblas_trsm_block_forward_substitutionI19rocblas_complex_numIfES1_PKS1_PS1_Lb0ELb0ELb0EEv18rocblas_operation_llT0_T1_lllT2_lllib
	.p2align	8
	.type	_ZL39rocblas_trsm_block_forward_substitutionI19rocblas_complex_numIfES1_PKS1_PS1_Lb0ELb0ELb0EEv18rocblas_operation_llT0_T1_lllT2_lllib,@function
_ZL39rocblas_trsm_block_forward_substitutionI19rocblas_complex_numIfES1_PKS1_PS1_Lb0ELb0ELb0EEv18rocblas_operation_llT0_T1_lllT2_lllib: ; @_ZL39rocblas_trsm_block_forward_substitutionI19rocblas_complex_numIfES1_PKS1_PS1_Lb0ELb0ELb0EEv18rocblas_operation_llT0_T1_lllT2_lllib
; %bb.0:
	s_load_b64 s[24:25], s[0:1], 0x60
	s_bfe_u32 s2, ttmp6, 0x40014
	s_lshr_b32 s3, ttmp7, 16
	s_add_co_i32 s2, s2, 1
	s_bfe_u32 s4, ttmp6, 0x40008
	s_mul_i32 s2, s3, s2
	s_getreg_b32 s28, hwreg(HW_REG_IB_STS2, 6, 4)
	s_add_co_i32 s4, s4, s2
	s_cmp_eq_u32 s28, 0
	s_mov_b32 s27, 0
	s_cselect_b32 s26, s3, s4
	s_wait_kmcnt 0x0
	s_cmp_ge_u32 s26, s24
	s_cbranch_scc1 .LBB178_51
; %bb.1:
	s_mov_b64 s[2:3], src_shared_base
	s_clause 0x1
	s_load_b32 s2, s[0:1], 0x0
	s_load_b512 s[4:19], s[0:1], 0x20
	s_bitcmp1_b32 s25, 0
	s_clause 0x1
	s_load_u16 s25, s[0:1], 0x76
	s_load_b128 s[20:23], s[0:1], 0x8
	s_cselect_b32 s29, -1, 0
	v_bfe_u32 v21, v0, 10, 10
	s_xor_b32 s33, s29, -1
	v_and_b32_e32 v0, 0x3ff, v0
	v_mov_b32_e32 v3, 0
	v_cndmask_b32_e64 v20, 0, 1, s29
	v_lshl_add_u32 v22, v21, 3, 0
	s_delay_alu instid0(VALU_DEP_3) | instskip(SKIP_1) | instid1(VALU_DEP_2)
	v_dual_mov_b32 v1, v3 :: v_dual_lshlrev_b32 v8, 3, v0
	v_dual_mov_b32 v9, v3 :: v_dual_mov_b32 v5, v3
	v_or_b32_e32 v4, 4, v8
	s_wait_kmcnt 0x0
	s_cmp_lg_u32 s2, 0x71
	s_cselect_b32 s34, -1, 0
	s_bfe_u32 s2, ttmp6, 0x40010
	s_lshl_b64 s[30:31], s[6:7], 3
	s_and_b32 s6, ttmp7, 0xffff
	s_add_co_i32 s2, s2, 1
	s_bfe_u32 s7, ttmp6, 0x40004
	s_mul_i32 s2, s6, s2
	s_lshl_b64 s[36:37], s[14:15], 3
	s_add_co_i32 s7, s7, s2
	s_cmp_eq_u32 s28, 0
	s_add_nc_u64 s[12:13], s[12:13], s[36:37]
	s_cselect_b32 s2, s6, s7
	s_load_b64 s[6:7], s[0:1], 0x18
	v_mad_u32 v2, s2, s25, v21
	s_add_nc_u64 s[14:15], s[0:1], 0x68
	v_cmp_le_i64_e32 vcc_lo, s[20:21], v[0:1]
	s_wait_xcnt 0x0
	v_cmp_gt_i64_e64 s1, s[20:21], v[0:1]
	s_add_nc_u64 s[28:29], s[20:21], -1
	v_cmp_gt_i64_e64 s35, s[20:21], 0
	v_cmp_eq_u64_e64 s0, s[28:29], v[0:1]
	v_cmp_lt_i64_e64 s36, s[20:21], 2
	s_add_nc_u64 s[4:5], s[4:5], s[30:31]
	s_xor_b32 s37, vcc_lo, -1
	v_mul_u64_e32 v[6:7], s[16:17], v[2:3]
	s_mov_b32 s17, s3
	v_cmp_gt_i64_e64 s2, s[22:23], v[2:3]
	s_lshl_b32 s3, s25, 3
	v_lshlrev_b32_e32 v2, 3, v0
	s_add_co_i32 s16, s3, 0
	s_delay_alu instid0(SALU_CYCLE_1)
	v_add_nc_u32_e32 v23, s16, v8
	s_wait_kmcnt 0x0
	s_mov_b32 s3, s6
	s_and_b32 s1, s2, s1
	s_mov_b32 s2, s7
	v_lshl_add_u64 v[6:7], v[6:7], 3, s[12:13]
	s_delay_alu instid0(VALU_DEP_1)
	v_add_nc_u64_e32 v[6:7], v[6:7], v[8:9]
	s_branch .LBB178_5
.LBB178_2:                              ;   in Loop: Header=BB178_5 Depth=1
	s_wait_loadcnt_dscnt 0x0
	s_wait_xcnt 0x0
	s_delay_alu instid0(VALU_DEP_1) | instskip(NEXT) | instid1(VALU_DEP_1)
	v_pk_mul_f32 v[12:13], v[10:11], v[14:15] op_sel:[1,1] op_sel_hi:[1,0]
	v_pk_fma_f32 v[16:17], v[10:11], v[14:15], v[12:13] op_sel_hi:[0,1,1]
	v_pk_fma_f32 v[10:11], v[10:11], v[14:15], v[12:13] neg_lo:[0,0,1] neg_hi:[0,0,1]
	s_delay_alu instid0(VALU_DEP_2)
	v_mov_b32_e32 v11, v17
.LBB178_3:                              ;   in Loop: Header=BB178_5 Depth=1
	s_or_b32 exec_lo, exec_lo, s22
	global_store_b64 v[8:9], v[10:11], off
.LBB178_4:                              ;   in Loop: Header=BB178_5 Depth=1
	s_wait_xcnt 0x0
	s_or_b32 exec_lo, exec_lo, s38
	s_add_co_i32 s26, s26, 0x10000
	s_delay_alu instid0(SALU_CYCLE_1)
	s_cmp_lt_u32 s26, s24
	s_cbranch_scc0 .LBB178_51
.LBB178_5:                              ; =>This Loop Header: Depth=1
                                        ;     Child Loop BB178_12 Depth 2
                                        ;     Child Loop BB178_27 Depth 2
	v_cmp_ne_u32_e32 vcc_lo, 1, v20
	s_mul_u64 s[12:13], s[10:11], s[26:27]
	s_delay_alu instid0(SALU_CYCLE_1) | instskip(NEXT) | instid1(SALU_CYCLE_1)
	s_lshl_b64 s[12:13], s[12:13], 3
	s_add_nc_u64 s[12:13], s[4:5], s[12:13]
	s_cbranch_vccz .LBB178_7
; %bb.6:                                ;   in Loop: Header=BB178_5 Depth=1
	s_and_saveexec_b32 s38, s1
	s_cbranch_execz .LBB178_4
	s_branch .LBB178_21
.LBB178_7:                              ;   in Loop: Header=BB178_5 Depth=1
	s_and_not1_b32 vcc_lo, exec_lo, s35
	s_cbranch_vccnz .LBB178_20
; %bb.8:                                ;   in Loop: Header=BB178_5 Depth=1
	v_mul_u64_e32 v[10:11], s[8:9], v[0:1]
	v_add_nc_u64_e32 v[8:9], s[12:13], v[2:3]
	v_mov_b32_e32 v12, v21
	s_mov_b32 s12, s25
	s_delay_alu instid0(VALU_DEP_2)
	v_lshl_add_u64 v[10:11], v[10:11], 3, v[8:9]
	s_branch .LBB178_12
.LBB178_9:                              ;   in Loop: Header=BB178_12 Depth=2
	s_or_b32 exec_lo, exec_lo, s23
	s_load_b32 s23, s[14:15], 0xc
	s_wait_kmcnt 0x0
	s_and_b32 s23, s23, 0xffff
	s_delay_alu instid0(SALU_CYCLE_1) | instskip(NEXT) | instid1(VALU_DEP_1)
	v_mul_u32_u24_e32 v13, s23, v0
	v_lshl_add_u32 v13, v13, 3, v23
	ds_store_b64 v13, v[16:17]
.LBB178_10:                             ;   in Loop: Header=BB178_12 Depth=2
	s_or_b32 exec_lo, exec_lo, s22
.LBB178_11:                             ;   in Loop: Header=BB178_12 Depth=2
	s_delay_alu instid0(SALU_CYCLE_1)
	s_or_b32 exec_lo, exec_lo, s13
	s_ashr_i32 s13, s12, 31
	v_add_nc_u32_e32 v12, s25, v12
	v_cmp_le_i64_e64 s13, s[20:21], s[12:13]
	s_add_co_i32 s12, s12, s25
	s_and_b32 vcc_lo, exec_lo, s13
	s_cbranch_vccnz .LBB178_20
.LBB178_12:                             ;   Parent Loop BB178_5 Depth=1
                                        ; =>  This Inner Loop Header: Depth=2
	s_delay_alu instid0(VALU_DEP_2) | instskip(SKIP_1) | instid1(SALU_CYCLE_1)
	v_cmp_gt_i32_e32 vcc_lo, v0, v12
	s_and_b32 s13, s37, vcc_lo
	s_and_saveexec_b32 s22, s13
	s_delay_alu instid0(SALU_CYCLE_1)
	s_xor_b32 s13, exec_lo, s22
	s_cbranch_execz .LBB178_14
; %bb.13:                               ;   in Loop: Header=BB178_12 Depth=2
	v_ashrrev_i32_e32 v13, 31, v12
	s_load_b32 s22, s[14:15], 0xc
	s_delay_alu instid0(VALU_DEP_1) | instskip(SKIP_2) | instid1(SALU_CYCLE_1)
	v_mul_u64_e32 v[14:15], s[8:9], v[12:13]
	s_wait_kmcnt 0x0
	s_and_b32 s22, s22, 0xffff
	v_mul_lo_u32 v13, v12, s22
	s_delay_alu instid0(VALU_DEP_1) | instskip(NEXT) | instid1(VALU_DEP_3)
	v_lshl_add_u32 v13, v13, 3, v23
	v_lshl_add_u64 v[14:15], v[14:15], 3, v[8:9]
	global_load_b64 v[14:15], v[14:15], off
	s_wait_loadcnt 0x0
	ds_store_b64 v13, v[14:15]
.LBB178_14:                             ;   in Loop: Header=BB178_12 Depth=2
	s_wait_xcnt 0x0
	s_and_not1_saveexec_b32 s13, s13
	s_cbranch_execz .LBB178_11
; %bb.15:                               ;   in Loop: Header=BB178_12 Depth=2
	v_cmp_eq_u32_e32 vcc_lo, v0, v12
	s_and_b32 s23, s37, vcc_lo
	s_delay_alu instid0(SALU_CYCLE_1)
	s_and_saveexec_b32 s22, s23
	s_cbranch_execz .LBB178_10
; %bb.16:                               ;   in Loop: Header=BB178_12 Depth=2
	global_load_b64 v[14:15], v[10:11], off
                                        ; implicit-def: $vgpr16_vgpr17
	s_wait_loadcnt 0x0
	v_cmp_ngt_f32_e64 s23, |v14|, |v15|
	s_wait_xcnt 0x0
	s_and_saveexec_b32 s30, s23
	s_delay_alu instid0(SALU_CYCLE_1)
	s_xor_b32 s23, exec_lo, s30
	s_cbranch_execz .LBB178_18
; %bb.17:                               ;   in Loop: Header=BB178_12 Depth=2
	v_div_scale_f32 v13, null, v15, v15, v14
	v_div_scale_f32 v18, vcc_lo, v14, v15, v14
	s_delay_alu instid0(VALU_DEP_2) | instskip(SKIP_1) | instid1(TRANS32_DEP_1)
	v_rcp_f32_e32 v16, v13
	v_nop
	v_fma_f32 v17, -v13, v16, 1.0
	s_delay_alu instid0(VALU_DEP_1) | instskip(NEXT) | instid1(VALU_DEP_1)
	v_fmac_f32_e32 v16, v17, v16
	v_mul_f32_e32 v17, v18, v16
	s_delay_alu instid0(VALU_DEP_1) | instskip(NEXT) | instid1(VALU_DEP_1)
	v_fma_f32 v19, -v13, v17, v18
	v_fmac_f32_e32 v17, v19, v16
	s_delay_alu instid0(VALU_DEP_1) | instskip(NEXT) | instid1(VALU_DEP_1)
	v_fma_f32 v13, -v13, v17, v18
	v_div_fmas_f32 v13, v13, v16, v17
	s_delay_alu instid0(VALU_DEP_1) | instskip(NEXT) | instid1(VALU_DEP_1)
	v_div_fixup_f32 v13, v13, v15, v14
	v_fmac_f32_e32 v15, v14, v13
	s_delay_alu instid0(VALU_DEP_1) | instskip(SKIP_1) | instid1(VALU_DEP_2)
	v_div_scale_f32 v14, null, v15, v15, 1.0
	v_div_scale_f32 v18, vcc_lo, 1.0, v15, 1.0
	v_rcp_f32_e32 v16, v14
	v_nop
	s_delay_alu instid0(TRANS32_DEP_1) | instskip(NEXT) | instid1(VALU_DEP_1)
	v_fma_f32 v17, -v14, v16, 1.0
	v_fmac_f32_e32 v16, v17, v16
	s_delay_alu instid0(VALU_DEP_1) | instskip(NEXT) | instid1(VALU_DEP_1)
	v_mul_f32_e32 v17, v18, v16
	v_fma_f32 v19, -v14, v17, v18
	s_delay_alu instid0(VALU_DEP_1) | instskip(NEXT) | instid1(VALU_DEP_1)
	v_fmac_f32_e32 v17, v19, v16
	v_fma_f32 v14, -v14, v17, v18
	s_delay_alu instid0(VALU_DEP_1) | instskip(NEXT) | instid1(VALU_DEP_1)
	v_div_fmas_f32 v14, v14, v16, v17
	v_div_fixup_f32 v14, v14, v15, 1.0
	s_delay_alu instid0(VALU_DEP_1)
	v_mul_f32_e32 v16, v13, v14
	v_xor_b32_e32 v17, 0x80000000, v14
                                        ; implicit-def: $vgpr14_vgpr15
.LBB178_18:                             ;   in Loop: Header=BB178_12 Depth=2
	s_and_not1_saveexec_b32 s23, s23
	s_cbranch_execz .LBB178_9
; %bb.19:                               ;   in Loop: Header=BB178_12 Depth=2
	v_div_scale_f32 v13, null, v14, v14, v15
	v_div_scale_f32 v18, vcc_lo, v15, v14, v15
	s_delay_alu instid0(VALU_DEP_2) | instskip(SKIP_1) | instid1(TRANS32_DEP_1)
	v_rcp_f32_e32 v16, v13
	v_nop
	v_fma_f32 v17, -v13, v16, 1.0
	s_delay_alu instid0(VALU_DEP_1) | instskip(NEXT) | instid1(VALU_DEP_1)
	v_fmac_f32_e32 v16, v17, v16
	v_mul_f32_e32 v17, v18, v16
	s_delay_alu instid0(VALU_DEP_1) | instskip(NEXT) | instid1(VALU_DEP_1)
	v_fma_f32 v19, -v13, v17, v18
	v_fmac_f32_e32 v17, v19, v16
	s_delay_alu instid0(VALU_DEP_1) | instskip(NEXT) | instid1(VALU_DEP_1)
	v_fma_f32 v13, -v13, v17, v18
	v_div_fmas_f32 v13, v13, v16, v17
	s_delay_alu instid0(VALU_DEP_1) | instskip(NEXT) | instid1(VALU_DEP_1)
	v_div_fixup_f32 v13, v13, v14, v15
	v_fmac_f32_e32 v14, v15, v13
	s_delay_alu instid0(VALU_DEP_1) | instskip(NEXT) | instid1(VALU_DEP_1)
	v_div_scale_f32 v15, null, v14, v14, 1.0
	v_rcp_f32_e32 v16, v15
	v_nop
	s_delay_alu instid0(TRANS32_DEP_1) | instskip(NEXT) | instid1(VALU_DEP_1)
	v_fma_f32 v17, -v15, v16, 1.0
	v_fmac_f32_e32 v16, v17, v16
	v_div_scale_f32 v17, vcc_lo, 1.0, v14, 1.0
	s_delay_alu instid0(VALU_DEP_1) | instskip(NEXT) | instid1(VALU_DEP_1)
	v_mul_f32_e32 v18, v17, v16
	v_fma_f32 v19, -v15, v18, v17
	s_delay_alu instid0(VALU_DEP_1) | instskip(NEXT) | instid1(VALU_DEP_1)
	v_fmac_f32_e32 v18, v19, v16
	v_fma_f32 v15, -v15, v18, v17
	s_delay_alu instid0(VALU_DEP_1) | instskip(NEXT) | instid1(VALU_DEP_1)
	v_div_fmas_f32 v15, v15, v16, v18
	v_div_fixup_f32 v16, v15, v14, 1.0
	s_delay_alu instid0(VALU_DEP_1)
	v_mul_f32_e64 v17, v13, -v16
	s_branch .LBB178_9
.LBB178_20:                             ;   in Loop: Header=BB178_5 Depth=1
	s_load_b32 s8, s[14:15], 0xc
	s_mov_b32 s9, s27
	s_mov_b64 s[12:13], s[16:17]
	s_wait_kmcnt 0x0
	s_and_b32 s8, s8, 0xffff
	s_and_saveexec_b32 s38, s1
	s_cbranch_execz .LBB178_4
.LBB178_21:                             ;   in Loop: Header=BB178_5 Depth=1
	s_mul_u64 s[22:23], s[18:19], s[26:27]
	v_mov_b64_e32 v[12:13], s[2:3]
	v_lshl_add_u64 v[8:9], s[22:23], 3, v[6:7]
	v_mov_b64_e32 v[14:15], s[6:7]
	s_and_not1_b32 vcc_lo, exec_lo, s36
	s_mov_b32 s22, -1
	global_load_b64 v[10:11], v[8:9], off
	s_wait_loadcnt 0x0
	v_pk_mul_f32 v[12:13], v[12:13], v[10:11] op_sel:[0,1]
	v_pk_mul_f32 v[18:19], v[14:15], v[10:11] op_sel_hi:[1,0]
	s_delay_alu instid0(VALU_DEP_2) | instskip(NEXT) | instid1(VALU_DEP_2)
	v_pk_fma_f32 v[16:17], v[14:15], v[10:11], v[12:13] op_sel_hi:[1,0,1]
	v_sub_f32_e32 v16, v18, v12
                                        ; implicit-def: $vgpr10_vgpr11
	s_cbranch_vccnz .LBB178_23
; %bb.22:                               ;   in Loop: Header=BB178_5 Depth=1
	s_delay_alu instid0(VALU_DEP_1)
	v_mov_b64_e32 v[10:11], v[16:17]
	s_mov_b32 s22, 0
.LBB178_23:                             ;   in Loop: Header=BB178_5 Depth=1
	s_delay_alu instid0(SALU_CYCLE_1)
	s_and_not1_b32 vcc_lo, exec_lo, s22
	s_cbranch_vccnz .LBB178_42
; %bb.24:                               ;   in Loop: Header=BB178_5 Depth=1
	v_mad_nc_u64_u32 v[10:11], v0, s8, v[0:1]
	v_add_nc_u64_e32 v[12:13], s[12:13], v[4:5]
	s_lshl_b64 s[22:23], s[8:9], 3
	s_mov_b64 s[30:31], 0
	s_delay_alu instid0(VALU_DEP_2) | instskip(NEXT) | instid1(VALU_DEP_1)
	v_mad_u32 v11, v0, s9, v11
	v_lshl_add_u64 v[14:15], v[10:11], 3, s[12:13]
	s_branch .LBB178_27
.LBB178_25:                             ;   in Loop: Header=BB178_27 Depth=2
	ds_load_b64 v[24:25], v22
	s_wait_dscnt 0x0
	v_pk_mul_f32 v[18:19], v[18:19], v[24:25] op_sel:[0,1] op_sel_hi:[0,0]
	s_delay_alu instid0(VALU_DEP_1) | instskip(SKIP_1) | instid1(VALU_DEP_2)
	v_pk_fma_f32 v[26:27], v[24:25], v[16:17], v[18:19] op_sel_hi:[1,0,1]
	v_pk_fma_f32 v[16:17], v[24:25], v[16:17], v[18:19] neg_lo:[0,0,1] neg_hi:[0,0,1]
	v_mov_b32_e32 v17, v27
	s_delay_alu instid0(VALU_DEP_1) | instskip(NEXT) | instid1(VALU_DEP_1)
	v_pk_add_f32 v[16:17], v[10:11], v[16:17] neg_lo:[0,1] neg_hi:[0,1]
	v_mov_b64_e32 v[10:11], v[16:17]
.LBB178_26:                             ;   in Loop: Header=BB178_27 Depth=2
	s_wait_xcnt 0x0
	s_or_b32 exec_lo, exec_lo, s39
	v_add_nc_u64_e32 v[12:13], s[22:23], v[12:13]
	s_add_nc_u64 s[30:31], s[30:31], 1
	s_delay_alu instid0(SALU_CYCLE_1)
	s_cmp_eq_u64 s[28:29], s[30:31]
	s_cbranch_scc1 .LBB178_42
.LBB178_27:                             ;   Parent Loop BB178_5 Depth=1
                                        ; =>  This Inner Loop Header: Depth=2
	v_mov_b64_e32 v[10:11], v[16:17]
	s_mov_b32 s39, exec_lo
	s_wait_dscnt 0x0
	s_barrier_signal -1
	s_barrier_wait -1
	s_wait_xcnt 0x0
	v_cmpx_eq_u64_e64 s[30:31], v[0:1]
	s_cbranch_execz .LBB178_37
; %bb.28:                               ;   in Loop: Header=BB178_27 Depth=2
	flat_load_b64 v[10:11], v[14:15]
	s_and_b32 vcc_lo, exec_lo, s33
	s_mov_b32 s40, -1
                                        ; implicit-def: $vgpr18_vgpr19
	s_cbranch_vccz .LBB178_34
; %bb.29:                               ;   in Loop: Header=BB178_27 Depth=2
	s_wait_loadcnt_dscnt 0x0
	v_cmp_ngt_f32_e64 s40, |v10|, |v11|
                                        ; implicit-def: $vgpr18_vgpr19
	s_wait_xcnt 0x0
	s_and_saveexec_b32 s41, s40
	s_delay_alu instid0(SALU_CYCLE_1)
	s_xor_b32 s40, exec_lo, s41
	s_cbranch_execz .LBB178_31
; %bb.30:                               ;   in Loop: Header=BB178_27 Depth=2
	v_div_scale_f32 v18, null, v11, v11, v10
	v_div_scale_f32 v25, vcc_lo, v10, v11, v10
	s_delay_alu instid0(VALU_DEP_2) | instskip(SKIP_1) | instid1(TRANS32_DEP_1)
	v_rcp_f32_e32 v19, v18
	v_nop
	v_fma_f32 v24, -v18, v19, 1.0
	s_delay_alu instid0(VALU_DEP_1) | instskip(NEXT) | instid1(VALU_DEP_1)
	v_fmac_f32_e32 v19, v24, v19
	v_mul_f32_e32 v24, v25, v19
	s_delay_alu instid0(VALU_DEP_1) | instskip(NEXT) | instid1(VALU_DEP_1)
	v_fma_f32 v26, -v18, v24, v25
	v_fmac_f32_e32 v24, v26, v19
	s_delay_alu instid0(VALU_DEP_1) | instskip(NEXT) | instid1(VALU_DEP_1)
	v_fma_f32 v18, -v18, v24, v25
	v_div_fmas_f32 v18, v18, v19, v24
	s_delay_alu instid0(VALU_DEP_1) | instskip(NEXT) | instid1(VALU_DEP_1)
	v_div_fixup_f32 v18, v18, v11, v10
	v_fma_f32 v19, v10, v18, v11
	s_delay_alu instid0(VALU_DEP_1) | instskip(SKIP_1) | instid1(VALU_DEP_2)
	v_div_scale_f32 v24, null, v19, v19, 1.0
	v_div_scale_f32 v27, vcc_lo, 1.0, v19, 1.0
	v_rcp_f32_e32 v25, v24
	v_nop
	s_delay_alu instid0(TRANS32_DEP_1) | instskip(NEXT) | instid1(VALU_DEP_1)
	v_fma_f32 v26, -v24, v25, 1.0
	v_fmac_f32_e32 v25, v26, v25
	s_delay_alu instid0(VALU_DEP_1) | instskip(NEXT) | instid1(VALU_DEP_1)
	v_mul_f32_e32 v26, v27, v25
	v_fma_f32 v28, -v24, v26, v27
	s_delay_alu instid0(VALU_DEP_1) | instskip(NEXT) | instid1(VALU_DEP_1)
	v_fmac_f32_e32 v26, v28, v25
	v_fma_f32 v24, -v24, v26, v27
	s_delay_alu instid0(VALU_DEP_1) | instskip(NEXT) | instid1(VALU_DEP_1)
	v_div_fmas_f32 v24, v24, v25, v26
	v_div_fixup_f32 v19, v24, v19, 1.0
	s_delay_alu instid0(VALU_DEP_1)
	v_mul_f32_e32 v18, v18, v19
	v_xor_b32_e32 v19, 0x80000000, v19
.LBB178_31:                             ;   in Loop: Header=BB178_27 Depth=2
	s_and_not1_saveexec_b32 s40, s40
	s_cbranch_execz .LBB178_33
; %bb.32:                               ;   in Loop: Header=BB178_27 Depth=2
	v_div_scale_f32 v18, null, v10, v10, v11
	v_div_scale_f32 v25, vcc_lo, v11, v10, v11
	s_delay_alu instid0(VALU_DEP_2) | instskip(SKIP_1) | instid1(TRANS32_DEP_1)
	v_rcp_f32_e32 v19, v18
	v_nop
	v_fma_f32 v24, -v18, v19, 1.0
	s_delay_alu instid0(VALU_DEP_1) | instskip(NEXT) | instid1(VALU_DEP_1)
	v_fmac_f32_e32 v19, v24, v19
	v_mul_f32_e32 v24, v25, v19
	s_delay_alu instid0(VALU_DEP_1) | instskip(NEXT) | instid1(VALU_DEP_1)
	v_fma_f32 v26, -v18, v24, v25
	v_fmac_f32_e32 v24, v26, v19
	s_delay_alu instid0(VALU_DEP_1) | instskip(NEXT) | instid1(VALU_DEP_1)
	v_fma_f32 v18, -v18, v24, v25
	v_div_fmas_f32 v18, v18, v19, v24
	s_delay_alu instid0(VALU_DEP_1) | instskip(NEXT) | instid1(VALU_DEP_1)
	v_div_fixup_f32 v19, v18, v10, v11
	v_fma_f32 v18, v11, v19, v10
	s_delay_alu instid0(VALU_DEP_1) | instskip(NEXT) | instid1(VALU_DEP_1)
	v_div_scale_f32 v24, null, v18, v18, 1.0
	v_rcp_f32_e32 v25, v24
	v_nop
	s_delay_alu instid0(TRANS32_DEP_1) | instskip(NEXT) | instid1(VALU_DEP_1)
	v_fma_f32 v26, -v24, v25, 1.0
	v_fmac_f32_e32 v25, v26, v25
	v_div_scale_f32 v26, vcc_lo, 1.0, v18, 1.0
	s_delay_alu instid0(VALU_DEP_1) | instskip(NEXT) | instid1(VALU_DEP_1)
	v_mul_f32_e32 v27, v26, v25
	v_fma_f32 v28, -v24, v27, v26
	s_delay_alu instid0(VALU_DEP_1) | instskip(NEXT) | instid1(VALU_DEP_1)
	v_fmac_f32_e32 v27, v28, v25
	v_fma_f32 v24, -v24, v27, v26
	s_delay_alu instid0(VALU_DEP_1) | instskip(NEXT) | instid1(VALU_DEP_1)
	v_div_fmas_f32 v24, v24, v25, v27
	v_div_fixup_f32 v18, v24, v18, 1.0
	s_delay_alu instid0(VALU_DEP_1)
	v_mul_f32_e64 v19, v19, -v18
.LBB178_33:                             ;   in Loop: Header=BB178_27 Depth=2
	s_or_b32 exec_lo, exec_lo, s40
	s_mov_b32 s40, 0
.LBB178_34:                             ;   in Loop: Header=BB178_27 Depth=2
	s_delay_alu instid0(SALU_CYCLE_1)
	s_and_not1_b32 vcc_lo, exec_lo, s40
	s_cbranch_vccnz .LBB178_36
; %bb.35:                               ;   in Loop: Header=BB178_27 Depth=2
	s_wait_loadcnt_dscnt 0x0
	v_mov_b64_e32 v[18:19], v[10:11]
.LBB178_36:                             ;   in Loop: Header=BB178_27 Depth=2
	s_delay_alu instid0(VALU_DEP_1) | instskip(SKIP_1) | instid1(VALU_DEP_1)
	v_pk_mul_f32 v[24:25], v[16:17], v[18:19] op_sel:[1,1] op_sel_hi:[0,1]
	s_wait_loadcnt_dscnt 0x0
	v_pk_fma_f32 v[10:11], v[16:17], v[18:19], v[24:25] op_sel_hi:[1,0,1] neg_lo:[0,0,1] neg_hi:[0,0,1]
	v_pk_fma_f32 v[16:17], v[16:17], v[18:19], v[24:25] op_sel_hi:[1,0,1]
	s_delay_alu instid0(VALU_DEP_1)
	v_dual_mov_b32 v16, v10 :: v_dual_mov_b32 v11, v17
	ds_store_b64 v22, v[10:11]
.LBB178_37:                             ;   in Loop: Header=BB178_27 Depth=2
	s_wait_xcnt 0x0
	s_or_b32 exec_lo, exec_lo, s39
	s_delay_alu instid0(SALU_CYCLE_1)
	s_mov_b32 s39, exec_lo
	s_wait_dscnt 0x0
	s_barrier_signal -1
	s_barrier_wait -1
	v_cmpx_lt_u64_e64 s[30:31], v[0:1]
	s_cbranch_execz .LBB178_26
; %bb.38:                               ;   in Loop: Header=BB178_27 Depth=2
	s_and_b32 vcc_lo, exec_lo, s34
	s_mov_b32 s40, -1
                                        ; implicit-def: $vgpr16
                                        ; implicit-def: $vgpr18
	s_cbranch_vccz .LBB178_40
; %bb.39:                               ;   in Loop: Header=BB178_27 Depth=2
	flat_load_b64 v[16:17], v[12:13] offset:-4
	s_mov_b32 s40, 0
	s_wait_loadcnt_dscnt 0x0
	v_mov_b32_e32 v18, v17
.LBB178_40:                             ;   in Loop: Header=BB178_27 Depth=2
	s_and_not1_b32 vcc_lo, exec_lo, s40
	s_cbranch_vccnz .LBB178_25
; %bb.41:                               ;   in Loop: Header=BB178_27 Depth=2
	flat_load_b64 v[16:17], v[12:13] offset:-4
	s_wait_loadcnt_dscnt 0x0
	v_xor_b32_e32 v18, 0x80000000, v17
	s_branch .LBB178_25
.LBB178_42:                             ;   in Loop: Header=BB178_5 Depth=1
	s_wait_xcnt 0x0
	s_and_saveexec_b32 s22, s0
	s_cbranch_execz .LBB178_3
; %bb.43:                               ;   in Loop: Header=BB178_5 Depth=1
	v_mad_nc_u64_u32 v[12:13], v0, s8, v[0:1]
	s_and_b32 vcc_lo, exec_lo, s33
                                        ; implicit-def: $vgpr14_vgpr15
	s_delay_alu instid0(VALU_DEP_1) | instskip(NEXT) | instid1(VALU_DEP_1)
	v_mad_u32 v13, v0, s9, v13
	v_lshl_add_u64 v[12:13], v[12:13], 3, s[12:13]
	s_mov_b32 s12, -1
	flat_load_b64 v[12:13], v[12:13]
	s_cbranch_vccz .LBB178_49
; %bb.44:                               ;   in Loop: Header=BB178_5 Depth=1
	s_wait_loadcnt_dscnt 0x0
	v_cmp_ngt_f32_e64 s12, |v12|, |v13|
                                        ; implicit-def: $vgpr14_vgpr15
	s_wait_xcnt 0x0
	s_and_saveexec_b32 s13, s12
	s_delay_alu instid0(SALU_CYCLE_1)
	s_xor_b32 s12, exec_lo, s13
	s_cbranch_execz .LBB178_46
; %bb.45:                               ;   in Loop: Header=BB178_5 Depth=1
	v_div_scale_f32 v14, null, v13, v13, v12
	v_div_scale_f32 v17, vcc_lo, v12, v13, v12
	s_delay_alu instid0(VALU_DEP_2) | instskip(SKIP_1) | instid1(TRANS32_DEP_1)
	v_rcp_f32_e32 v15, v14
	v_nop
	v_fma_f32 v16, -v14, v15, 1.0
	s_delay_alu instid0(VALU_DEP_1) | instskip(NEXT) | instid1(VALU_DEP_1)
	v_fmac_f32_e32 v15, v16, v15
	v_mul_f32_e32 v16, v17, v15
	s_delay_alu instid0(VALU_DEP_1) | instskip(NEXT) | instid1(VALU_DEP_1)
	v_fma_f32 v18, -v14, v16, v17
	v_fmac_f32_e32 v16, v18, v15
	s_delay_alu instid0(VALU_DEP_1) | instskip(NEXT) | instid1(VALU_DEP_1)
	v_fma_f32 v14, -v14, v16, v17
	v_div_fmas_f32 v14, v14, v15, v16
	s_delay_alu instid0(VALU_DEP_1) | instskip(NEXT) | instid1(VALU_DEP_1)
	v_div_fixup_f32 v14, v14, v13, v12
	v_fma_f32 v15, v12, v14, v13
	s_delay_alu instid0(VALU_DEP_1) | instskip(SKIP_1) | instid1(VALU_DEP_2)
	v_div_scale_f32 v16, null, v15, v15, 1.0
	v_div_scale_f32 v19, vcc_lo, 1.0, v15, 1.0
	v_rcp_f32_e32 v17, v16
	v_nop
	s_delay_alu instid0(TRANS32_DEP_1) | instskip(NEXT) | instid1(VALU_DEP_1)
	v_fma_f32 v18, -v16, v17, 1.0
	v_fmac_f32_e32 v17, v18, v17
	s_delay_alu instid0(VALU_DEP_1) | instskip(NEXT) | instid1(VALU_DEP_1)
	v_mul_f32_e32 v18, v19, v17
	v_fma_f32 v24, -v16, v18, v19
	s_delay_alu instid0(VALU_DEP_1) | instskip(NEXT) | instid1(VALU_DEP_1)
	v_fmac_f32_e32 v18, v24, v17
	v_fma_f32 v16, -v16, v18, v19
	s_delay_alu instid0(VALU_DEP_1) | instskip(NEXT) | instid1(VALU_DEP_1)
	v_div_fmas_f32 v16, v16, v17, v18
	v_div_fixup_f32 v15, v16, v15, 1.0
	s_delay_alu instid0(VALU_DEP_1)
	v_mul_f32_e32 v14, v14, v15
	v_xor_b32_e32 v15, 0x80000000, v15
.LBB178_46:                             ;   in Loop: Header=BB178_5 Depth=1
	s_and_not1_saveexec_b32 s12, s12
	s_cbranch_execz .LBB178_48
; %bb.47:                               ;   in Loop: Header=BB178_5 Depth=1
	v_div_scale_f32 v14, null, v12, v12, v13
	v_div_scale_f32 v17, vcc_lo, v13, v12, v13
	s_delay_alu instid0(VALU_DEP_2) | instskip(SKIP_1) | instid1(TRANS32_DEP_1)
	v_rcp_f32_e32 v15, v14
	v_nop
	v_fma_f32 v16, -v14, v15, 1.0
	s_delay_alu instid0(VALU_DEP_1) | instskip(NEXT) | instid1(VALU_DEP_1)
	v_fmac_f32_e32 v15, v16, v15
	v_mul_f32_e32 v16, v17, v15
	s_delay_alu instid0(VALU_DEP_1) | instskip(NEXT) | instid1(VALU_DEP_1)
	v_fma_f32 v18, -v14, v16, v17
	v_fmac_f32_e32 v16, v18, v15
	s_delay_alu instid0(VALU_DEP_1) | instskip(NEXT) | instid1(VALU_DEP_1)
	v_fma_f32 v14, -v14, v16, v17
	v_div_fmas_f32 v14, v14, v15, v16
	s_delay_alu instid0(VALU_DEP_1) | instskip(NEXT) | instid1(VALU_DEP_1)
	v_div_fixup_f32 v15, v14, v12, v13
	v_fma_f32 v14, v13, v15, v12
	s_delay_alu instid0(VALU_DEP_1) | instskip(NEXT) | instid1(VALU_DEP_1)
	v_div_scale_f32 v16, null, v14, v14, 1.0
	v_rcp_f32_e32 v17, v16
	v_nop
	s_delay_alu instid0(TRANS32_DEP_1) | instskip(NEXT) | instid1(VALU_DEP_1)
	v_fma_f32 v18, -v16, v17, 1.0
	v_fmac_f32_e32 v17, v18, v17
	v_div_scale_f32 v18, vcc_lo, 1.0, v14, 1.0
	s_delay_alu instid0(VALU_DEP_1) | instskip(NEXT) | instid1(VALU_DEP_1)
	v_mul_f32_e32 v19, v18, v17
	v_fma_f32 v24, -v16, v19, v18
	s_delay_alu instid0(VALU_DEP_1) | instskip(NEXT) | instid1(VALU_DEP_1)
	v_fmac_f32_e32 v19, v24, v17
	v_fma_f32 v16, -v16, v19, v18
	s_delay_alu instid0(VALU_DEP_1) | instskip(NEXT) | instid1(VALU_DEP_1)
	v_div_fmas_f32 v16, v16, v17, v19
	v_div_fixup_f32 v14, v16, v14, 1.0
	s_delay_alu instid0(VALU_DEP_1)
	v_mul_f32_e64 v15, v15, -v14
.LBB178_48:                             ;   in Loop: Header=BB178_5 Depth=1
	s_or_b32 exec_lo, exec_lo, s12
	s_mov_b32 s12, 0
.LBB178_49:                             ;   in Loop: Header=BB178_5 Depth=1
	s_delay_alu instid0(SALU_CYCLE_1)
	s_and_not1_b32 vcc_lo, exec_lo, s12
	s_cbranch_vccnz .LBB178_2
; %bb.50:                               ;   in Loop: Header=BB178_5 Depth=1
	s_wait_loadcnt_dscnt 0x0
	v_mov_b64_e32 v[14:15], v[12:13]
	s_branch .LBB178_2
.LBB178_51:
	s_endpgm
	.section	.rodata,"a",@progbits
	.p2align	6, 0x0
	.amdhsa_kernel _ZL39rocblas_trsm_block_forward_substitutionI19rocblas_complex_numIfES1_PKS1_PS1_Lb0ELb0ELb0EEv18rocblas_operation_llT0_T1_lllT2_lllib
		.amdhsa_group_segment_fixed_size 0
		.amdhsa_private_segment_fixed_size 0
		.amdhsa_kernarg_size 360
		.amdhsa_user_sgpr_count 2
		.amdhsa_user_sgpr_dispatch_ptr 0
		.amdhsa_user_sgpr_queue_ptr 0
		.amdhsa_user_sgpr_kernarg_segment_ptr 1
		.amdhsa_user_sgpr_dispatch_id 0
		.amdhsa_user_sgpr_kernarg_preload_length 0
		.amdhsa_user_sgpr_kernarg_preload_offset 0
		.amdhsa_user_sgpr_private_segment_size 0
		.amdhsa_wavefront_size32 1
		.amdhsa_uses_dynamic_stack 0
		.amdhsa_enable_private_segment 0
		.amdhsa_system_sgpr_workgroup_id_x 1
		.amdhsa_system_sgpr_workgroup_id_y 1
		.amdhsa_system_sgpr_workgroup_id_z 1
		.amdhsa_system_sgpr_workgroup_info 0
		.amdhsa_system_vgpr_workitem_id 1
		.amdhsa_next_free_vgpr 29
		.amdhsa_next_free_sgpr 42
		.amdhsa_named_barrier_count 0
		.amdhsa_reserve_vcc 1
		.amdhsa_float_round_mode_32 0
		.amdhsa_float_round_mode_16_64 0
		.amdhsa_float_denorm_mode_32 3
		.amdhsa_float_denorm_mode_16_64 3
		.amdhsa_fp16_overflow 0
		.amdhsa_memory_ordered 1
		.amdhsa_forward_progress 1
		.amdhsa_inst_pref_size 23
		.amdhsa_round_robin_scheduling 0
		.amdhsa_exception_fp_ieee_invalid_op 0
		.amdhsa_exception_fp_denorm_src 0
		.amdhsa_exception_fp_ieee_div_zero 0
		.amdhsa_exception_fp_ieee_overflow 0
		.amdhsa_exception_fp_ieee_underflow 0
		.amdhsa_exception_fp_ieee_inexact 0
		.amdhsa_exception_int_div_zero 0
	.end_amdhsa_kernel
	.section	.text._ZL39rocblas_trsm_block_forward_substitutionI19rocblas_complex_numIfES1_PKS1_PS1_Lb0ELb0ELb0EEv18rocblas_operation_llT0_T1_lllT2_lllib,"axG",@progbits,_ZL39rocblas_trsm_block_forward_substitutionI19rocblas_complex_numIfES1_PKS1_PS1_Lb0ELb0ELb0EEv18rocblas_operation_llT0_T1_lllT2_lllib,comdat
.Lfunc_end178:
	.size	_ZL39rocblas_trsm_block_forward_substitutionI19rocblas_complex_numIfES1_PKS1_PS1_Lb0ELb0ELb0EEv18rocblas_operation_llT0_T1_lllT2_lllib, .Lfunc_end178-_ZL39rocblas_trsm_block_forward_substitutionI19rocblas_complex_numIfES1_PKS1_PS1_Lb0ELb0ELb0EEv18rocblas_operation_llT0_T1_lllT2_lllib
                                        ; -- End function
	.set _ZL39rocblas_trsm_block_forward_substitutionI19rocblas_complex_numIfES1_PKS1_PS1_Lb0ELb0ELb0EEv18rocblas_operation_llT0_T1_lllT2_lllib.num_vgpr, 29
	.set _ZL39rocblas_trsm_block_forward_substitutionI19rocblas_complex_numIfES1_PKS1_PS1_Lb0ELb0ELb0EEv18rocblas_operation_llT0_T1_lllT2_lllib.num_agpr, 0
	.set _ZL39rocblas_trsm_block_forward_substitutionI19rocblas_complex_numIfES1_PKS1_PS1_Lb0ELb0ELb0EEv18rocblas_operation_llT0_T1_lllT2_lllib.numbered_sgpr, 42
	.set _ZL39rocblas_trsm_block_forward_substitutionI19rocblas_complex_numIfES1_PKS1_PS1_Lb0ELb0ELb0EEv18rocblas_operation_llT0_T1_lllT2_lllib.num_named_barrier, 0
	.set _ZL39rocblas_trsm_block_forward_substitutionI19rocblas_complex_numIfES1_PKS1_PS1_Lb0ELb0ELb0EEv18rocblas_operation_llT0_T1_lllT2_lllib.private_seg_size, 0
	.set _ZL39rocblas_trsm_block_forward_substitutionI19rocblas_complex_numIfES1_PKS1_PS1_Lb0ELb0ELb0EEv18rocblas_operation_llT0_T1_lllT2_lllib.uses_vcc, 1
	.set _ZL39rocblas_trsm_block_forward_substitutionI19rocblas_complex_numIfES1_PKS1_PS1_Lb0ELb0ELb0EEv18rocblas_operation_llT0_T1_lllT2_lllib.uses_flat_scratch, 0
	.set _ZL39rocblas_trsm_block_forward_substitutionI19rocblas_complex_numIfES1_PKS1_PS1_Lb0ELb0ELb0EEv18rocblas_operation_llT0_T1_lllT2_lllib.has_dyn_sized_stack, 0
	.set _ZL39rocblas_trsm_block_forward_substitutionI19rocblas_complex_numIfES1_PKS1_PS1_Lb0ELb0ELb0EEv18rocblas_operation_llT0_T1_lllT2_lllib.has_recursion, 0
	.set _ZL39rocblas_trsm_block_forward_substitutionI19rocblas_complex_numIfES1_PKS1_PS1_Lb0ELb0ELb0EEv18rocblas_operation_llT0_T1_lllT2_lllib.has_indirect_call, 0
	.section	.AMDGPU.csdata,"",@progbits
; Kernel info:
; codeLenInByte = 2840
; TotalNumSgprs: 44
; NumVgprs: 29
; ScratchSize: 0
; MemoryBound: 0
; FloatMode: 240
; IeeeMode: 1
; LDSByteSize: 0 bytes/workgroup (compile time only)
; SGPRBlocks: 0
; VGPRBlocks: 1
; NumSGPRsForWavesPerEU: 44
; NumVGPRsForWavesPerEU: 29
; NamedBarCnt: 0
; Occupancy: 16
; WaveLimiterHint : 0
; COMPUTE_PGM_RSRC2:SCRATCH_EN: 0
; COMPUTE_PGM_RSRC2:USER_SGPR: 2
; COMPUTE_PGM_RSRC2:TRAP_HANDLER: 0
; COMPUTE_PGM_RSRC2:TGID_X_EN: 1
; COMPUTE_PGM_RSRC2:TGID_Y_EN: 1
; COMPUTE_PGM_RSRC2:TGID_Z_EN: 1
; COMPUTE_PGM_RSRC2:TIDIG_COMP_CNT: 1
	.section	.text._ZL40rocblas_trsm_block_backward_substitutionI19rocblas_complex_numIfES1_PKS1_PS1_Lb0ELb0ELb0EEv18rocblas_operation_llT0_T1_lllT2_lllib,"axG",@progbits,_ZL40rocblas_trsm_block_backward_substitutionI19rocblas_complex_numIfES1_PKS1_PS1_Lb0ELb0ELb0EEv18rocblas_operation_llT0_T1_lllT2_lllib,comdat
	.globl	_ZL40rocblas_trsm_block_backward_substitutionI19rocblas_complex_numIfES1_PKS1_PS1_Lb0ELb0ELb0EEv18rocblas_operation_llT0_T1_lllT2_lllib ; -- Begin function _ZL40rocblas_trsm_block_backward_substitutionI19rocblas_complex_numIfES1_PKS1_PS1_Lb0ELb0ELb0EEv18rocblas_operation_llT0_T1_lllT2_lllib
	.p2align	8
	.type	_ZL40rocblas_trsm_block_backward_substitutionI19rocblas_complex_numIfES1_PKS1_PS1_Lb0ELb0ELb0EEv18rocblas_operation_llT0_T1_lllT2_lllib,@function
_ZL40rocblas_trsm_block_backward_substitutionI19rocblas_complex_numIfES1_PKS1_PS1_Lb0ELb0ELb0EEv18rocblas_operation_llT0_T1_lllT2_lllib: ; @_ZL40rocblas_trsm_block_backward_substitutionI19rocblas_complex_numIfES1_PKS1_PS1_Lb0ELb0ELb0EEv18rocblas_operation_llT0_T1_lllT2_lllib
; %bb.0:
	s_load_b64 s[24:25], s[0:1], 0x60
	s_bfe_u32 s2, ttmp6, 0x40014
	s_lshr_b32 s3, ttmp7, 16
	s_add_co_i32 s2, s2, 1
	s_bfe_u32 s4, ttmp6, 0x40008
	s_mul_i32 s2, s3, s2
	s_getreg_b32 s30, hwreg(HW_REG_IB_STS2, 6, 4)
	s_add_co_i32 s4, s4, s2
	s_cmp_eq_u32 s30, 0
	s_mov_b32 s27, 0
	s_cselect_b32 s26, s3, s4
	s_wait_kmcnt 0x0
	s_cmp_ge_u32 s26, s24
	s_cbranch_scc1 .LBB179_52
; %bb.1:
	s_mov_b64 s[2:3], src_shared_base
	s_clause 0x1
	s_load_b512 s[4:19], s[0:1], 0x20
	s_load_b32 s2, s[0:1], 0x0
	v_and_b32_e32 v2, 0x3ff, v0
	v_mov_b32_e32 v1, 0
	s_bitcmp1_b32 s25, 0
	s_load_u16 s25, s[0:1], 0x76
	v_bfe_u32 v7, v0, 10, 10
	s_delay_alu instid0(VALU_DEP_2)
	v_dual_mov_b32 v3, v1 :: v_dual_lshlrev_b32 v6, 3, v2
	s_clause 0x1
	s_load_b128 s[20:23], s[0:1], 0x8
	s_load_b64 s[28:29], s[0:1], 0x18
	v_lshl_add_u32 v23, v7, 3, 0
	s_wait_kmcnt 0x0
	v_mul_u64_e32 v[8:9], s[16:17], v[2:3]
	s_cselect_b32 s16, -1, 0
	s_delay_alu instid0(SALU_CYCLE_1)
	s_xor_b32 s33, s16, -1
	s_cmp_lg_u32 s2, 0x71
	v_cndmask_b32_e64 v22, 0, 1, s16
	s_cselect_b32 s40, -1, 0
	s_bfe_u32 s2, ttmp6, 0x40010
	s_lshl_b64 s[34:35], s[6:7], 3
	s_and_b32 s6, ttmp7, 0xffff
	s_add_co_i32 s2, s2, 1
	s_bfe_u32 s7, ttmp6, 0x40004
	s_mul_i32 s2, s6, s2
	s_lshl_b64 s[36:37], s[14:15], 3
	s_add_co_i32 s7, s7, s2
	s_cmp_eq_u32 s30, 0
	s_mov_b32 s15, s3
	s_cselect_b32 s2, s6, s7
	s_add_nc_u64 s[6:7], s[0:1], 0x68
	v_mad_u32 v0, s2, s25, v7
	s_add_nc_u64 s[2:3], s[12:13], s[36:37]
	s_lshl_b32 s12, s25, 3
	v_cmp_gt_i64_e64 s42, s[20:21], 0
	s_add_co_i32 s14, s12, 0
	v_cmp_lt_i64_e64 s44, s[20:21], 2
	v_add_nc_u32_e32 v24, s14, v6
	v_mul_u64_e32 v[4:5], s[8:9], v[2:3]
	v_cmp_le_i64_e64 s41, s[20:21], v[2:3]
	v_cmp_gt_i64_e64 s1, s[20:21], v[2:3]
	v_cmp_eq_u32_e64 s0, 0, v2
	v_cmp_gt_i64_e32 vcc_lo, s[22:23], v[0:1]
	s_add_nc_u64 s[30:31], s[20:21], -1
	v_lshl_add_u64 v[8:9], v[8:9], 3, s[2:3]
	s_mov_b32 s16, s29
	s_add_nc_u64 s[4:5], s[4:5], s[34:35]
	s_mov_b32 s17, s28
	s_lshl_b64 s[12:13], s[30:31], 3
	v_lshl_add_u64 v[8:9], v[0:1], 3, v[8:9]
	v_lshlrev_b32_e32 v0, 3, v2
	s_and_b32 s43, vcc_lo, s1
	s_xor_b32 s45, s41, -1
	s_branch .LBB179_5
.LBB179_2:                              ;   in Loop: Header=BB179_5 Depth=1
	s_wait_loadcnt_dscnt 0x0
	s_wait_xcnt 0x0
	s_delay_alu instid0(VALU_DEP_1) | instskip(NEXT) | instid1(VALU_DEP_1)
	v_pk_mul_f32 v[14:15], v[12:13], v[16:17] op_sel:[1,1] op_sel_hi:[1,0]
	v_pk_fma_f32 v[18:19], v[12:13], v[16:17], v[14:15] op_sel_hi:[0,1,1]
	v_pk_fma_f32 v[12:13], v[12:13], v[16:17], v[14:15] neg_lo:[0,0,1] neg_hi:[0,0,1]
	s_delay_alu instid0(VALU_DEP_2)
	v_mov_b32_e32 v13, v19
.LBB179_3:                              ;   in Loop: Header=BB179_5 Depth=1
	s_or_b32 exec_lo, exec_lo, s36
	global_store_b64 v[10:11], v[12:13], off
.LBB179_4:                              ;   in Loop: Header=BB179_5 Depth=1
	s_wait_xcnt 0x0
	s_or_b32 exec_lo, exec_lo, s46
	s_add_co_i32 s26, s26, 0x10000
	s_delay_alu instid0(SALU_CYCLE_1)
	s_cmp_lt_u32 s26, s24
	s_cbranch_scc0 .LBB179_52
.LBB179_5:                              ; =>This Loop Header: Depth=1
                                        ;     Child Loop BB179_10 Depth 2
                                        ;     Child Loop BB179_28 Depth 2
	v_cmp_ne_u32_e32 vcc_lo, 1, v22
	s_mul_u64 s[2:3], s[10:11], s[26:27]
	s_delay_alu instid0(SALU_CYCLE_1) | instskip(NEXT) | instid1(SALU_CYCLE_1)
	s_lshl_b64 s[2:3], s[2:3], 3
	s_add_nc_u64 s[2:3], s[4:5], s[2:3]
	s_cbranch_vccnz .LBB179_20
; %bb.6:                                ;   in Loop: Header=BB179_5 Depth=1
	s_and_not1_b32 vcc_lo, exec_lo, s42
	s_cbranch_vccnz .LBB179_21
; %bb.7:                                ;   in Loop: Header=BB179_5 Depth=1
	v_lshl_add_u64 v[10:11], v[4:5], 3, s[2:3]
	v_mov_b32_e32 v14, v7
	s_mov_b32 s22, s25
	s_delay_alu instid0(VALU_DEP_2)
	v_add_nc_u64_e32 v[12:13], v[10:11], v[0:1]
	s_branch .LBB179_10
.LBB179_8:                              ;   in Loop: Header=BB179_10 Depth=2
	s_or_b32 exec_lo, exec_lo, s3
	s_load_b32 s3, s[6:7], 0xc
	s_wait_kmcnt 0x0
	s_and_b32 s3, s3, 0xffff
	s_delay_alu instid0(SALU_CYCLE_1) | instskip(NEXT) | instid1(VALU_DEP_1)
	v_mul_u32_u24_e32 v15, s3, v2
	v_lshl_add_u32 v15, v15, 3, v24
	ds_store_b64 v15, v[18:19]
.LBB179_9:                              ;   in Loop: Header=BB179_10 Depth=2
	s_or_b32 exec_lo, exec_lo, s2
	s_ashr_i32 s23, s22, 31
	v_add_nc_u32_e32 v14, s25, v14
	v_cmp_le_i64_e64 s2, s[20:21], s[22:23]
	s_add_co_i32 s22, s22, s25
	s_and_b32 vcc_lo, exec_lo, s2
	s_cbranch_vccnz .LBB179_21
.LBB179_10:                             ;   Parent Loop BB179_5 Depth=1
                                        ; =>  This Inner Loop Header: Depth=2
	s_mov_b32 s23, s41
	s_and_saveexec_b32 s3, s1
	s_cbranch_execz .LBB179_14
; %bb.11:                               ;   in Loop: Header=BB179_10 Depth=2
	v_ashrrev_i32_e32 v15, 31, v14
	v_cmp_lt_i32_e64 s2, v2, v14
	s_mov_b32 s23, -1
	v_cmp_gt_i64_e32 vcc_lo, s[20:21], v[14:15]
	s_and_b32 s34, s2, vcc_lo
	s_delay_alu instid0(SALU_CYCLE_1)
	s_and_saveexec_b32 s2, s34
	s_cbranch_execz .LBB179_13
; %bb.12:                               ;   in Loop: Header=BB179_10 Depth=2
	v_lshl_add_u64 v[16:17], v[14:15], 3, v[10:11]
	s_load_b32 s23, s[6:7], 0xc
	global_load_b64 v[16:17], v[16:17], off
	s_wait_kmcnt 0x0
	s_and_b32 s23, s23, 0xffff
	s_delay_alu instid0(SALU_CYCLE_1) | instskip(SKIP_1) | instid1(VALU_DEP_1)
	v_mul_lo_u32 v15, v14, s23
	s_xor_b32 s23, exec_lo, -1
	v_lshl_add_u32 v15, v15, 3, v24
	s_wait_loadcnt 0x0
	ds_store_b64 v15, v[16:17]
.LBB179_13:                             ;   in Loop: Header=BB179_10 Depth=2
	s_wait_xcnt 0x0
	s_or_b32 exec_lo, exec_lo, s2
	s_delay_alu instid0(SALU_CYCLE_1) | instskip(SKIP_1) | instid1(SALU_CYCLE_1)
	s_and_not1_b32 s2, s41, exec_lo
	s_and_b32 s23, s23, exec_lo
	s_or_b32 s23, s2, s23
.LBB179_14:                             ;   in Loop: Header=BB179_10 Depth=2
	s_or_b32 exec_lo, exec_lo, s3
	s_and_saveexec_b32 s2, s23
	s_cbranch_execz .LBB179_9
; %bb.15:                               ;   in Loop: Header=BB179_10 Depth=2
	v_cmp_eq_u32_e32 vcc_lo, v2, v14
	s_and_b32 s3, s45, vcc_lo
	s_delay_alu instid0(SALU_CYCLE_1)
	s_and_b32 exec_lo, exec_lo, s3
	s_cbranch_execz .LBB179_9
; %bb.16:                               ;   in Loop: Header=BB179_10 Depth=2
	global_load_b64 v[16:17], v[12:13], off
                                        ; implicit-def: $vgpr18_vgpr19
	s_wait_loadcnt 0x0
	v_cmp_ngt_f32_e64 s3, |v16|, |v17|
	s_wait_xcnt 0x0
	s_and_saveexec_b32 s23, s3
	s_delay_alu instid0(SALU_CYCLE_1)
	s_xor_b32 s3, exec_lo, s23
	s_cbranch_execz .LBB179_18
; %bb.17:                               ;   in Loop: Header=BB179_10 Depth=2
	v_div_scale_f32 v15, null, v17, v17, v16
	v_div_scale_f32 v20, vcc_lo, v16, v17, v16
	s_delay_alu instid0(VALU_DEP_2) | instskip(SKIP_1) | instid1(TRANS32_DEP_1)
	v_rcp_f32_e32 v18, v15
	v_nop
	v_fma_f32 v19, -v15, v18, 1.0
	s_delay_alu instid0(VALU_DEP_1) | instskip(NEXT) | instid1(VALU_DEP_1)
	v_fmac_f32_e32 v18, v19, v18
	v_mul_f32_e32 v19, v20, v18
	s_delay_alu instid0(VALU_DEP_1) | instskip(NEXT) | instid1(VALU_DEP_1)
	v_fma_f32 v21, -v15, v19, v20
	v_fmac_f32_e32 v19, v21, v18
	s_delay_alu instid0(VALU_DEP_1) | instskip(NEXT) | instid1(VALU_DEP_1)
	v_fma_f32 v15, -v15, v19, v20
	v_div_fmas_f32 v15, v15, v18, v19
	s_delay_alu instid0(VALU_DEP_1) | instskip(NEXT) | instid1(VALU_DEP_1)
	v_div_fixup_f32 v15, v15, v17, v16
	v_fmac_f32_e32 v17, v16, v15
	s_delay_alu instid0(VALU_DEP_1) | instskip(SKIP_1) | instid1(VALU_DEP_2)
	v_div_scale_f32 v16, null, v17, v17, 1.0
	v_div_scale_f32 v20, vcc_lo, 1.0, v17, 1.0
	v_rcp_f32_e32 v18, v16
	v_nop
	s_delay_alu instid0(TRANS32_DEP_1) | instskip(NEXT) | instid1(VALU_DEP_1)
	v_fma_f32 v19, -v16, v18, 1.0
	v_fmac_f32_e32 v18, v19, v18
	s_delay_alu instid0(VALU_DEP_1) | instskip(NEXT) | instid1(VALU_DEP_1)
	v_mul_f32_e32 v19, v20, v18
	v_fma_f32 v21, -v16, v19, v20
	s_delay_alu instid0(VALU_DEP_1) | instskip(NEXT) | instid1(VALU_DEP_1)
	v_fmac_f32_e32 v19, v21, v18
	v_fma_f32 v16, -v16, v19, v20
	s_delay_alu instid0(VALU_DEP_1) | instskip(NEXT) | instid1(VALU_DEP_1)
	v_div_fmas_f32 v16, v16, v18, v19
	v_div_fixup_f32 v16, v16, v17, 1.0
	s_delay_alu instid0(VALU_DEP_1)
	v_mul_f32_e32 v18, v15, v16
	v_xor_b32_e32 v19, 0x80000000, v16
                                        ; implicit-def: $vgpr16_vgpr17
.LBB179_18:                             ;   in Loop: Header=BB179_10 Depth=2
	s_and_not1_saveexec_b32 s3, s3
	s_cbranch_execz .LBB179_8
; %bb.19:                               ;   in Loop: Header=BB179_10 Depth=2
	v_div_scale_f32 v15, null, v16, v16, v17
	v_div_scale_f32 v20, vcc_lo, v17, v16, v17
	s_delay_alu instid0(VALU_DEP_2) | instskip(SKIP_1) | instid1(TRANS32_DEP_1)
	v_rcp_f32_e32 v18, v15
	v_nop
	v_fma_f32 v19, -v15, v18, 1.0
	s_delay_alu instid0(VALU_DEP_1) | instskip(NEXT) | instid1(VALU_DEP_1)
	v_fmac_f32_e32 v18, v19, v18
	v_mul_f32_e32 v19, v20, v18
	s_delay_alu instid0(VALU_DEP_1) | instskip(NEXT) | instid1(VALU_DEP_1)
	v_fma_f32 v21, -v15, v19, v20
	v_fmac_f32_e32 v19, v21, v18
	s_delay_alu instid0(VALU_DEP_1) | instskip(NEXT) | instid1(VALU_DEP_1)
	v_fma_f32 v15, -v15, v19, v20
	v_div_fmas_f32 v15, v15, v18, v19
	s_delay_alu instid0(VALU_DEP_1) | instskip(NEXT) | instid1(VALU_DEP_1)
	v_div_fixup_f32 v15, v15, v16, v17
	v_fmac_f32_e32 v16, v17, v15
	s_delay_alu instid0(VALU_DEP_1) | instskip(NEXT) | instid1(VALU_DEP_1)
	v_div_scale_f32 v17, null, v16, v16, 1.0
	v_rcp_f32_e32 v18, v17
	v_nop
	s_delay_alu instid0(TRANS32_DEP_1) | instskip(NEXT) | instid1(VALU_DEP_1)
	v_fma_f32 v19, -v17, v18, 1.0
	v_fmac_f32_e32 v18, v19, v18
	v_div_scale_f32 v19, vcc_lo, 1.0, v16, 1.0
	s_delay_alu instid0(VALU_DEP_1) | instskip(NEXT) | instid1(VALU_DEP_1)
	v_mul_f32_e32 v20, v19, v18
	v_fma_f32 v21, -v17, v20, v19
	s_delay_alu instid0(VALU_DEP_1) | instskip(NEXT) | instid1(VALU_DEP_1)
	v_fmac_f32_e32 v20, v21, v18
	v_fma_f32 v17, -v17, v20, v19
	s_delay_alu instid0(VALU_DEP_1) | instskip(NEXT) | instid1(VALU_DEP_1)
	v_div_fmas_f32 v17, v17, v18, v20
	v_div_fixup_f32 v18, v17, v16, 1.0
	s_delay_alu instid0(VALU_DEP_1)
	v_mul_f32_e64 v19, v15, -v18
	s_branch .LBB179_8
.LBB179_20:                             ;   in Loop: Header=BB179_5 Depth=1
	s_mov_b64 s[22:23], 1
	s_mov_b64 s[34:35], s[8:9]
	s_and_saveexec_b32 s46, s43
	s_cbranch_execz .LBB179_4
	s_branch .LBB179_22
.LBB179_21:                             ;   in Loop: Header=BB179_5 Depth=1
	s_load_b32 s2, s[6:7], 0xc
	s_mov_b32 s23, s27
	s_mov_b64 s[34:35], 1
	s_wait_kmcnt 0x0
	s_and_b32 s22, s2, 0xffff
	s_mov_b64 s[2:3], s[14:15]
	s_and_saveexec_b32 s46, s43
	s_cbranch_execz .LBB179_4
.LBB179_22:                             ;   in Loop: Header=BB179_5 Depth=1
	s_mul_u64 s[36:37], s[18:19], s[26:27]
	v_mov_b64_e32 v[14:15], s[16:17]
	v_lshl_add_u64 v[10:11], s[36:37], 3, v[8:9]
	v_mov_b64_e32 v[16:17], s[28:29]
	s_and_not1_b32 vcc_lo, exec_lo, s44
	s_mov_b32 s36, -1
	global_load_b64 v[12:13], v[10:11], off
	s_wait_loadcnt 0x0
	v_pk_mul_f32 v[14:15], v[14:15], v[12:13] op_sel:[0,1]
	v_pk_mul_f32 v[20:21], v[16:17], v[12:13] op_sel_hi:[1,0]
	s_delay_alu instid0(VALU_DEP_2) | instskip(NEXT) | instid1(VALU_DEP_2)
	v_pk_fma_f32 v[18:19], v[16:17], v[12:13], v[14:15] op_sel_hi:[1,0,1]
	v_sub_f32_e32 v18, v20, v14
                                        ; implicit-def: $vgpr12_vgpr13
	s_cbranch_vccnz .LBB179_24
; %bb.23:                               ;   in Loop: Header=BB179_5 Depth=1
	s_delay_alu instid0(VALU_DEP_1)
	v_mov_b64_e32 v[12:13], v[18:19]
	s_mov_b32 s36, 0
.LBB179_24:                             ;   in Loop: Header=BB179_5 Depth=1
	s_delay_alu instid0(SALU_CYCLE_1)
	s_and_not1_b32 vcc_lo, exec_lo, s36
	s_cbranch_vccnz .LBB179_43
; %bb.25:                               ;   in Loop: Header=BB179_5 Depth=1
	s_add_nc_u64 s[36:37], s[22:23], s[34:35]
	s_mov_b64 s[38:39], s[30:31]
	v_mul_u64_e32 v[12:13], s[36:37], v[2:3]
	s_mul_u64 s[36:37], s[12:13], s[22:23]
	s_delay_alu instid0(SALU_CYCLE_1) | instskip(NEXT) | instid1(SALU_CYCLE_1)
	s_add_nc_u64 s[36:37], s[2:3], s[36:37]
	v_mad_nc_u64_u32 v[14:15], v6, s34, s[36:37]
	s_lshl_b32 s36, s22, 3
	s_mov_b32 s37, s27
	s_delay_alu instid0(SALU_CYCLE_1) | instskip(NEXT) | instid1(VALU_DEP_1)
	s_sub_nc_u64 s[36:37], 0, s[36:37]
	v_mad_u32 v15, v6, s35, v15
	s_delay_alu instid0(VALU_DEP_1) | instskip(NEXT) | instid1(VALU_DEP_4)
	v_add_nc_u64_e32 v[14:15], 4, v[14:15]
	v_lshl_add_u64 v[16:17], v[12:13], 3, s[2:3]
	s_branch .LBB179_28
.LBB179_26:                             ;   in Loop: Header=BB179_28 Depth=2
	ds_load_b64 v[26:27], v23
	s_wait_dscnt 0x0
	v_pk_mul_f32 v[20:21], v[20:21], v[26:27] op_sel:[0,1] op_sel_hi:[0,0]
	s_delay_alu instid0(VALU_DEP_1) | instskip(SKIP_1) | instid1(VALU_DEP_2)
	v_pk_fma_f32 v[28:29], v[26:27], v[18:19], v[20:21] op_sel_hi:[1,0,1]
	v_pk_fma_f32 v[18:19], v[26:27], v[18:19], v[20:21] neg_lo:[0,0,1] neg_hi:[0,0,1]
	v_mov_b32_e32 v19, v29
	s_delay_alu instid0(VALU_DEP_1) | instskip(NEXT) | instid1(VALU_DEP_1)
	v_pk_add_f32 v[18:19], v[12:13], v[18:19] neg_lo:[0,1] neg_hi:[0,1]
	v_mov_b64_e32 v[12:13], v[18:19]
.LBB179_27:                             ;   in Loop: Header=BB179_28 Depth=2
	s_wait_xcnt 0x0
	s_or_b32 exec_lo, exec_lo, s47
	s_add_nc_u64 s[48:49], s[38:39], 1
	v_add_nc_u64_e32 v[14:15], s[36:37], v[14:15]
	v_cmp_lt_u64_e64 s47, s[48:49], 3
	s_add_nc_u64 s[38:39], s[38:39], -1
	s_and_b32 vcc_lo, exec_lo, s47
	s_cbranch_vccnz .LBB179_43
.LBB179_28:                             ;   Parent Loop BB179_5 Depth=1
                                        ; =>  This Inner Loop Header: Depth=2
	v_mov_b64_e32 v[12:13], v[18:19]
	s_mov_b32 s47, exec_lo
	s_wait_dscnt 0x0
	s_barrier_signal -1
	s_barrier_wait -1
	s_wait_xcnt 0x0
	v_cmpx_eq_u64_e64 s[38:39], v[2:3]
	s_cbranch_execz .LBB179_38
; %bb.29:                               ;   in Loop: Header=BB179_28 Depth=2
	flat_load_b64 v[12:13], v[16:17]
	s_and_b32 vcc_lo, exec_lo, s33
	s_mov_b32 s48, -1
                                        ; implicit-def: $vgpr20_vgpr21
	s_cbranch_vccz .LBB179_35
; %bb.30:                               ;   in Loop: Header=BB179_28 Depth=2
	s_wait_loadcnt_dscnt 0x0
	v_cmp_ngt_f32_e64 s48, |v12|, |v13|
                                        ; implicit-def: $vgpr20_vgpr21
	s_wait_xcnt 0x0
	s_and_saveexec_b32 s49, s48
	s_delay_alu instid0(SALU_CYCLE_1)
	s_xor_b32 s48, exec_lo, s49
	s_cbranch_execz .LBB179_32
; %bb.31:                               ;   in Loop: Header=BB179_28 Depth=2
	v_div_scale_f32 v20, null, v13, v13, v12
	v_div_scale_f32 v26, vcc_lo, v12, v13, v12
	s_delay_alu instid0(VALU_DEP_2) | instskip(SKIP_1) | instid1(TRANS32_DEP_1)
	v_rcp_f32_e32 v21, v20
	v_nop
	v_fma_f32 v25, -v20, v21, 1.0
	s_delay_alu instid0(VALU_DEP_1) | instskip(NEXT) | instid1(VALU_DEP_1)
	v_fmac_f32_e32 v21, v25, v21
	v_mul_f32_e32 v25, v26, v21
	s_delay_alu instid0(VALU_DEP_1) | instskip(NEXT) | instid1(VALU_DEP_1)
	v_fma_f32 v27, -v20, v25, v26
	v_fmac_f32_e32 v25, v27, v21
	s_delay_alu instid0(VALU_DEP_1) | instskip(NEXT) | instid1(VALU_DEP_1)
	v_fma_f32 v20, -v20, v25, v26
	v_div_fmas_f32 v20, v20, v21, v25
	s_delay_alu instid0(VALU_DEP_1) | instskip(NEXT) | instid1(VALU_DEP_1)
	v_div_fixup_f32 v20, v20, v13, v12
	v_fma_f32 v21, v12, v20, v13
	s_delay_alu instid0(VALU_DEP_1) | instskip(SKIP_1) | instid1(VALU_DEP_2)
	v_div_scale_f32 v25, null, v21, v21, 1.0
	v_div_scale_f32 v28, vcc_lo, 1.0, v21, 1.0
	v_rcp_f32_e32 v26, v25
	v_nop
	s_delay_alu instid0(TRANS32_DEP_1) | instskip(NEXT) | instid1(VALU_DEP_1)
	v_fma_f32 v27, -v25, v26, 1.0
	v_fmac_f32_e32 v26, v27, v26
	s_delay_alu instid0(VALU_DEP_1) | instskip(NEXT) | instid1(VALU_DEP_1)
	v_mul_f32_e32 v27, v28, v26
	v_fma_f32 v29, -v25, v27, v28
	s_delay_alu instid0(VALU_DEP_1) | instskip(NEXT) | instid1(VALU_DEP_1)
	v_fmac_f32_e32 v27, v29, v26
	v_fma_f32 v25, -v25, v27, v28
	s_delay_alu instid0(VALU_DEP_1) | instskip(NEXT) | instid1(VALU_DEP_1)
	v_div_fmas_f32 v25, v25, v26, v27
	v_div_fixup_f32 v21, v25, v21, 1.0
	s_delay_alu instid0(VALU_DEP_1)
	v_mul_f32_e32 v20, v20, v21
	v_xor_b32_e32 v21, 0x80000000, v21
.LBB179_32:                             ;   in Loop: Header=BB179_28 Depth=2
	s_and_not1_saveexec_b32 s48, s48
	s_cbranch_execz .LBB179_34
; %bb.33:                               ;   in Loop: Header=BB179_28 Depth=2
	v_div_scale_f32 v20, null, v12, v12, v13
	v_div_scale_f32 v26, vcc_lo, v13, v12, v13
	s_delay_alu instid0(VALU_DEP_2) | instskip(SKIP_1) | instid1(TRANS32_DEP_1)
	v_rcp_f32_e32 v21, v20
	v_nop
	v_fma_f32 v25, -v20, v21, 1.0
	s_delay_alu instid0(VALU_DEP_1) | instskip(NEXT) | instid1(VALU_DEP_1)
	v_fmac_f32_e32 v21, v25, v21
	v_mul_f32_e32 v25, v26, v21
	s_delay_alu instid0(VALU_DEP_1) | instskip(NEXT) | instid1(VALU_DEP_1)
	v_fma_f32 v27, -v20, v25, v26
	v_fmac_f32_e32 v25, v27, v21
	s_delay_alu instid0(VALU_DEP_1) | instskip(NEXT) | instid1(VALU_DEP_1)
	v_fma_f32 v20, -v20, v25, v26
	v_div_fmas_f32 v20, v20, v21, v25
	s_delay_alu instid0(VALU_DEP_1) | instskip(NEXT) | instid1(VALU_DEP_1)
	v_div_fixup_f32 v21, v20, v12, v13
	v_fma_f32 v20, v13, v21, v12
	s_delay_alu instid0(VALU_DEP_1) | instskip(NEXT) | instid1(VALU_DEP_1)
	v_div_scale_f32 v25, null, v20, v20, 1.0
	v_rcp_f32_e32 v26, v25
	v_nop
	s_delay_alu instid0(TRANS32_DEP_1) | instskip(NEXT) | instid1(VALU_DEP_1)
	v_fma_f32 v27, -v25, v26, 1.0
	v_fmac_f32_e32 v26, v27, v26
	v_div_scale_f32 v27, vcc_lo, 1.0, v20, 1.0
	s_delay_alu instid0(VALU_DEP_1) | instskip(NEXT) | instid1(VALU_DEP_1)
	v_mul_f32_e32 v28, v27, v26
	v_fma_f32 v29, -v25, v28, v27
	s_delay_alu instid0(VALU_DEP_1) | instskip(NEXT) | instid1(VALU_DEP_1)
	v_fmac_f32_e32 v28, v29, v26
	v_fma_f32 v25, -v25, v28, v27
	s_delay_alu instid0(VALU_DEP_1) | instskip(NEXT) | instid1(VALU_DEP_1)
	v_div_fmas_f32 v25, v25, v26, v28
	v_div_fixup_f32 v20, v25, v20, 1.0
	s_delay_alu instid0(VALU_DEP_1)
	v_mul_f32_e64 v21, v21, -v20
.LBB179_34:                             ;   in Loop: Header=BB179_28 Depth=2
	s_or_b32 exec_lo, exec_lo, s48
	s_mov_b32 s48, 0
.LBB179_35:                             ;   in Loop: Header=BB179_28 Depth=2
	s_delay_alu instid0(SALU_CYCLE_1)
	s_and_not1_b32 vcc_lo, exec_lo, s48
	s_cbranch_vccnz .LBB179_37
; %bb.36:                               ;   in Loop: Header=BB179_28 Depth=2
	s_wait_loadcnt_dscnt 0x0
	v_mov_b64_e32 v[20:21], v[12:13]
.LBB179_37:                             ;   in Loop: Header=BB179_28 Depth=2
	s_delay_alu instid0(VALU_DEP_1) | instskip(SKIP_1) | instid1(VALU_DEP_1)
	v_pk_mul_f32 v[26:27], v[18:19], v[20:21] op_sel:[1,1] op_sel_hi:[0,1]
	s_wait_loadcnt_dscnt 0x0
	v_pk_fma_f32 v[12:13], v[18:19], v[20:21], v[26:27] op_sel_hi:[1,0,1] neg_lo:[0,0,1] neg_hi:[0,0,1]
	v_pk_fma_f32 v[18:19], v[18:19], v[20:21], v[26:27] op_sel_hi:[1,0,1]
	s_delay_alu instid0(VALU_DEP_1)
	v_dual_mov_b32 v18, v12 :: v_dual_mov_b32 v13, v19
	ds_store_b64 v23, v[12:13]
.LBB179_38:                             ;   in Loop: Header=BB179_28 Depth=2
	s_wait_xcnt 0x0
	s_or_b32 exec_lo, exec_lo, s47
	s_delay_alu instid0(SALU_CYCLE_1)
	s_mov_b32 s47, exec_lo
	s_wait_dscnt 0x0
	s_barrier_signal -1
	s_barrier_wait -1
	v_cmpx_gt_i64_e64 s[38:39], v[2:3]
	s_cbranch_execz .LBB179_27
; %bb.39:                               ;   in Loop: Header=BB179_28 Depth=2
	s_and_b32 vcc_lo, exec_lo, s40
	s_mov_b32 s48, -1
                                        ; implicit-def: $vgpr18
                                        ; implicit-def: $vgpr20
	s_cbranch_vccz .LBB179_41
; %bb.40:                               ;   in Loop: Header=BB179_28 Depth=2
	flat_load_b64 v[18:19], v[14:15] offset:-4
	s_mov_b32 s48, 0
	s_wait_loadcnt_dscnt 0x0
	v_mov_b32_e32 v20, v19
.LBB179_41:                             ;   in Loop: Header=BB179_28 Depth=2
	s_and_not1_b32 vcc_lo, exec_lo, s48
	s_cbranch_vccnz .LBB179_26
; %bb.42:                               ;   in Loop: Header=BB179_28 Depth=2
	flat_load_b64 v[18:19], v[14:15] offset:-4
	s_wait_loadcnt_dscnt 0x0
	v_xor_b32_e32 v20, 0x80000000, v19
	s_branch .LBB179_26
.LBB179_43:                             ;   in Loop: Header=BB179_5 Depth=1
	s_wait_xcnt 0x0
	s_and_saveexec_b32 s36, s0
	s_cbranch_execz .LBB179_3
; %bb.44:                               ;   in Loop: Header=BB179_5 Depth=1
	s_add_nc_u64 s[22:23], s[22:23], s[34:35]
	s_and_b32 vcc_lo, exec_lo, s33
	v_mul_u64_e32 v[14:15], s[22:23], v[2:3]
                                        ; implicit-def: $vgpr16_vgpr17
	s_delay_alu instid0(VALU_DEP_1)
	v_lshl_add_u64 v[14:15], v[14:15], 3, s[2:3]
	s_mov_b32 s2, -1
	flat_load_b64 v[14:15], v[14:15]
	s_cbranch_vccz .LBB179_50
; %bb.45:                               ;   in Loop: Header=BB179_5 Depth=1
	s_wait_loadcnt_dscnt 0x0
	v_cmp_ngt_f32_e64 s2, |v14|, |v15|
                                        ; implicit-def: $vgpr16_vgpr17
	s_wait_xcnt 0x0
	s_and_saveexec_b32 s3, s2
	s_delay_alu instid0(SALU_CYCLE_1)
	s_xor_b32 s2, exec_lo, s3
	s_cbranch_execz .LBB179_47
; %bb.46:                               ;   in Loop: Header=BB179_5 Depth=1
	v_div_scale_f32 v16, null, v15, v15, v14
	v_div_scale_f32 v19, vcc_lo, v14, v15, v14
	s_delay_alu instid0(VALU_DEP_2) | instskip(SKIP_1) | instid1(TRANS32_DEP_1)
	v_rcp_f32_e32 v17, v16
	v_nop
	v_fma_f32 v18, -v16, v17, 1.0
	s_delay_alu instid0(VALU_DEP_1) | instskip(NEXT) | instid1(VALU_DEP_1)
	v_fmac_f32_e32 v17, v18, v17
	v_mul_f32_e32 v18, v19, v17
	s_delay_alu instid0(VALU_DEP_1) | instskip(NEXT) | instid1(VALU_DEP_1)
	v_fma_f32 v20, -v16, v18, v19
	v_fmac_f32_e32 v18, v20, v17
	s_delay_alu instid0(VALU_DEP_1) | instskip(NEXT) | instid1(VALU_DEP_1)
	v_fma_f32 v16, -v16, v18, v19
	v_div_fmas_f32 v16, v16, v17, v18
	s_delay_alu instid0(VALU_DEP_1) | instskip(NEXT) | instid1(VALU_DEP_1)
	v_div_fixup_f32 v16, v16, v15, v14
	v_fma_f32 v17, v14, v16, v15
	s_delay_alu instid0(VALU_DEP_1) | instskip(SKIP_1) | instid1(VALU_DEP_2)
	v_div_scale_f32 v18, null, v17, v17, 1.0
	v_div_scale_f32 v21, vcc_lo, 1.0, v17, 1.0
	v_rcp_f32_e32 v19, v18
	v_nop
	s_delay_alu instid0(TRANS32_DEP_1) | instskip(NEXT) | instid1(VALU_DEP_1)
	v_fma_f32 v20, -v18, v19, 1.0
	v_fmac_f32_e32 v19, v20, v19
	s_delay_alu instid0(VALU_DEP_1) | instskip(NEXT) | instid1(VALU_DEP_1)
	v_mul_f32_e32 v20, v21, v19
	v_fma_f32 v25, -v18, v20, v21
	s_delay_alu instid0(VALU_DEP_1) | instskip(NEXT) | instid1(VALU_DEP_1)
	v_fmac_f32_e32 v20, v25, v19
	v_fma_f32 v18, -v18, v20, v21
	s_delay_alu instid0(VALU_DEP_1) | instskip(NEXT) | instid1(VALU_DEP_1)
	v_div_fmas_f32 v18, v18, v19, v20
	v_div_fixup_f32 v17, v18, v17, 1.0
	s_delay_alu instid0(VALU_DEP_1)
	v_mul_f32_e32 v16, v16, v17
	v_xor_b32_e32 v17, 0x80000000, v17
.LBB179_47:                             ;   in Loop: Header=BB179_5 Depth=1
	s_and_not1_saveexec_b32 s2, s2
	s_cbranch_execz .LBB179_49
; %bb.48:                               ;   in Loop: Header=BB179_5 Depth=1
	v_div_scale_f32 v16, null, v14, v14, v15
	v_div_scale_f32 v19, vcc_lo, v15, v14, v15
	s_delay_alu instid0(VALU_DEP_2) | instskip(SKIP_1) | instid1(TRANS32_DEP_1)
	v_rcp_f32_e32 v17, v16
	v_nop
	v_fma_f32 v18, -v16, v17, 1.0
	s_delay_alu instid0(VALU_DEP_1) | instskip(NEXT) | instid1(VALU_DEP_1)
	v_fmac_f32_e32 v17, v18, v17
	v_mul_f32_e32 v18, v19, v17
	s_delay_alu instid0(VALU_DEP_1) | instskip(NEXT) | instid1(VALU_DEP_1)
	v_fma_f32 v20, -v16, v18, v19
	v_fmac_f32_e32 v18, v20, v17
	s_delay_alu instid0(VALU_DEP_1) | instskip(NEXT) | instid1(VALU_DEP_1)
	v_fma_f32 v16, -v16, v18, v19
	v_div_fmas_f32 v16, v16, v17, v18
	s_delay_alu instid0(VALU_DEP_1) | instskip(NEXT) | instid1(VALU_DEP_1)
	v_div_fixup_f32 v17, v16, v14, v15
	v_fma_f32 v16, v15, v17, v14
	s_delay_alu instid0(VALU_DEP_1) | instskip(NEXT) | instid1(VALU_DEP_1)
	v_div_scale_f32 v18, null, v16, v16, 1.0
	v_rcp_f32_e32 v19, v18
	v_nop
	s_delay_alu instid0(TRANS32_DEP_1) | instskip(NEXT) | instid1(VALU_DEP_1)
	v_fma_f32 v20, -v18, v19, 1.0
	v_fmac_f32_e32 v19, v20, v19
	v_div_scale_f32 v20, vcc_lo, 1.0, v16, 1.0
	s_delay_alu instid0(VALU_DEP_1) | instskip(NEXT) | instid1(VALU_DEP_1)
	v_mul_f32_e32 v21, v20, v19
	v_fma_f32 v25, -v18, v21, v20
	s_delay_alu instid0(VALU_DEP_1) | instskip(NEXT) | instid1(VALU_DEP_1)
	v_fmac_f32_e32 v21, v25, v19
	v_fma_f32 v18, -v18, v21, v20
	s_delay_alu instid0(VALU_DEP_1) | instskip(NEXT) | instid1(VALU_DEP_1)
	v_div_fmas_f32 v18, v18, v19, v21
	v_div_fixup_f32 v16, v18, v16, 1.0
	s_delay_alu instid0(VALU_DEP_1)
	v_mul_f32_e64 v17, v17, -v16
.LBB179_49:                             ;   in Loop: Header=BB179_5 Depth=1
	s_or_b32 exec_lo, exec_lo, s2
	s_mov_b32 s2, 0
.LBB179_50:                             ;   in Loop: Header=BB179_5 Depth=1
	s_delay_alu instid0(SALU_CYCLE_1)
	s_and_not1_b32 vcc_lo, exec_lo, s2
	s_cbranch_vccnz .LBB179_2
; %bb.51:                               ;   in Loop: Header=BB179_5 Depth=1
	s_wait_loadcnt_dscnt 0x0
	v_mov_b64_e32 v[16:17], v[14:15]
	s_branch .LBB179_2
.LBB179_52:
	s_endpgm
	.section	.rodata,"a",@progbits
	.p2align	6, 0x0
	.amdhsa_kernel _ZL40rocblas_trsm_block_backward_substitutionI19rocblas_complex_numIfES1_PKS1_PS1_Lb0ELb0ELb0EEv18rocblas_operation_llT0_T1_lllT2_lllib
		.amdhsa_group_segment_fixed_size 0
		.amdhsa_private_segment_fixed_size 0
		.amdhsa_kernarg_size 360
		.amdhsa_user_sgpr_count 2
		.amdhsa_user_sgpr_dispatch_ptr 0
		.amdhsa_user_sgpr_queue_ptr 0
		.amdhsa_user_sgpr_kernarg_segment_ptr 1
		.amdhsa_user_sgpr_dispatch_id 0
		.amdhsa_user_sgpr_kernarg_preload_length 0
		.amdhsa_user_sgpr_kernarg_preload_offset 0
		.amdhsa_user_sgpr_private_segment_size 0
		.amdhsa_wavefront_size32 1
		.amdhsa_uses_dynamic_stack 0
		.amdhsa_enable_private_segment 0
		.amdhsa_system_sgpr_workgroup_id_x 1
		.amdhsa_system_sgpr_workgroup_id_y 1
		.amdhsa_system_sgpr_workgroup_id_z 1
		.amdhsa_system_sgpr_workgroup_info 0
		.amdhsa_system_vgpr_workitem_id 1
		.amdhsa_next_free_vgpr 30
		.amdhsa_next_free_sgpr 50
		.amdhsa_named_barrier_count 0
		.amdhsa_reserve_vcc 1
		.amdhsa_float_round_mode_32 0
		.amdhsa_float_round_mode_16_64 0
		.amdhsa_float_denorm_mode_32 3
		.amdhsa_float_denorm_mode_16_64 3
		.amdhsa_fp16_overflow 0
		.amdhsa_memory_ordered 1
		.amdhsa_forward_progress 1
		.amdhsa_inst_pref_size 23
		.amdhsa_round_robin_scheduling 0
		.amdhsa_exception_fp_ieee_invalid_op 0
		.amdhsa_exception_fp_denorm_src 0
		.amdhsa_exception_fp_ieee_div_zero 0
		.amdhsa_exception_fp_ieee_overflow 0
		.amdhsa_exception_fp_ieee_underflow 0
		.amdhsa_exception_fp_ieee_inexact 0
		.amdhsa_exception_int_div_zero 0
	.end_amdhsa_kernel
	.section	.text._ZL40rocblas_trsm_block_backward_substitutionI19rocblas_complex_numIfES1_PKS1_PS1_Lb0ELb0ELb0EEv18rocblas_operation_llT0_T1_lllT2_lllib,"axG",@progbits,_ZL40rocblas_trsm_block_backward_substitutionI19rocblas_complex_numIfES1_PKS1_PS1_Lb0ELb0ELb0EEv18rocblas_operation_llT0_T1_lllT2_lllib,comdat
.Lfunc_end179:
	.size	_ZL40rocblas_trsm_block_backward_substitutionI19rocblas_complex_numIfES1_PKS1_PS1_Lb0ELb0ELb0EEv18rocblas_operation_llT0_T1_lllT2_lllib, .Lfunc_end179-_ZL40rocblas_trsm_block_backward_substitutionI19rocblas_complex_numIfES1_PKS1_PS1_Lb0ELb0ELb0EEv18rocblas_operation_llT0_T1_lllT2_lllib
                                        ; -- End function
	.set _ZL40rocblas_trsm_block_backward_substitutionI19rocblas_complex_numIfES1_PKS1_PS1_Lb0ELb0ELb0EEv18rocblas_operation_llT0_T1_lllT2_lllib.num_vgpr, 30
	.set _ZL40rocblas_trsm_block_backward_substitutionI19rocblas_complex_numIfES1_PKS1_PS1_Lb0ELb0ELb0EEv18rocblas_operation_llT0_T1_lllT2_lllib.num_agpr, 0
	.set _ZL40rocblas_trsm_block_backward_substitutionI19rocblas_complex_numIfES1_PKS1_PS1_Lb0ELb0ELb0EEv18rocblas_operation_llT0_T1_lllT2_lllib.numbered_sgpr, 50
	.set _ZL40rocblas_trsm_block_backward_substitutionI19rocblas_complex_numIfES1_PKS1_PS1_Lb0ELb0ELb0EEv18rocblas_operation_llT0_T1_lllT2_lllib.num_named_barrier, 0
	.set _ZL40rocblas_trsm_block_backward_substitutionI19rocblas_complex_numIfES1_PKS1_PS1_Lb0ELb0ELb0EEv18rocblas_operation_llT0_T1_lllT2_lllib.private_seg_size, 0
	.set _ZL40rocblas_trsm_block_backward_substitutionI19rocblas_complex_numIfES1_PKS1_PS1_Lb0ELb0ELb0EEv18rocblas_operation_llT0_T1_lllT2_lllib.uses_vcc, 1
	.set _ZL40rocblas_trsm_block_backward_substitutionI19rocblas_complex_numIfES1_PKS1_PS1_Lb0ELb0ELb0EEv18rocblas_operation_llT0_T1_lllT2_lllib.uses_flat_scratch, 0
	.set _ZL40rocblas_trsm_block_backward_substitutionI19rocblas_complex_numIfES1_PKS1_PS1_Lb0ELb0ELb0EEv18rocblas_operation_llT0_T1_lllT2_lllib.has_dyn_sized_stack, 0
	.set _ZL40rocblas_trsm_block_backward_substitutionI19rocblas_complex_numIfES1_PKS1_PS1_Lb0ELb0ELb0EEv18rocblas_operation_llT0_T1_lllT2_lllib.has_recursion, 0
	.set _ZL40rocblas_trsm_block_backward_substitutionI19rocblas_complex_numIfES1_PKS1_PS1_Lb0ELb0ELb0EEv18rocblas_operation_llT0_T1_lllT2_lllib.has_indirect_call, 0
	.section	.AMDGPU.csdata,"",@progbits
; Kernel info:
; codeLenInByte = 2892
; TotalNumSgprs: 52
; NumVgprs: 30
; ScratchSize: 0
; MemoryBound: 0
; FloatMode: 240
; IeeeMode: 1
; LDSByteSize: 0 bytes/workgroup (compile time only)
; SGPRBlocks: 0
; VGPRBlocks: 1
; NumSGPRsForWavesPerEU: 52
; NumVGPRsForWavesPerEU: 30
; NamedBarCnt: 0
; Occupancy: 16
; WaveLimiterHint : 0
; COMPUTE_PGM_RSRC2:SCRATCH_EN: 0
; COMPUTE_PGM_RSRC2:USER_SGPR: 2
; COMPUTE_PGM_RSRC2:TRAP_HANDLER: 0
; COMPUTE_PGM_RSRC2:TGID_X_EN: 1
; COMPUTE_PGM_RSRC2:TGID_Y_EN: 1
; COMPUTE_PGM_RSRC2:TGID_Z_EN: 1
; COMPUTE_PGM_RSRC2:TIDIG_COMP_CNT: 1
	.section	.text._ZL39rocblas_trsm_block_forward_substitutionI19rocblas_complex_numIfES1_PKS1_PS1_Lb0ELb0ELb1EEv18rocblas_operation_llT0_T1_lllT2_lllib,"axG",@progbits,_ZL39rocblas_trsm_block_forward_substitutionI19rocblas_complex_numIfES1_PKS1_PS1_Lb0ELb0ELb1EEv18rocblas_operation_llT0_T1_lllT2_lllib,comdat
	.globl	_ZL39rocblas_trsm_block_forward_substitutionI19rocblas_complex_numIfES1_PKS1_PS1_Lb0ELb0ELb1EEv18rocblas_operation_llT0_T1_lllT2_lllib ; -- Begin function _ZL39rocblas_trsm_block_forward_substitutionI19rocblas_complex_numIfES1_PKS1_PS1_Lb0ELb0ELb1EEv18rocblas_operation_llT0_T1_lllT2_lllib
	.p2align	8
	.type	_ZL39rocblas_trsm_block_forward_substitutionI19rocblas_complex_numIfES1_PKS1_PS1_Lb0ELb0ELb1EEv18rocblas_operation_llT0_T1_lllT2_lllib,@function
_ZL39rocblas_trsm_block_forward_substitutionI19rocblas_complex_numIfES1_PKS1_PS1_Lb0ELb0ELb1EEv18rocblas_operation_llT0_T1_lllT2_lllib: ; @_ZL39rocblas_trsm_block_forward_substitutionI19rocblas_complex_numIfES1_PKS1_PS1_Lb0ELb0ELb1EEv18rocblas_operation_llT0_T1_lllT2_lllib
; %bb.0:
	s_load_b64 s[2:3], s[0:1], 0x60
	s_bfe_u32 s4, ttmp6, 0x40014
	s_lshr_b32 s5, ttmp7, 16
	s_add_co_i32 s4, s4, 1
	s_bfe_u32 s6, ttmp6, 0x40008
	s_mul_i32 s4, s5, s4
	s_getreg_b32 s26, hwreg(HW_REG_IB_STS2, 6, 4)
	s_add_co_i32 s6, s6, s4
	s_cmp_eq_u32 s26, 0
	s_mov_b32 s25, 0
	s_cselect_b32 s24, s5, s6
	s_wait_kmcnt 0x0
	s_cmp_ge_u32 s24, s2
	s_cbranch_scc1 .LBB180_25
; %bb.1:
	s_clause 0x2
	s_load_b32 s27, s[0:1], 0x0
	s_load_b512 s[4:19], s[0:1], 0x20
	s_load_u16 s30, s[0:1], 0x76
	s_bitcmp1_b32 s3, 0
	v_bfe_u32 v17, v0, 10, 10
	s_cselect_b32 s3, -1, 0
	v_and_b32_e32 v0, 0x3ff, v0
	v_mov_b32_e32 v3, 0
	s_load_b128 s[20:23], s[0:1], 0x8
	v_lshl_add_u32 v18, v17, 3, 0
	s_mov_b64 s[28:29], src_shared_base
	s_delay_alu instid0(VALU_DEP_2) | instskip(SKIP_1) | instid1(VALU_DEP_2)
	v_dual_mov_b32 v1, v3 :: v_dual_lshlrev_b32 v8, 3, v0
	v_dual_mov_b32 v9, v3 :: v_dual_mov_b32 v5, v3
	v_or_b32_e32 v4, 4, v8
	s_wait_kmcnt 0x0
	s_cmp_lg_u32 s27, 0x71
	s_cselect_b32 s31, -1, 0
	s_lshl_b64 s[34:35], s[6:7], 3
	s_bfe_u32 s6, ttmp6, 0x40010
	s_and_b32 s7, ttmp7, 0xffff
	s_add_co_i32 s6, s6, 1
	s_bfe_u32 s27, ttmp6, 0x40004
	s_mul_i32 s6, s7, s6
	s_lshl_b64 s[36:37], s[14:15], 3
	s_add_co_i32 s27, s27, s6
	s_cmp_eq_u32 s26, 0
	s_add_nc_u64 s[12:13], s[12:13], s[36:37]
	s_cselect_b32 s6, s7, s27
	s_add_nc_u64 s[14:15], s[0:1], 0x68
	v_mad_u32 v2, s6, s30, v17
	s_load_b64 s[6:7], s[0:1], 0x18
	s_wait_xcnt 0x0
	v_cmp_gt_i64_e64 s0, s[20:21], v[0:1]
	v_cmp_gt_i64_e64 s1, s[20:21], 0
	s_add_nc_u64 s[4:5], s[4:5], s[34:35]
	v_cmp_lt_i64_e64 s34, s[20:21], 2
	v_mul_u64_e32 v[6:7], s[16:17], v[2:3]
	v_cmp_gt_i64_e32 vcc_lo, s[22:23], v[2:3]
	s_lshl_b32 s16, s30, 3
	v_lshlrev_b32_e32 v2, 3, v0
	s_add_co_i32 s16, s16, 0
	s_mov_b32 s17, s29
	v_add_nc_u32_e32 v19, s16, v8
	s_add_nc_u64 s[22:23], s[20:21], -1
	s_and_b32 s33, vcc_lo, s0
	s_delay_alu instid0(VALU_DEP_4) | instskip(SKIP_3) | instid1(VALU_DEP_1)
	v_lshl_add_u64 v[6:7], v[6:7], 3, s[12:13]
	s_wait_kmcnt 0x0
	s_mov_b32 s12, s7
	s_mov_b32 s13, s6
	v_add_nc_u64_e32 v[6:7], v[6:7], v[8:9]
	s_branch .LBB180_4
.LBB180_2:                              ;   in Loop: Header=BB180_4 Depth=1
	global_store_b64 v[8:9], v[10:11], off
.LBB180_3:                              ;   in Loop: Header=BB180_4 Depth=1
	s_wait_xcnt 0x0
	s_or_b32 exec_lo, exec_lo, s35
	s_add_co_i32 s24, s24, 0x10000
	s_delay_alu instid0(SALU_CYCLE_1)
	s_cmp_lt_u32 s24, s2
	s_cbranch_scc0 .LBB180_25
.LBB180_4:                              ; =>This Loop Header: Depth=1
                                        ;     Child Loop BB180_9 Depth 2
                                        ;     Child Loop BB180_18 Depth 2
	s_mul_u64 s[26:27], s[10:11], s[24:25]
	s_and_not1_b32 vcc_lo, exec_lo, s3
	s_lshl_b64 s[26:27], s[26:27], 3
	s_delay_alu instid0(SALU_CYCLE_1)
	s_add_nc_u64 s[26:27], s[4:5], s[26:27]
	s_cbranch_vccz .LBB180_6
; %bb.5:                                ;   in Loop: Header=BB180_4 Depth=1
	s_and_saveexec_b32 s35, s33
	s_cbranch_execz .LBB180_3
	s_branch .LBB180_12
.LBB180_6:                              ;   in Loop: Header=BB180_4 Depth=1
	s_and_not1_b32 vcc_lo, exec_lo, s1
	s_cbranch_vccnz .LBB180_11
; %bb.7:                                ;   in Loop: Header=BB180_4 Depth=1
	v_add_nc_u64_e32 v[8:9], s[26:27], v[2:3]
	s_mov_b32 s26, 0
	s_branch .LBB180_9
.LBB180_8:                              ;   in Loop: Header=BB180_9 Depth=2
	s_wait_xcnt 0x0
	s_or_b32 exec_lo, exec_lo, s27
	s_add_co_i32 s26, s26, s30
	s_delay_alu instid0(SALU_CYCLE_1) | instskip(NEXT) | instid1(SALU_CYCLE_1)
	s_ashr_i32 s27, s26, 31
	v_cmp_le_i64_e64 s27, s[20:21], s[26:27]
	s_and_b32 vcc_lo, exec_lo, s27
	s_cbranch_vccnz .LBB180_11
.LBB180_9:                              ;   Parent Loop BB180_4 Depth=1
                                        ; =>  This Inner Loop Header: Depth=2
	v_add_nc_u32_e32 v10, s26, v17
	s_delay_alu instid0(VALU_DEP_1) | instskip(SKIP_1) | instid1(SALU_CYCLE_1)
	v_cmp_gt_i32_e32 vcc_lo, v0, v10
	s_and_b32 s28, s0, vcc_lo
	s_and_saveexec_b32 s27, s28
	s_cbranch_execz .LBB180_8
; %bb.10:                               ;   in Loop: Header=BB180_9 Depth=2
	v_ashrrev_i32_e32 v11, 31, v10
	s_load_b32 s28, s[14:15], 0xc
	s_delay_alu instid0(VALU_DEP_1) | instskip(SKIP_2) | instid1(SALU_CYCLE_1)
	v_mul_u64_e32 v[12:13], s[8:9], v[10:11]
	s_wait_kmcnt 0x0
	s_and_b32 s28, s28, 0xffff
	v_mul_lo_u32 v10, v10, s28
	s_delay_alu instid0(VALU_DEP_1) | instskip(NEXT) | instid1(VALU_DEP_3)
	v_lshl_add_u32 v10, v10, 3, v19
	v_lshl_add_u64 v[12:13], v[12:13], 3, v[8:9]
	global_load_b64 v[12:13], v[12:13], off
	s_wait_loadcnt 0x0
	ds_store_b64 v10, v[12:13]
	s_branch .LBB180_8
.LBB180_11:                             ;   in Loop: Header=BB180_4 Depth=1
	s_load_b32 s8, s[14:15], 0xc
	s_mov_b32 s9, s25
	s_mov_b64 s[26:27], s[16:17]
	s_wait_kmcnt 0x0
	s_and_b32 s8, s8, 0xffff
	s_and_saveexec_b32 s35, s33
	s_cbranch_execz .LBB180_3
.LBB180_12:                             ;   in Loop: Header=BB180_4 Depth=1
	s_mul_u64 s[28:29], s[18:19], s[24:25]
	v_mov_b64_e32 v[12:13], s[12:13]
	v_lshl_add_u64 v[8:9], s[28:29], 3, v[6:7]
	v_mov_b64_e32 v[14:15], s[6:7]
	s_and_not1_b32 vcc_lo, exec_lo, s34
	s_mov_b32 s28, -1
	global_load_b64 v[10:11], v[8:9], off
	s_wait_loadcnt 0x0
	v_pk_mul_f32 v[12:13], v[12:13], v[10:11] op_sel:[0,1]
	v_pk_mul_f32 v[20:21], v[14:15], v[10:11] op_sel_hi:[1,0]
	s_delay_alu instid0(VALU_DEP_2) | instskip(NEXT) | instid1(VALU_DEP_2)
	v_pk_fma_f32 v[10:11], v[14:15], v[10:11], v[12:13] op_sel_hi:[1,0,1]
	v_sub_f32_e32 v10, v20, v12
	s_cbranch_vccnz .LBB180_14
; %bb.13:                               ;   in Loop: Header=BB180_4 Depth=1
	s_mov_b32 s28, 0
.LBB180_14:                             ;   in Loop: Header=BB180_4 Depth=1
	s_delay_alu instid0(SALU_CYCLE_1)
	s_and_not1_b32 vcc_lo, exec_lo, s28
	s_cbranch_vccnz .LBB180_2
; %bb.15:                               ;   in Loop: Header=BB180_4 Depth=1
	v_add_nc_u64_e32 v[12:13], s[26:27], v[4:5]
	s_lshl_b64 s[26:27], s[8:9], 3
	s_mov_b64 s[28:29], 0
	s_branch .LBB180_18
.LBB180_16:                             ;   in Loop: Header=BB180_18 Depth=2
	ds_load_b64 v[20:21], v18
	s_wait_dscnt 0x0
	v_pk_mul_f32 v[22:23], v[16:17], v[20:21] op_sel:[0,1] op_sel_hi:[0,0]
	s_delay_alu instid0(VALU_DEP_1) | instskip(SKIP_1) | instid1(VALU_DEP_2)
	v_pk_fma_f32 v[24:25], v[20:21], v[14:15], v[22:23] op_sel_hi:[1,0,1]
	v_pk_fma_f32 v[14:15], v[20:21], v[14:15], v[22:23] neg_lo:[0,0,1] neg_hi:[0,0,1]
	v_mov_b32_e32 v15, v25
	s_delay_alu instid0(VALU_DEP_1)
	v_pk_add_f32 v[10:11], v[10:11], v[14:15] neg_lo:[0,1] neg_hi:[0,1]
.LBB180_17:                             ;   in Loop: Header=BB180_18 Depth=2
	s_wait_xcnt 0x0
	s_or_b32 exec_lo, exec_lo, s36
	v_add_nc_u64_e32 v[12:13], s[26:27], v[12:13]
	s_add_nc_u64 s[28:29], s[28:29], 1
	s_delay_alu instid0(SALU_CYCLE_1)
	s_cmp_eq_u64 s[22:23], s[28:29]
	s_cbranch_scc1 .LBB180_2
.LBB180_18:                             ;   Parent Loop BB180_4 Depth=1
                                        ; =>  This Inner Loop Header: Depth=2
	s_mov_b32 s36, exec_lo
	s_wait_dscnt 0x0
	s_barrier_signal -1
	s_barrier_wait -1
	s_wait_xcnt 0x0
	v_cmpx_eq_u64_e64 s[28:29], v[0:1]
; %bb.19:                               ;   in Loop: Header=BB180_18 Depth=2
	ds_store_b64 v18, v[10:11]
; %bb.20:                               ;   in Loop: Header=BB180_18 Depth=2
	s_or_b32 exec_lo, exec_lo, s36
	s_delay_alu instid0(SALU_CYCLE_1)
	s_mov_b32 s36, exec_lo
	s_wait_dscnt 0x0
	s_barrier_signal -1
	s_barrier_wait -1
	v_cmpx_lt_u64_e64 s[28:29], v[0:1]
	s_cbranch_execz .LBB180_17
; %bb.21:                               ;   in Loop: Header=BB180_18 Depth=2
	s_and_b32 vcc_lo, exec_lo, s31
	s_mov_b32 s37, -1
                                        ; implicit-def: $vgpr14
                                        ; implicit-def: $vgpr16
	s_cbranch_vccz .LBB180_23
; %bb.22:                               ;   in Loop: Header=BB180_18 Depth=2
	flat_load_b64 v[14:15], v[12:13] offset:-4
	s_mov_b32 s37, 0
	s_wait_loadcnt_dscnt 0x0
	v_mov_b32_e32 v16, v15
.LBB180_23:                             ;   in Loop: Header=BB180_18 Depth=2
	s_and_not1_b32 vcc_lo, exec_lo, s37
	s_cbranch_vccnz .LBB180_16
; %bb.24:                               ;   in Loop: Header=BB180_18 Depth=2
	flat_load_b64 v[14:15], v[12:13] offset:-4
	s_wait_loadcnt_dscnt 0x0
	v_xor_b32_e32 v16, 0x80000000, v15
	s_branch .LBB180_16
.LBB180_25:
	s_endpgm
	.section	.rodata,"a",@progbits
	.p2align	6, 0x0
	.amdhsa_kernel _ZL39rocblas_trsm_block_forward_substitutionI19rocblas_complex_numIfES1_PKS1_PS1_Lb0ELb0ELb1EEv18rocblas_operation_llT0_T1_lllT2_lllib
		.amdhsa_group_segment_fixed_size 0
		.amdhsa_private_segment_fixed_size 0
		.amdhsa_kernarg_size 360
		.amdhsa_user_sgpr_count 2
		.amdhsa_user_sgpr_dispatch_ptr 0
		.amdhsa_user_sgpr_queue_ptr 0
		.amdhsa_user_sgpr_kernarg_segment_ptr 1
		.amdhsa_user_sgpr_dispatch_id 0
		.amdhsa_user_sgpr_kernarg_preload_length 0
		.amdhsa_user_sgpr_kernarg_preload_offset 0
		.amdhsa_user_sgpr_private_segment_size 0
		.amdhsa_wavefront_size32 1
		.amdhsa_uses_dynamic_stack 0
		.amdhsa_enable_private_segment 0
		.amdhsa_system_sgpr_workgroup_id_x 1
		.amdhsa_system_sgpr_workgroup_id_y 1
		.amdhsa_system_sgpr_workgroup_id_z 1
		.amdhsa_system_sgpr_workgroup_info 0
		.amdhsa_system_vgpr_workitem_id 1
		.amdhsa_next_free_vgpr 26
		.amdhsa_next_free_sgpr 38
		.amdhsa_named_barrier_count 0
		.amdhsa_reserve_vcc 1
		.amdhsa_float_round_mode_32 0
		.amdhsa_float_round_mode_16_64 0
		.amdhsa_float_denorm_mode_32 3
		.amdhsa_float_denorm_mode_16_64 3
		.amdhsa_fp16_overflow 0
		.amdhsa_memory_ordered 1
		.amdhsa_forward_progress 1
		.amdhsa_inst_pref_size 8
		.amdhsa_round_robin_scheduling 0
		.amdhsa_exception_fp_ieee_invalid_op 0
		.amdhsa_exception_fp_denorm_src 0
		.amdhsa_exception_fp_ieee_div_zero 0
		.amdhsa_exception_fp_ieee_overflow 0
		.amdhsa_exception_fp_ieee_underflow 0
		.amdhsa_exception_fp_ieee_inexact 0
		.amdhsa_exception_int_div_zero 0
	.end_amdhsa_kernel
	.section	.text._ZL39rocblas_trsm_block_forward_substitutionI19rocblas_complex_numIfES1_PKS1_PS1_Lb0ELb0ELb1EEv18rocblas_operation_llT0_T1_lllT2_lllib,"axG",@progbits,_ZL39rocblas_trsm_block_forward_substitutionI19rocblas_complex_numIfES1_PKS1_PS1_Lb0ELb0ELb1EEv18rocblas_operation_llT0_T1_lllT2_lllib,comdat
.Lfunc_end180:
	.size	_ZL39rocblas_trsm_block_forward_substitutionI19rocblas_complex_numIfES1_PKS1_PS1_Lb0ELb0ELb1EEv18rocblas_operation_llT0_T1_lllT2_lllib, .Lfunc_end180-_ZL39rocblas_trsm_block_forward_substitutionI19rocblas_complex_numIfES1_PKS1_PS1_Lb0ELb0ELb1EEv18rocblas_operation_llT0_T1_lllT2_lllib
                                        ; -- End function
	.set _ZL39rocblas_trsm_block_forward_substitutionI19rocblas_complex_numIfES1_PKS1_PS1_Lb0ELb0ELb1EEv18rocblas_operation_llT0_T1_lllT2_lllib.num_vgpr, 26
	.set _ZL39rocblas_trsm_block_forward_substitutionI19rocblas_complex_numIfES1_PKS1_PS1_Lb0ELb0ELb1EEv18rocblas_operation_llT0_T1_lllT2_lllib.num_agpr, 0
	.set _ZL39rocblas_trsm_block_forward_substitutionI19rocblas_complex_numIfES1_PKS1_PS1_Lb0ELb0ELb1EEv18rocblas_operation_llT0_T1_lllT2_lllib.numbered_sgpr, 38
	.set _ZL39rocblas_trsm_block_forward_substitutionI19rocblas_complex_numIfES1_PKS1_PS1_Lb0ELb0ELb1EEv18rocblas_operation_llT0_T1_lllT2_lllib.num_named_barrier, 0
	.set _ZL39rocblas_trsm_block_forward_substitutionI19rocblas_complex_numIfES1_PKS1_PS1_Lb0ELb0ELb1EEv18rocblas_operation_llT0_T1_lllT2_lllib.private_seg_size, 0
	.set _ZL39rocblas_trsm_block_forward_substitutionI19rocblas_complex_numIfES1_PKS1_PS1_Lb0ELb0ELb1EEv18rocblas_operation_llT0_T1_lllT2_lllib.uses_vcc, 1
	.set _ZL39rocblas_trsm_block_forward_substitutionI19rocblas_complex_numIfES1_PKS1_PS1_Lb0ELb0ELb1EEv18rocblas_operation_llT0_T1_lllT2_lllib.uses_flat_scratch, 0
	.set _ZL39rocblas_trsm_block_forward_substitutionI19rocblas_complex_numIfES1_PKS1_PS1_Lb0ELb0ELb1EEv18rocblas_operation_llT0_T1_lllT2_lllib.has_dyn_sized_stack, 0
	.set _ZL39rocblas_trsm_block_forward_substitutionI19rocblas_complex_numIfES1_PKS1_PS1_Lb0ELb0ELb1EEv18rocblas_operation_llT0_T1_lllT2_lllib.has_recursion, 0
	.set _ZL39rocblas_trsm_block_forward_substitutionI19rocblas_complex_numIfES1_PKS1_PS1_Lb0ELb0ELb1EEv18rocblas_operation_llT0_T1_lllT2_lllib.has_indirect_call, 0
	.section	.AMDGPU.csdata,"",@progbits
; Kernel info:
; codeLenInByte = 992
; TotalNumSgprs: 40
; NumVgprs: 26
; ScratchSize: 0
; MemoryBound: 0
; FloatMode: 240
; IeeeMode: 1
; LDSByteSize: 0 bytes/workgroup (compile time only)
; SGPRBlocks: 0
; VGPRBlocks: 1
; NumSGPRsForWavesPerEU: 40
; NumVGPRsForWavesPerEU: 26
; NamedBarCnt: 0
; Occupancy: 16
; WaveLimiterHint : 0
; COMPUTE_PGM_RSRC2:SCRATCH_EN: 0
; COMPUTE_PGM_RSRC2:USER_SGPR: 2
; COMPUTE_PGM_RSRC2:TRAP_HANDLER: 0
; COMPUTE_PGM_RSRC2:TGID_X_EN: 1
; COMPUTE_PGM_RSRC2:TGID_Y_EN: 1
; COMPUTE_PGM_RSRC2:TGID_Z_EN: 1
; COMPUTE_PGM_RSRC2:TIDIG_COMP_CNT: 1
	.section	.text._ZL40rocblas_trsm_block_backward_substitutionI19rocblas_complex_numIfES1_PKS1_PS1_Lb0ELb0ELb1EEv18rocblas_operation_llT0_T1_lllT2_lllib,"axG",@progbits,_ZL40rocblas_trsm_block_backward_substitutionI19rocblas_complex_numIfES1_PKS1_PS1_Lb0ELb0ELb1EEv18rocblas_operation_llT0_T1_lllT2_lllib,comdat
	.globl	_ZL40rocblas_trsm_block_backward_substitutionI19rocblas_complex_numIfES1_PKS1_PS1_Lb0ELb0ELb1EEv18rocblas_operation_llT0_T1_lllT2_lllib ; -- Begin function _ZL40rocblas_trsm_block_backward_substitutionI19rocblas_complex_numIfES1_PKS1_PS1_Lb0ELb0ELb1EEv18rocblas_operation_llT0_T1_lllT2_lllib
	.p2align	8
	.type	_ZL40rocblas_trsm_block_backward_substitutionI19rocblas_complex_numIfES1_PKS1_PS1_Lb0ELb0ELb1EEv18rocblas_operation_llT0_T1_lllT2_lllib,@function
_ZL40rocblas_trsm_block_backward_substitutionI19rocblas_complex_numIfES1_PKS1_PS1_Lb0ELb0ELb1EEv18rocblas_operation_llT0_T1_lllT2_lllib: ; @_ZL40rocblas_trsm_block_backward_substitutionI19rocblas_complex_numIfES1_PKS1_PS1_Lb0ELb0ELb1EEv18rocblas_operation_llT0_T1_lllT2_lllib
; %bb.0:
	s_load_b64 s[2:3], s[0:1], 0x60
	s_bfe_u32 s4, ttmp6, 0x40014
	s_lshr_b32 s5, ttmp7, 16
	s_add_co_i32 s4, s4, 1
	s_bfe_u32 s6, ttmp6, 0x40008
	s_mul_i32 s4, s5, s4
	s_getreg_b32 s28, hwreg(HW_REG_IB_STS2, 6, 4)
	s_add_co_i32 s6, s6, s4
	s_cmp_eq_u32 s28, 0
	s_mov_b32 s25, 0
	s_cselect_b32 s24, s5, s6
	s_wait_kmcnt 0x0
	s_cmp_ge_u32 s24, s2
	s_cbranch_scc1 .LBB181_25
; %bb.1:
	s_clause 0x4
	s_load_b512 s[4:19], s[0:1], 0x20
	s_load_b32 s29, s[0:1], 0x0
	s_load_b128 s[20:23], s[0:1], 0x8
	s_load_b64 s[26:27], s[0:1], 0x18
	s_load_u16 s33, s[0:1], 0x76
	v_and_b32_e32 v2, 0x3ff, v0
	v_mov_b32_e32 v7, 0
	s_bitcmp1_b32 s3, 0
	v_bfe_u32 v5, v0, 10, 10
	s_cselect_b32 s3, -1, 0
	s_delay_alu instid0(VALU_DEP_2) | instskip(SKIP_1) | instid1(VALU_DEP_2)
	v_dual_mov_b32 v3, v7 :: v_dual_lshlrev_b32 v4, 3, v2
	s_mov_b64 s[30:31], src_shared_base
	v_lshl_add_u32 v17, v5, 3, 0
	s_wait_kmcnt 0x0
	v_cmp_gt_i64_e64 s37, s[20:21], 0
	s_cmp_lg_u32 s29, 0x71
	v_mul_u64_e32 v[8:9], s[16:17], v[2:3]
	s_cselect_b32 s36, -1, 0
	s_lshl_b64 s[34:35], s[6:7], 3
	s_bfe_u32 s6, ttmp6, 0x40010
	s_and_b32 s7, ttmp7, 0xffff
	s_add_co_i32 s6, s6, 1
	s_bfe_u32 s16, ttmp6, 0x40004
	s_mul_i32 s6, s7, s6
	s_lshl_b64 s[38:39], s[14:15], 3
	s_add_co_i32 s16, s16, s6
	s_cmp_eq_u32 s28, 0
	s_add_nc_u64 s[12:13], s[12:13], s[38:39]
	s_cselect_b32 s6, s7, s16
	v_cmp_lt_i64_e64 s39, s[20:21], 2
	v_mad_u32 v6, s6, s33, v5
	s_add_nc_u64 s[6:7], s[0:1], 0x68
	s_lshl_b32 s1, s33, 3
	s_mov_b32 s15, s31
	s_add_co_i32 s14, s1, 0
	s_mov_b32 s16, s27
	v_add_nc_u32_e32 v18, s14, v4
	v_mul_u64_e32 v[0:1], s[8:9], v[2:3]
	v_cmp_gt_i64_e64 s0, s[20:21], v[2:3]
	s_add_nc_u64 s[4:5], s[4:5], s[34:35]
	s_mov_b32 s17, s26
	v_cmp_gt_i64_e32 vcc_lo, s[22:23], v[6:7]
	v_lshl_add_u64 v[8:9], v[8:9], 3, s[12:13]
	s_add_nc_u64 s[12:13], s[20:21], -1
	s_and_b32 s38, vcc_lo, s0
	s_lshl_b64 s[22:23], s[12:13], 3
	s_delay_alu instid0(VALU_DEP_1)
	v_lshl_add_u64 v[6:7], v[6:7], 3, v[8:9]
	s_branch .LBB181_4
.LBB181_2:                              ;   in Loop: Header=BB181_4 Depth=1
	global_store_b64 v[8:9], v[10:11], off
.LBB181_3:                              ;   in Loop: Header=BB181_4 Depth=1
	s_wait_xcnt 0x0
	s_or_b32 exec_lo, exec_lo, s1
	s_add_co_i32 s24, s24, 0x10000
	s_delay_alu instid0(SALU_CYCLE_1)
	s_cmp_lt_u32 s24, s2
	s_cbranch_scc0 .LBB181_25
.LBB181_4:                              ; =>This Loop Header: Depth=1
                                        ;     Child Loop BB181_8 Depth 2
                                        ;     Child Loop BB181_18 Depth 2
	s_mul_u64 s[28:29], s[10:11], s[24:25]
	s_and_not1_b32 vcc_lo, exec_lo, s3
	s_lshl_b64 s[28:29], s[28:29], 3
	s_delay_alu instid0(SALU_CYCLE_1)
	s_add_nc_u64 s[30:31], s[4:5], s[28:29]
	s_cbranch_vccnz .LBB181_10
; %bb.5:                                ;   in Loop: Header=BB181_4 Depth=1
	s_and_not1_b32 vcc_lo, exec_lo, s37
	s_cbranch_vccnz .LBB181_11
; %bb.6:                                ;   in Loop: Header=BB181_4 Depth=1
	v_lshl_add_u64 v[8:9], v[0:1], 3, s[30:31]
	s_mov_b32 s28, 0
	s_branch .LBB181_8
.LBB181_7:                              ;   in Loop: Header=BB181_8 Depth=2
	s_wait_xcnt 0x0
	s_or_b32 exec_lo, exec_lo, s1
	s_add_co_i32 s28, s28, s33
	s_delay_alu instid0(SALU_CYCLE_1) | instskip(NEXT) | instid1(SALU_CYCLE_1)
	s_ashr_i32 s29, s28, 31
	v_cmp_le_i64_e64 s1, s[20:21], s[28:29]
	s_and_b32 vcc_lo, exec_lo, s1
	s_cbranch_vccnz .LBB181_11
.LBB181_8:                              ;   Parent Loop BB181_4 Depth=1
                                        ; =>  This Inner Loop Header: Depth=2
	v_add_nc_u32_e32 v10, s28, v5
	s_delay_alu instid0(VALU_DEP_1) | instskip(SKIP_1) | instid1(VALU_DEP_2)
	v_ashrrev_i32_e32 v11, 31, v10
	v_cmp_lt_i32_e64 s1, v2, v10
	v_cmp_gt_i64_e32 vcc_lo, s[20:21], v[10:11]
	s_and_b32 s1, s1, vcc_lo
	s_delay_alu instid0(SALU_CYCLE_1) | instskip(NEXT) | instid1(SALU_CYCLE_1)
	s_and_b32 s29, s0, s1
	s_and_saveexec_b32 s1, s29
	s_cbranch_execz .LBB181_7
; %bb.9:                                ;   in Loop: Header=BB181_8 Depth=2
	v_lshl_add_u64 v[12:13], v[10:11], 3, v[8:9]
	s_load_b32 s29, s[6:7], 0xc
	global_load_b64 v[12:13], v[12:13], off
	s_wait_kmcnt 0x0
	s_and_b32 s29, s29, 0xffff
	s_delay_alu instid0(SALU_CYCLE_1) | instskip(NEXT) | instid1(VALU_DEP_1)
	v_mul_lo_u32 v10, v10, s29
	v_lshl_add_u32 v10, v10, 3, v18
	s_wait_loadcnt 0x0
	ds_store_b64 v10, v[12:13]
	s_branch .LBB181_7
.LBB181_10:                             ;   in Loop: Header=BB181_4 Depth=1
	s_mov_b64 s[28:29], 1
	s_mov_b64 s[34:35], s[8:9]
	s_and_saveexec_b32 s1, s38
	s_cbranch_execz .LBB181_3
	s_branch .LBB181_12
.LBB181_11:                             ;   in Loop: Header=BB181_4 Depth=1
	s_load_b32 s1, s[6:7], 0xc
	s_mov_b32 s29, s25
	s_mov_b64 s[34:35], 1
	s_mov_b64 s[30:31], s[14:15]
	s_wait_kmcnt 0x0
	s_and_b32 s28, s1, 0xffff
	s_and_saveexec_b32 s1, s38
	s_cbranch_execz .LBB181_3
.LBB181_12:                             ;   in Loop: Header=BB181_4 Depth=1
	s_mul_u64 s[40:41], s[18:19], s[24:25]
	v_mov_b64_e32 v[12:13], s[16:17]
	v_lshl_add_u64 v[8:9], s[40:41], 3, v[6:7]
	v_mov_b64_e32 v[14:15], s[26:27]
	s_and_not1_b32 vcc_lo, exec_lo, s39
	s_mov_b32 s40, -1
	global_load_b64 v[10:11], v[8:9], off
	s_wait_loadcnt 0x0
	v_pk_mul_f32 v[12:13], v[12:13], v[10:11] op_sel:[0,1]
	v_pk_mul_f32 v[20:21], v[14:15], v[10:11] op_sel_hi:[1,0]
	s_delay_alu instid0(VALU_DEP_2) | instskip(NEXT) | instid1(VALU_DEP_2)
	v_pk_fma_f32 v[10:11], v[14:15], v[10:11], v[12:13] op_sel_hi:[1,0,1]
	v_sub_f32_e32 v10, v20, v12
	s_cbranch_vccnz .LBB181_14
; %bb.13:                               ;   in Loop: Header=BB181_4 Depth=1
	s_mov_b32 s40, 0
.LBB181_14:                             ;   in Loop: Header=BB181_4 Depth=1
	s_delay_alu instid0(SALU_CYCLE_1)
	s_and_not1_b32 vcc_lo, exec_lo, s40
	s_cbranch_vccnz .LBB181_2
; %bb.15:                               ;   in Loop: Header=BB181_4 Depth=1
	s_mul_u64 s[40:41], s[22:23], s[28:29]
	s_lshl_b32 s28, s28, 3
	s_add_nc_u64 s[30:31], s[30:31], s[40:41]
	s_mov_b32 s29, s25
	v_mad_nc_u64_u32 v[12:13], v4, s34, s[30:31]
	s_sub_nc_u64 s[28:29], 0, s[28:29]
	s_mov_b64 s[30:31], s[12:13]
	s_delay_alu instid0(VALU_DEP_1) | instskip(NEXT) | instid1(VALU_DEP_1)
	v_mad_u32 v13, v4, s35, v13
	v_add_nc_u64_e32 v[12:13], 4, v[12:13]
	s_branch .LBB181_18
.LBB181_16:                             ;   in Loop: Header=BB181_18 Depth=2
	ds_load_b64 v[20:21], v17
	s_wait_dscnt 0x0
	v_pk_mul_f32 v[22:23], v[16:17], v[20:21] op_sel:[0,1] op_sel_hi:[0,0]
	s_delay_alu instid0(VALU_DEP_1) | instskip(SKIP_1) | instid1(VALU_DEP_2)
	v_pk_fma_f32 v[24:25], v[20:21], v[14:15], v[22:23] op_sel_hi:[1,0,1]
	v_pk_fma_f32 v[14:15], v[20:21], v[14:15], v[22:23] neg_lo:[0,0,1] neg_hi:[0,0,1]
	v_mov_b32_e32 v15, v25
	s_delay_alu instid0(VALU_DEP_1)
	v_pk_add_f32 v[10:11], v[10:11], v[14:15] neg_lo:[0,1] neg_hi:[0,1]
.LBB181_17:                             ;   in Loop: Header=BB181_18 Depth=2
	s_wait_xcnt 0x0
	s_or_b32 exec_lo, exec_lo, s34
	s_add_nc_u64 s[34:35], s[30:31], 1
	v_add_nc_u64_e32 v[12:13], s[28:29], v[12:13]
	v_cmp_lt_u64_e64 s34, s[34:35], 3
	s_add_nc_u64 s[30:31], s[30:31], -1
	s_and_b32 vcc_lo, exec_lo, s34
	s_cbranch_vccnz .LBB181_2
.LBB181_18:                             ;   Parent Loop BB181_4 Depth=1
                                        ; =>  This Inner Loop Header: Depth=2
	s_mov_b32 s34, exec_lo
	s_wait_dscnt 0x0
	s_barrier_signal -1
	s_barrier_wait -1
	s_wait_xcnt 0x0
	v_cmpx_eq_u64_e64 s[30:31], v[2:3]
; %bb.19:                               ;   in Loop: Header=BB181_18 Depth=2
	ds_store_b64 v17, v[10:11]
; %bb.20:                               ;   in Loop: Header=BB181_18 Depth=2
	s_or_b32 exec_lo, exec_lo, s34
	s_delay_alu instid0(SALU_CYCLE_1)
	s_mov_b32 s34, exec_lo
	s_wait_dscnt 0x0
	s_barrier_signal -1
	s_barrier_wait -1
	v_cmpx_gt_i64_e64 s[30:31], v[2:3]
	s_cbranch_execz .LBB181_17
; %bb.21:                               ;   in Loop: Header=BB181_18 Depth=2
	s_and_b32 vcc_lo, exec_lo, s36
	s_mov_b32 s35, -1
                                        ; implicit-def: $vgpr14
                                        ; implicit-def: $vgpr16
	s_cbranch_vccz .LBB181_23
; %bb.22:                               ;   in Loop: Header=BB181_18 Depth=2
	flat_load_b64 v[14:15], v[12:13] offset:-4
	s_mov_b32 s35, 0
	s_wait_loadcnt_dscnt 0x0
	v_mov_b32_e32 v16, v15
.LBB181_23:                             ;   in Loop: Header=BB181_18 Depth=2
	s_and_not1_b32 vcc_lo, exec_lo, s35
	s_cbranch_vccnz .LBB181_16
; %bb.24:                               ;   in Loop: Header=BB181_18 Depth=2
	flat_load_b64 v[14:15], v[12:13] offset:-4
	s_wait_loadcnt_dscnt 0x0
	v_xor_b32_e32 v16, 0x80000000, v15
	s_branch .LBB181_16
.LBB181_25:
	s_endpgm
	.section	.rodata,"a",@progbits
	.p2align	6, 0x0
	.amdhsa_kernel _ZL40rocblas_trsm_block_backward_substitutionI19rocblas_complex_numIfES1_PKS1_PS1_Lb0ELb0ELb1EEv18rocblas_operation_llT0_T1_lllT2_lllib
		.amdhsa_group_segment_fixed_size 0
		.amdhsa_private_segment_fixed_size 0
		.amdhsa_kernarg_size 360
		.amdhsa_user_sgpr_count 2
		.amdhsa_user_sgpr_dispatch_ptr 0
		.amdhsa_user_sgpr_queue_ptr 0
		.amdhsa_user_sgpr_kernarg_segment_ptr 1
		.amdhsa_user_sgpr_dispatch_id 0
		.amdhsa_user_sgpr_kernarg_preload_length 0
		.amdhsa_user_sgpr_kernarg_preload_offset 0
		.amdhsa_user_sgpr_private_segment_size 0
		.amdhsa_wavefront_size32 1
		.amdhsa_uses_dynamic_stack 0
		.amdhsa_enable_private_segment 0
		.amdhsa_system_sgpr_workgroup_id_x 1
		.amdhsa_system_sgpr_workgroup_id_y 1
		.amdhsa_system_sgpr_workgroup_id_z 1
		.amdhsa_system_sgpr_workgroup_info 0
		.amdhsa_system_vgpr_workitem_id 1
		.amdhsa_next_free_vgpr 26
		.amdhsa_next_free_sgpr 42
		.amdhsa_named_barrier_count 0
		.amdhsa_reserve_vcc 1
		.amdhsa_float_round_mode_32 0
		.amdhsa_float_round_mode_16_64 0
		.amdhsa_float_denorm_mode_32 3
		.amdhsa_float_denorm_mode_16_64 3
		.amdhsa_fp16_overflow 0
		.amdhsa_memory_ordered 1
		.amdhsa_forward_progress 1
		.amdhsa_inst_pref_size 9
		.amdhsa_round_robin_scheduling 0
		.amdhsa_exception_fp_ieee_invalid_op 0
		.amdhsa_exception_fp_denorm_src 0
		.amdhsa_exception_fp_ieee_div_zero 0
		.amdhsa_exception_fp_ieee_overflow 0
		.amdhsa_exception_fp_ieee_underflow 0
		.amdhsa_exception_fp_ieee_inexact 0
		.amdhsa_exception_int_div_zero 0
	.end_amdhsa_kernel
	.section	.text._ZL40rocblas_trsm_block_backward_substitutionI19rocblas_complex_numIfES1_PKS1_PS1_Lb0ELb0ELb1EEv18rocblas_operation_llT0_T1_lllT2_lllib,"axG",@progbits,_ZL40rocblas_trsm_block_backward_substitutionI19rocblas_complex_numIfES1_PKS1_PS1_Lb0ELb0ELb1EEv18rocblas_operation_llT0_T1_lllT2_lllib,comdat
.Lfunc_end181:
	.size	_ZL40rocblas_trsm_block_backward_substitutionI19rocblas_complex_numIfES1_PKS1_PS1_Lb0ELb0ELb1EEv18rocblas_operation_llT0_T1_lllT2_lllib, .Lfunc_end181-_ZL40rocblas_trsm_block_backward_substitutionI19rocblas_complex_numIfES1_PKS1_PS1_Lb0ELb0ELb1EEv18rocblas_operation_llT0_T1_lllT2_lllib
                                        ; -- End function
	.set _ZL40rocblas_trsm_block_backward_substitutionI19rocblas_complex_numIfES1_PKS1_PS1_Lb0ELb0ELb1EEv18rocblas_operation_llT0_T1_lllT2_lllib.num_vgpr, 26
	.set _ZL40rocblas_trsm_block_backward_substitutionI19rocblas_complex_numIfES1_PKS1_PS1_Lb0ELb0ELb1EEv18rocblas_operation_llT0_T1_lllT2_lllib.num_agpr, 0
	.set _ZL40rocblas_trsm_block_backward_substitutionI19rocblas_complex_numIfES1_PKS1_PS1_Lb0ELb0ELb1EEv18rocblas_operation_llT0_T1_lllT2_lllib.numbered_sgpr, 42
	.set _ZL40rocblas_trsm_block_backward_substitutionI19rocblas_complex_numIfES1_PKS1_PS1_Lb0ELb0ELb1EEv18rocblas_operation_llT0_T1_lllT2_lllib.num_named_barrier, 0
	.set _ZL40rocblas_trsm_block_backward_substitutionI19rocblas_complex_numIfES1_PKS1_PS1_Lb0ELb0ELb1EEv18rocblas_operation_llT0_T1_lllT2_lllib.private_seg_size, 0
	.set _ZL40rocblas_trsm_block_backward_substitutionI19rocblas_complex_numIfES1_PKS1_PS1_Lb0ELb0ELb1EEv18rocblas_operation_llT0_T1_lllT2_lllib.uses_vcc, 1
	.set _ZL40rocblas_trsm_block_backward_substitutionI19rocblas_complex_numIfES1_PKS1_PS1_Lb0ELb0ELb1EEv18rocblas_operation_llT0_T1_lllT2_lllib.uses_flat_scratch, 0
	.set _ZL40rocblas_trsm_block_backward_substitutionI19rocblas_complex_numIfES1_PKS1_PS1_Lb0ELb0ELb1EEv18rocblas_operation_llT0_T1_lllT2_lllib.has_dyn_sized_stack, 0
	.set _ZL40rocblas_trsm_block_backward_substitutionI19rocblas_complex_numIfES1_PKS1_PS1_Lb0ELb0ELb1EEv18rocblas_operation_llT0_T1_lllT2_lllib.has_recursion, 0
	.set _ZL40rocblas_trsm_block_backward_substitutionI19rocblas_complex_numIfES1_PKS1_PS1_Lb0ELb0ELb1EEv18rocblas_operation_llT0_T1_lllT2_lllib.has_indirect_call, 0
	.section	.AMDGPU.csdata,"",@progbits
; Kernel info:
; codeLenInByte = 1044
; TotalNumSgprs: 44
; NumVgprs: 26
; ScratchSize: 0
; MemoryBound: 0
; FloatMode: 240
; IeeeMode: 1
; LDSByteSize: 0 bytes/workgroup (compile time only)
; SGPRBlocks: 0
; VGPRBlocks: 1
; NumSGPRsForWavesPerEU: 44
; NumVGPRsForWavesPerEU: 26
; NamedBarCnt: 0
; Occupancy: 16
; WaveLimiterHint : 0
; COMPUTE_PGM_RSRC2:SCRATCH_EN: 0
; COMPUTE_PGM_RSRC2:USER_SGPR: 2
; COMPUTE_PGM_RSRC2:TRAP_HANDLER: 0
; COMPUTE_PGM_RSRC2:TGID_X_EN: 1
; COMPUTE_PGM_RSRC2:TGID_Y_EN: 1
; COMPUTE_PGM_RSRC2:TGID_Z_EN: 1
; COMPUTE_PGM_RSRC2:TIDIG_COMP_CNT: 1
	.section	.text._ZL39rocblas_trsm_block_forward_substitutionI19rocblas_complex_numIfES1_PKS1_PS1_Lb0ELb1ELb0EEv18rocblas_operation_llT0_T1_lllT2_lllib,"axG",@progbits,_ZL39rocblas_trsm_block_forward_substitutionI19rocblas_complex_numIfES1_PKS1_PS1_Lb0ELb1ELb0EEv18rocblas_operation_llT0_T1_lllT2_lllib,comdat
	.globl	_ZL39rocblas_trsm_block_forward_substitutionI19rocblas_complex_numIfES1_PKS1_PS1_Lb0ELb1ELb0EEv18rocblas_operation_llT0_T1_lllT2_lllib ; -- Begin function _ZL39rocblas_trsm_block_forward_substitutionI19rocblas_complex_numIfES1_PKS1_PS1_Lb0ELb1ELb0EEv18rocblas_operation_llT0_T1_lllT2_lllib
	.p2align	8
	.type	_ZL39rocblas_trsm_block_forward_substitutionI19rocblas_complex_numIfES1_PKS1_PS1_Lb0ELb1ELb0EEv18rocblas_operation_llT0_T1_lllT2_lllib,@function
_ZL39rocblas_trsm_block_forward_substitutionI19rocblas_complex_numIfES1_PKS1_PS1_Lb0ELb1ELb0EEv18rocblas_operation_llT0_T1_lllT2_lllib: ; @_ZL39rocblas_trsm_block_forward_substitutionI19rocblas_complex_numIfES1_PKS1_PS1_Lb0ELb1ELb0EEv18rocblas_operation_llT0_T1_lllT2_lllib
; %bb.0:
	s_load_b64 s[24:25], s[0:1], 0x60
	s_bfe_u32 s2, ttmp6, 0x40014
	s_lshr_b32 s3, ttmp7, 16
	s_add_co_i32 s2, s2, 1
	s_bfe_u32 s4, ttmp6, 0x40008
	s_mul_i32 s2, s3, s2
	s_getreg_b32 s30, hwreg(HW_REG_IB_STS2, 6, 4)
	s_add_co_i32 s4, s4, s2
	s_cmp_eq_u32 s30, 0
	s_mov_b32 s27, 0
	s_cselect_b32 s26, s3, s4
	s_wait_kmcnt 0x0
	s_cmp_ge_u32 s26, s24
	s_cbranch_scc1 .LBB182_51
; %bb.1:
	s_mov_b64 s[2:3], src_shared_base
	s_clause 0x1
	s_load_b512 s[4:19], s[0:1], 0x20
	s_load_b32 s2, s[0:1], 0x0
	v_and_b32_e32 v2, 0x3ff, v0
	v_mov_b32_e32 v1, 0
	s_clause 0x1
	s_load_b128 s[20:23], s[0:1], 0x8
	s_load_b64 s[28:29], s[0:1], 0x18
	s_bitcmp1_b32 s25, 0
	s_load_u16 s25, s[0:1], 0x76
	v_dual_mov_b32 v3, v1 :: v_dual_lshlrev_b32 v8, 3, v2
	v_mov_b32_e32 v5, v1
	v_bfe_u32 v21, v0, 10, 10
	s_delay_alu instid0(VALU_DEP_1) | instskip(SKIP_3) | instid1(SALU_CYCLE_1)
	v_lshl_add_u32 v22, v21, 3, 0
	s_wait_kmcnt 0x0
	v_mul_u64_e32 v[6:7], s[16:17], v[2:3]
	s_cselect_b32 s16, -1, 0
	s_xor_b32 s33, s16, -1
	s_cmp_lg_u32 s2, 0x71
	v_cndmask_b32_e64 v20, 0, 1, s16
	s_cselect_b32 s34, -1, 0
	s_bfe_u32 s2, ttmp6, 0x40010
	s_and_b32 s16, ttmp7, 0xffff
	s_add_co_i32 s2, s2, 1
	s_lshl_b64 s[36:37], s[6:7], 3
	s_bfe_u32 s6, ttmp6, 0x40004
	s_mul_i32 s2, s16, s2
	s_lshl_b64 s[38:39], s[14:15], 3
	s_add_co_i32 s2, s6, s2
	s_cmp_eq_u32 s30, 0
	s_add_nc_u64 s[6:7], s[0:1], 0x68
	s_cselect_b32 s0, s16, s2
	s_add_nc_u64 s[12:13], s[12:13], s[38:39]
	v_mad_u32 v0, s0, s25, v21
	s_mov_b32 s15, s3
	v_cmp_le_i64_e32 vcc_lo, s[20:21], v[2:3]
	v_cmp_gt_i64_e64 s1, s[20:21], v[2:3]
	s_add_nc_u64 s[16:17], s[20:21], -1
	s_lshl_b32 s3, s25, 3
	v_cmp_gt_i64_e64 s35, s[20:21], 0
	v_cmp_eq_u64_e64 s0, s[16:17], v[2:3]
	s_add_co_i32 s14, s3, 0
	s_add_nc_u64 s[4:5], s[4:5], s[36:37]
	v_cmp_lt_i64_e64 s36, s[20:21], 2
	v_cmp_gt_i64_e64 s2, s[22:23], v[0:1]
	v_dual_add_nc_u32 v23, s14, v8 :: v_dual_bitop2_b32 v4, 4, v8 bitop3:0x54
	v_lshl_add_u64 v[6:7], v[6:7], 3, s[12:13]
	s_mov_b32 s3, s28
	s_xor_b32 s37, vcc_lo, -1
	s_and_b32 s1, s2, s1
	s_delay_alu instid0(VALU_DEP_1)
	v_lshl_add_u64 v[6:7], v[0:1], 3, v[6:7]
	v_lshlrev_b32_e32 v0, 3, v2
	s_mov_b32 s2, s29
	s_branch .LBB182_5
.LBB182_2:                              ;   in Loop: Header=BB182_5 Depth=1
	s_wait_loadcnt_dscnt 0x0
	s_wait_xcnt 0x0
	s_delay_alu instid0(VALU_DEP_1) | instskip(NEXT) | instid1(VALU_DEP_1)
	v_pk_mul_f32 v[12:13], v[10:11], v[14:15] op_sel:[1,1] op_sel_hi:[1,0]
	v_pk_fma_f32 v[16:17], v[10:11], v[14:15], v[12:13] op_sel_hi:[0,1,1]
	v_pk_fma_f32 v[10:11], v[10:11], v[14:15], v[12:13] neg_lo:[0,0,1] neg_hi:[0,0,1]
	s_delay_alu instid0(VALU_DEP_2)
	v_mov_b32_e32 v11, v17
.LBB182_3:                              ;   in Loop: Header=BB182_5 Depth=1
	s_or_b32 exec_lo, exec_lo, s22
	global_store_b64 v[8:9], v[10:11], off
.LBB182_4:                              ;   in Loop: Header=BB182_5 Depth=1
	s_wait_xcnt 0x0
	s_or_b32 exec_lo, exec_lo, s38
	s_add_co_i32 s26, s26, 0x10000
	s_delay_alu instid0(SALU_CYCLE_1)
	s_cmp_lt_u32 s26, s24
	s_cbranch_scc0 .LBB182_51
.LBB182_5:                              ; =>This Loop Header: Depth=1
                                        ;     Child Loop BB182_12 Depth 2
                                        ;     Child Loop BB182_27 Depth 2
	v_cmp_ne_u32_e32 vcc_lo, 1, v20
	s_mul_u64 s[12:13], s[10:11], s[26:27]
	s_delay_alu instid0(SALU_CYCLE_1) | instskip(NEXT) | instid1(SALU_CYCLE_1)
	s_lshl_b64 s[12:13], s[12:13], 3
	s_add_nc_u64 s[12:13], s[4:5], s[12:13]
	s_cbranch_vccz .LBB182_7
; %bb.6:                                ;   in Loop: Header=BB182_5 Depth=1
	s_and_saveexec_b32 s38, s1
	s_cbranch_execz .LBB182_4
	s_branch .LBB182_21
.LBB182_7:                              ;   in Loop: Header=BB182_5 Depth=1
	s_and_not1_b32 vcc_lo, exec_lo, s35
	s_cbranch_vccnz .LBB182_20
; %bb.8:                                ;   in Loop: Header=BB182_5 Depth=1
	v_mul_u64_e32 v[10:11], s[8:9], v[2:3]
	v_add_nc_u64_e32 v[8:9], s[12:13], v[0:1]
	v_mov_b32_e32 v12, v21
	s_mov_b32 s12, s25
	s_delay_alu instid0(VALU_DEP_2)
	v_lshl_add_u64 v[10:11], v[10:11], 3, v[8:9]
	s_branch .LBB182_12
.LBB182_9:                              ;   in Loop: Header=BB182_12 Depth=2
	s_or_b32 exec_lo, exec_lo, s23
	s_load_b32 s23, s[6:7], 0xc
	s_wait_kmcnt 0x0
	s_and_b32 s23, s23, 0xffff
	s_delay_alu instid0(SALU_CYCLE_1) | instskip(NEXT) | instid1(VALU_DEP_1)
	v_mul_u32_u24_e32 v13, s23, v2
	v_lshl_add_u32 v13, v13, 3, v23
	ds_store_b64 v13, v[16:17]
.LBB182_10:                             ;   in Loop: Header=BB182_12 Depth=2
	s_or_b32 exec_lo, exec_lo, s22
.LBB182_11:                             ;   in Loop: Header=BB182_12 Depth=2
	s_delay_alu instid0(SALU_CYCLE_1)
	s_or_b32 exec_lo, exec_lo, s13
	s_ashr_i32 s13, s12, 31
	v_add_nc_u32_e32 v12, s25, v12
	v_cmp_le_i64_e64 s13, s[20:21], s[12:13]
	s_add_co_i32 s12, s12, s25
	s_and_b32 vcc_lo, exec_lo, s13
	s_cbranch_vccnz .LBB182_20
.LBB182_12:                             ;   Parent Loop BB182_5 Depth=1
                                        ; =>  This Inner Loop Header: Depth=2
	s_delay_alu instid0(VALU_DEP_2) | instskip(SKIP_1) | instid1(SALU_CYCLE_1)
	v_cmp_gt_i32_e32 vcc_lo, v2, v12
	s_and_b32 s13, s37, vcc_lo
	s_and_saveexec_b32 s22, s13
	s_delay_alu instid0(SALU_CYCLE_1)
	s_xor_b32 s13, exec_lo, s22
	s_cbranch_execz .LBB182_14
; %bb.13:                               ;   in Loop: Header=BB182_12 Depth=2
	v_ashrrev_i32_e32 v13, 31, v12
	s_load_b32 s22, s[6:7], 0xc
	s_delay_alu instid0(VALU_DEP_1) | instskip(SKIP_2) | instid1(SALU_CYCLE_1)
	v_mul_u64_e32 v[14:15], s[8:9], v[12:13]
	s_wait_kmcnt 0x0
	s_and_b32 s22, s22, 0xffff
	v_mul_lo_u32 v13, v12, s22
	s_delay_alu instid0(VALU_DEP_1) | instskip(NEXT) | instid1(VALU_DEP_3)
	v_lshl_add_u32 v13, v13, 3, v23
	v_lshl_add_u64 v[14:15], v[14:15], 3, v[8:9]
	global_load_b64 v[14:15], v[14:15], off
	s_wait_loadcnt 0x0
	ds_store_b64 v13, v[14:15]
.LBB182_14:                             ;   in Loop: Header=BB182_12 Depth=2
	s_wait_xcnt 0x0
	s_and_not1_saveexec_b32 s13, s13
	s_cbranch_execz .LBB182_11
; %bb.15:                               ;   in Loop: Header=BB182_12 Depth=2
	v_cmp_eq_u32_e32 vcc_lo, v2, v12
	s_and_b32 s23, s37, vcc_lo
	s_delay_alu instid0(SALU_CYCLE_1)
	s_and_saveexec_b32 s22, s23
	s_cbranch_execz .LBB182_10
; %bb.16:                               ;   in Loop: Header=BB182_12 Depth=2
	global_load_b64 v[14:15], v[10:11], off
                                        ; implicit-def: $vgpr16_vgpr17
	s_wait_loadcnt 0x0
	v_cmp_ngt_f32_e64 s23, |v14|, |v15|
	s_wait_xcnt 0x0
	s_and_saveexec_b32 s30, s23
	s_delay_alu instid0(SALU_CYCLE_1)
	s_xor_b32 s23, exec_lo, s30
	s_cbranch_execz .LBB182_18
; %bb.17:                               ;   in Loop: Header=BB182_12 Depth=2
	v_div_scale_f32 v13, null, v15, v15, v14
	v_div_scale_f32 v18, vcc_lo, v14, v15, v14
	s_delay_alu instid0(VALU_DEP_2) | instskip(SKIP_1) | instid1(TRANS32_DEP_1)
	v_rcp_f32_e32 v16, v13
	v_nop
	v_fma_f32 v17, -v13, v16, 1.0
	s_delay_alu instid0(VALU_DEP_1) | instskip(NEXT) | instid1(VALU_DEP_1)
	v_fmac_f32_e32 v16, v17, v16
	v_mul_f32_e32 v17, v18, v16
	s_delay_alu instid0(VALU_DEP_1) | instskip(NEXT) | instid1(VALU_DEP_1)
	v_fma_f32 v19, -v13, v17, v18
	v_fmac_f32_e32 v17, v19, v16
	s_delay_alu instid0(VALU_DEP_1) | instskip(NEXT) | instid1(VALU_DEP_1)
	v_fma_f32 v13, -v13, v17, v18
	v_div_fmas_f32 v13, v13, v16, v17
	s_delay_alu instid0(VALU_DEP_1) | instskip(NEXT) | instid1(VALU_DEP_1)
	v_div_fixup_f32 v13, v13, v15, v14
	v_fmac_f32_e32 v15, v14, v13
	s_delay_alu instid0(VALU_DEP_1) | instskip(SKIP_1) | instid1(VALU_DEP_2)
	v_div_scale_f32 v14, null, v15, v15, 1.0
	v_div_scale_f32 v18, vcc_lo, 1.0, v15, 1.0
	v_rcp_f32_e32 v16, v14
	v_nop
	s_delay_alu instid0(TRANS32_DEP_1) | instskip(NEXT) | instid1(VALU_DEP_1)
	v_fma_f32 v17, -v14, v16, 1.0
	v_fmac_f32_e32 v16, v17, v16
	s_delay_alu instid0(VALU_DEP_1) | instskip(NEXT) | instid1(VALU_DEP_1)
	v_mul_f32_e32 v17, v18, v16
	v_fma_f32 v19, -v14, v17, v18
	s_delay_alu instid0(VALU_DEP_1) | instskip(NEXT) | instid1(VALU_DEP_1)
	v_fmac_f32_e32 v17, v19, v16
	v_fma_f32 v14, -v14, v17, v18
	s_delay_alu instid0(VALU_DEP_1) | instskip(NEXT) | instid1(VALU_DEP_1)
	v_div_fmas_f32 v14, v14, v16, v17
	v_div_fixup_f32 v14, v14, v15, 1.0
	s_delay_alu instid0(VALU_DEP_1)
	v_mul_f32_e32 v16, v13, v14
	v_xor_b32_e32 v17, 0x80000000, v14
                                        ; implicit-def: $vgpr14_vgpr15
.LBB182_18:                             ;   in Loop: Header=BB182_12 Depth=2
	s_and_not1_saveexec_b32 s23, s23
	s_cbranch_execz .LBB182_9
; %bb.19:                               ;   in Loop: Header=BB182_12 Depth=2
	v_div_scale_f32 v13, null, v14, v14, v15
	v_div_scale_f32 v18, vcc_lo, v15, v14, v15
	s_delay_alu instid0(VALU_DEP_2) | instskip(SKIP_1) | instid1(TRANS32_DEP_1)
	v_rcp_f32_e32 v16, v13
	v_nop
	v_fma_f32 v17, -v13, v16, 1.0
	s_delay_alu instid0(VALU_DEP_1) | instskip(NEXT) | instid1(VALU_DEP_1)
	v_fmac_f32_e32 v16, v17, v16
	v_mul_f32_e32 v17, v18, v16
	s_delay_alu instid0(VALU_DEP_1) | instskip(NEXT) | instid1(VALU_DEP_1)
	v_fma_f32 v19, -v13, v17, v18
	v_fmac_f32_e32 v17, v19, v16
	s_delay_alu instid0(VALU_DEP_1) | instskip(NEXT) | instid1(VALU_DEP_1)
	v_fma_f32 v13, -v13, v17, v18
	v_div_fmas_f32 v13, v13, v16, v17
	s_delay_alu instid0(VALU_DEP_1) | instskip(NEXT) | instid1(VALU_DEP_1)
	v_div_fixup_f32 v13, v13, v14, v15
	v_fmac_f32_e32 v14, v15, v13
	s_delay_alu instid0(VALU_DEP_1) | instskip(NEXT) | instid1(VALU_DEP_1)
	v_div_scale_f32 v15, null, v14, v14, 1.0
	v_rcp_f32_e32 v16, v15
	v_nop
	s_delay_alu instid0(TRANS32_DEP_1) | instskip(NEXT) | instid1(VALU_DEP_1)
	v_fma_f32 v17, -v15, v16, 1.0
	v_fmac_f32_e32 v16, v17, v16
	v_div_scale_f32 v17, vcc_lo, 1.0, v14, 1.0
	s_delay_alu instid0(VALU_DEP_1) | instskip(NEXT) | instid1(VALU_DEP_1)
	v_mul_f32_e32 v18, v17, v16
	v_fma_f32 v19, -v15, v18, v17
	s_delay_alu instid0(VALU_DEP_1) | instskip(NEXT) | instid1(VALU_DEP_1)
	v_fmac_f32_e32 v18, v19, v16
	v_fma_f32 v15, -v15, v18, v17
	s_delay_alu instid0(VALU_DEP_1) | instskip(NEXT) | instid1(VALU_DEP_1)
	v_div_fmas_f32 v15, v15, v16, v18
	v_div_fixup_f32 v16, v15, v14, 1.0
	s_delay_alu instid0(VALU_DEP_1)
	v_mul_f32_e64 v17, v13, -v16
	s_branch .LBB182_9
.LBB182_20:                             ;   in Loop: Header=BB182_5 Depth=1
	s_load_b32 s8, s[6:7], 0xc
	s_mov_b32 s9, s27
	s_mov_b64 s[12:13], s[14:15]
	s_wait_kmcnt 0x0
	s_and_b32 s8, s8, 0xffff
	s_and_saveexec_b32 s38, s1
	s_cbranch_execz .LBB182_4
.LBB182_21:                             ;   in Loop: Header=BB182_5 Depth=1
	s_mul_u64 s[22:23], s[18:19], s[26:27]
	v_mov_b64_e32 v[12:13], s[2:3]
	v_lshl_add_u64 v[8:9], s[22:23], 3, v[6:7]
	v_mov_b64_e32 v[14:15], s[28:29]
	s_and_not1_b32 vcc_lo, exec_lo, s36
	s_mov_b32 s22, -1
	global_load_b64 v[10:11], v[8:9], off
	s_wait_loadcnt 0x0
	v_pk_mul_f32 v[12:13], v[12:13], v[10:11] op_sel:[0,1]
	v_pk_mul_f32 v[18:19], v[14:15], v[10:11] op_sel_hi:[1,0]
	s_delay_alu instid0(VALU_DEP_2) | instskip(NEXT) | instid1(VALU_DEP_2)
	v_pk_fma_f32 v[16:17], v[14:15], v[10:11], v[12:13] op_sel_hi:[1,0,1]
	v_sub_f32_e32 v16, v18, v12
                                        ; implicit-def: $vgpr10_vgpr11
	s_cbranch_vccnz .LBB182_23
; %bb.22:                               ;   in Loop: Header=BB182_5 Depth=1
	s_delay_alu instid0(VALU_DEP_1)
	v_mov_b64_e32 v[10:11], v[16:17]
	s_mov_b32 s22, 0
.LBB182_23:                             ;   in Loop: Header=BB182_5 Depth=1
	s_delay_alu instid0(SALU_CYCLE_1)
	s_and_not1_b32 vcc_lo, exec_lo, s22
	s_cbranch_vccnz .LBB182_42
; %bb.24:                               ;   in Loop: Header=BB182_5 Depth=1
	v_mad_nc_u64_u32 v[10:11], v2, s8, v[2:3]
	v_add_nc_u64_e32 v[12:13], s[12:13], v[4:5]
	s_lshl_b64 s[22:23], s[8:9], 3
	s_mov_b64 s[30:31], 0
	s_delay_alu instid0(VALU_DEP_2) | instskip(NEXT) | instid1(VALU_DEP_1)
	v_mad_u32 v11, v2, s9, v11
	v_lshl_add_u64 v[14:15], v[10:11], 3, s[12:13]
	s_branch .LBB182_27
.LBB182_25:                             ;   in Loop: Header=BB182_27 Depth=2
	ds_load_b64 v[24:25], v22
	s_wait_dscnt 0x0
	v_pk_mul_f32 v[18:19], v[18:19], v[24:25] op_sel:[0,1] op_sel_hi:[0,0]
	s_delay_alu instid0(VALU_DEP_1) | instskip(SKIP_1) | instid1(VALU_DEP_2)
	v_pk_fma_f32 v[26:27], v[24:25], v[16:17], v[18:19] op_sel_hi:[1,0,1]
	v_pk_fma_f32 v[16:17], v[24:25], v[16:17], v[18:19] neg_lo:[0,0,1] neg_hi:[0,0,1]
	v_mov_b32_e32 v17, v27
	s_delay_alu instid0(VALU_DEP_1) | instskip(NEXT) | instid1(VALU_DEP_1)
	v_pk_add_f32 v[16:17], v[10:11], v[16:17] neg_lo:[0,1] neg_hi:[0,1]
	v_mov_b64_e32 v[10:11], v[16:17]
.LBB182_26:                             ;   in Loop: Header=BB182_27 Depth=2
	s_wait_xcnt 0x0
	s_or_b32 exec_lo, exec_lo, s39
	v_add_nc_u64_e32 v[12:13], s[22:23], v[12:13]
	s_add_nc_u64 s[30:31], s[30:31], 1
	s_delay_alu instid0(SALU_CYCLE_1)
	s_cmp_eq_u64 s[16:17], s[30:31]
	s_cbranch_scc1 .LBB182_42
.LBB182_27:                             ;   Parent Loop BB182_5 Depth=1
                                        ; =>  This Inner Loop Header: Depth=2
	v_mov_b64_e32 v[10:11], v[16:17]
	s_mov_b32 s39, exec_lo
	s_wait_dscnt 0x0
	s_barrier_signal -1
	s_barrier_wait -1
	s_wait_xcnt 0x0
	v_cmpx_eq_u64_e64 s[30:31], v[2:3]
	s_cbranch_execz .LBB182_37
; %bb.28:                               ;   in Loop: Header=BB182_27 Depth=2
	flat_load_b64 v[10:11], v[14:15]
	s_and_b32 vcc_lo, exec_lo, s33
	s_mov_b32 s40, -1
                                        ; implicit-def: $vgpr18_vgpr19
	s_cbranch_vccz .LBB182_34
; %bb.29:                               ;   in Loop: Header=BB182_27 Depth=2
	s_wait_loadcnt_dscnt 0x0
	v_cmp_ngt_f32_e64 s40, |v10|, |v11|
                                        ; implicit-def: $vgpr18_vgpr19
	s_wait_xcnt 0x0
	s_and_saveexec_b32 s41, s40
	s_delay_alu instid0(SALU_CYCLE_1)
	s_xor_b32 s40, exec_lo, s41
	s_cbranch_execz .LBB182_31
; %bb.30:                               ;   in Loop: Header=BB182_27 Depth=2
	v_div_scale_f32 v18, null, v11, v11, v10
	v_div_scale_f32 v25, vcc_lo, v10, v11, v10
	s_delay_alu instid0(VALU_DEP_2) | instskip(SKIP_1) | instid1(TRANS32_DEP_1)
	v_rcp_f32_e32 v19, v18
	v_nop
	v_fma_f32 v24, -v18, v19, 1.0
	s_delay_alu instid0(VALU_DEP_1) | instskip(NEXT) | instid1(VALU_DEP_1)
	v_fmac_f32_e32 v19, v24, v19
	v_mul_f32_e32 v24, v25, v19
	s_delay_alu instid0(VALU_DEP_1) | instskip(NEXT) | instid1(VALU_DEP_1)
	v_fma_f32 v26, -v18, v24, v25
	v_fmac_f32_e32 v24, v26, v19
	s_delay_alu instid0(VALU_DEP_1) | instskip(NEXT) | instid1(VALU_DEP_1)
	v_fma_f32 v18, -v18, v24, v25
	v_div_fmas_f32 v18, v18, v19, v24
	s_delay_alu instid0(VALU_DEP_1) | instskip(NEXT) | instid1(VALU_DEP_1)
	v_div_fixup_f32 v18, v18, v11, v10
	v_fma_f32 v19, v10, v18, v11
	s_delay_alu instid0(VALU_DEP_1) | instskip(SKIP_1) | instid1(VALU_DEP_2)
	v_div_scale_f32 v24, null, v19, v19, 1.0
	v_div_scale_f32 v27, vcc_lo, 1.0, v19, 1.0
	v_rcp_f32_e32 v25, v24
	v_nop
	s_delay_alu instid0(TRANS32_DEP_1) | instskip(NEXT) | instid1(VALU_DEP_1)
	v_fma_f32 v26, -v24, v25, 1.0
	v_fmac_f32_e32 v25, v26, v25
	s_delay_alu instid0(VALU_DEP_1) | instskip(NEXT) | instid1(VALU_DEP_1)
	v_mul_f32_e32 v26, v27, v25
	v_fma_f32 v28, -v24, v26, v27
	s_delay_alu instid0(VALU_DEP_1) | instskip(NEXT) | instid1(VALU_DEP_1)
	v_fmac_f32_e32 v26, v28, v25
	v_fma_f32 v24, -v24, v26, v27
	s_delay_alu instid0(VALU_DEP_1) | instskip(NEXT) | instid1(VALU_DEP_1)
	v_div_fmas_f32 v24, v24, v25, v26
	v_div_fixup_f32 v19, v24, v19, 1.0
	s_delay_alu instid0(VALU_DEP_1)
	v_mul_f32_e32 v18, v18, v19
	v_xor_b32_e32 v19, 0x80000000, v19
.LBB182_31:                             ;   in Loop: Header=BB182_27 Depth=2
	s_and_not1_saveexec_b32 s40, s40
	s_cbranch_execz .LBB182_33
; %bb.32:                               ;   in Loop: Header=BB182_27 Depth=2
	v_div_scale_f32 v18, null, v10, v10, v11
	v_div_scale_f32 v25, vcc_lo, v11, v10, v11
	s_delay_alu instid0(VALU_DEP_2) | instskip(SKIP_1) | instid1(TRANS32_DEP_1)
	v_rcp_f32_e32 v19, v18
	v_nop
	v_fma_f32 v24, -v18, v19, 1.0
	s_delay_alu instid0(VALU_DEP_1) | instskip(NEXT) | instid1(VALU_DEP_1)
	v_fmac_f32_e32 v19, v24, v19
	v_mul_f32_e32 v24, v25, v19
	s_delay_alu instid0(VALU_DEP_1) | instskip(NEXT) | instid1(VALU_DEP_1)
	v_fma_f32 v26, -v18, v24, v25
	v_fmac_f32_e32 v24, v26, v19
	s_delay_alu instid0(VALU_DEP_1) | instskip(NEXT) | instid1(VALU_DEP_1)
	v_fma_f32 v18, -v18, v24, v25
	v_div_fmas_f32 v18, v18, v19, v24
	s_delay_alu instid0(VALU_DEP_1) | instskip(NEXT) | instid1(VALU_DEP_1)
	v_div_fixup_f32 v19, v18, v10, v11
	v_fma_f32 v18, v11, v19, v10
	s_delay_alu instid0(VALU_DEP_1) | instskip(NEXT) | instid1(VALU_DEP_1)
	v_div_scale_f32 v24, null, v18, v18, 1.0
	v_rcp_f32_e32 v25, v24
	v_nop
	s_delay_alu instid0(TRANS32_DEP_1) | instskip(NEXT) | instid1(VALU_DEP_1)
	v_fma_f32 v26, -v24, v25, 1.0
	v_fmac_f32_e32 v25, v26, v25
	v_div_scale_f32 v26, vcc_lo, 1.0, v18, 1.0
	s_delay_alu instid0(VALU_DEP_1) | instskip(NEXT) | instid1(VALU_DEP_1)
	v_mul_f32_e32 v27, v26, v25
	v_fma_f32 v28, -v24, v27, v26
	s_delay_alu instid0(VALU_DEP_1) | instskip(NEXT) | instid1(VALU_DEP_1)
	v_fmac_f32_e32 v27, v28, v25
	v_fma_f32 v24, -v24, v27, v26
	s_delay_alu instid0(VALU_DEP_1) | instskip(NEXT) | instid1(VALU_DEP_1)
	v_div_fmas_f32 v24, v24, v25, v27
	v_div_fixup_f32 v18, v24, v18, 1.0
	s_delay_alu instid0(VALU_DEP_1)
	v_mul_f32_e64 v19, v19, -v18
.LBB182_33:                             ;   in Loop: Header=BB182_27 Depth=2
	s_or_b32 exec_lo, exec_lo, s40
	s_mov_b32 s40, 0
.LBB182_34:                             ;   in Loop: Header=BB182_27 Depth=2
	s_delay_alu instid0(SALU_CYCLE_1)
	s_and_not1_b32 vcc_lo, exec_lo, s40
	s_cbranch_vccnz .LBB182_36
; %bb.35:                               ;   in Loop: Header=BB182_27 Depth=2
	s_wait_loadcnt_dscnt 0x0
	v_mov_b64_e32 v[18:19], v[10:11]
.LBB182_36:                             ;   in Loop: Header=BB182_27 Depth=2
	s_delay_alu instid0(VALU_DEP_1) | instskip(SKIP_1) | instid1(VALU_DEP_1)
	v_pk_mul_f32 v[24:25], v[16:17], v[18:19] op_sel:[1,1] op_sel_hi:[0,1]
	s_wait_loadcnt_dscnt 0x0
	v_pk_fma_f32 v[10:11], v[16:17], v[18:19], v[24:25] op_sel_hi:[1,0,1] neg_lo:[0,0,1] neg_hi:[0,0,1]
	v_pk_fma_f32 v[16:17], v[16:17], v[18:19], v[24:25] op_sel_hi:[1,0,1]
	s_delay_alu instid0(VALU_DEP_1)
	v_dual_mov_b32 v16, v10 :: v_dual_mov_b32 v11, v17
	ds_store_b64 v22, v[10:11]
.LBB182_37:                             ;   in Loop: Header=BB182_27 Depth=2
	s_wait_xcnt 0x0
	s_or_b32 exec_lo, exec_lo, s39
	s_delay_alu instid0(SALU_CYCLE_1)
	s_mov_b32 s39, exec_lo
	s_wait_dscnt 0x0
	s_barrier_signal -1
	s_barrier_wait -1
	v_cmpx_lt_u64_e64 s[30:31], v[2:3]
	s_cbranch_execz .LBB182_26
; %bb.38:                               ;   in Loop: Header=BB182_27 Depth=2
	s_and_b32 vcc_lo, exec_lo, s34
	s_mov_b32 s40, -1
                                        ; implicit-def: $vgpr16
                                        ; implicit-def: $vgpr18
	s_cbranch_vccz .LBB182_40
; %bb.39:                               ;   in Loop: Header=BB182_27 Depth=2
	flat_load_b64 v[16:17], v[12:13] offset:-4
	s_mov_b32 s40, 0
	s_wait_loadcnt_dscnt 0x0
	v_mov_b32_e32 v18, v17
.LBB182_40:                             ;   in Loop: Header=BB182_27 Depth=2
	s_and_not1_b32 vcc_lo, exec_lo, s40
	s_cbranch_vccnz .LBB182_25
; %bb.41:                               ;   in Loop: Header=BB182_27 Depth=2
	flat_load_b64 v[16:17], v[12:13] offset:-4
	s_wait_loadcnt_dscnt 0x0
	v_xor_b32_e32 v18, 0x80000000, v17
	s_branch .LBB182_25
.LBB182_42:                             ;   in Loop: Header=BB182_5 Depth=1
	s_wait_xcnt 0x0
	s_and_saveexec_b32 s22, s0
	s_cbranch_execz .LBB182_3
; %bb.43:                               ;   in Loop: Header=BB182_5 Depth=1
	v_mad_nc_u64_u32 v[12:13], v2, s8, v[2:3]
	s_and_b32 vcc_lo, exec_lo, s33
                                        ; implicit-def: $vgpr14_vgpr15
	s_delay_alu instid0(VALU_DEP_1) | instskip(NEXT) | instid1(VALU_DEP_1)
	v_mad_u32 v13, v2, s9, v13
	v_lshl_add_u64 v[12:13], v[12:13], 3, s[12:13]
	s_mov_b32 s12, -1
	flat_load_b64 v[12:13], v[12:13]
	s_cbranch_vccz .LBB182_49
; %bb.44:                               ;   in Loop: Header=BB182_5 Depth=1
	s_wait_loadcnt_dscnt 0x0
	v_cmp_ngt_f32_e64 s12, |v12|, |v13|
                                        ; implicit-def: $vgpr14_vgpr15
	s_wait_xcnt 0x0
	s_and_saveexec_b32 s13, s12
	s_delay_alu instid0(SALU_CYCLE_1)
	s_xor_b32 s12, exec_lo, s13
	s_cbranch_execz .LBB182_46
; %bb.45:                               ;   in Loop: Header=BB182_5 Depth=1
	v_div_scale_f32 v14, null, v13, v13, v12
	v_div_scale_f32 v17, vcc_lo, v12, v13, v12
	s_delay_alu instid0(VALU_DEP_2) | instskip(SKIP_1) | instid1(TRANS32_DEP_1)
	v_rcp_f32_e32 v15, v14
	v_nop
	v_fma_f32 v16, -v14, v15, 1.0
	s_delay_alu instid0(VALU_DEP_1) | instskip(NEXT) | instid1(VALU_DEP_1)
	v_fmac_f32_e32 v15, v16, v15
	v_mul_f32_e32 v16, v17, v15
	s_delay_alu instid0(VALU_DEP_1) | instskip(NEXT) | instid1(VALU_DEP_1)
	v_fma_f32 v18, -v14, v16, v17
	v_fmac_f32_e32 v16, v18, v15
	s_delay_alu instid0(VALU_DEP_1) | instskip(NEXT) | instid1(VALU_DEP_1)
	v_fma_f32 v14, -v14, v16, v17
	v_div_fmas_f32 v14, v14, v15, v16
	s_delay_alu instid0(VALU_DEP_1) | instskip(NEXT) | instid1(VALU_DEP_1)
	v_div_fixup_f32 v14, v14, v13, v12
	v_fma_f32 v15, v12, v14, v13
	s_delay_alu instid0(VALU_DEP_1) | instskip(SKIP_1) | instid1(VALU_DEP_2)
	v_div_scale_f32 v16, null, v15, v15, 1.0
	v_div_scale_f32 v19, vcc_lo, 1.0, v15, 1.0
	v_rcp_f32_e32 v17, v16
	v_nop
	s_delay_alu instid0(TRANS32_DEP_1) | instskip(NEXT) | instid1(VALU_DEP_1)
	v_fma_f32 v18, -v16, v17, 1.0
	v_fmac_f32_e32 v17, v18, v17
	s_delay_alu instid0(VALU_DEP_1) | instskip(NEXT) | instid1(VALU_DEP_1)
	v_mul_f32_e32 v18, v19, v17
	v_fma_f32 v24, -v16, v18, v19
	s_delay_alu instid0(VALU_DEP_1) | instskip(NEXT) | instid1(VALU_DEP_1)
	v_fmac_f32_e32 v18, v24, v17
	v_fma_f32 v16, -v16, v18, v19
	s_delay_alu instid0(VALU_DEP_1) | instskip(NEXT) | instid1(VALU_DEP_1)
	v_div_fmas_f32 v16, v16, v17, v18
	v_div_fixup_f32 v15, v16, v15, 1.0
	s_delay_alu instid0(VALU_DEP_1)
	v_mul_f32_e32 v14, v14, v15
	v_xor_b32_e32 v15, 0x80000000, v15
.LBB182_46:                             ;   in Loop: Header=BB182_5 Depth=1
	s_and_not1_saveexec_b32 s12, s12
	s_cbranch_execz .LBB182_48
; %bb.47:                               ;   in Loop: Header=BB182_5 Depth=1
	v_div_scale_f32 v14, null, v12, v12, v13
	v_div_scale_f32 v17, vcc_lo, v13, v12, v13
	s_delay_alu instid0(VALU_DEP_2) | instskip(SKIP_1) | instid1(TRANS32_DEP_1)
	v_rcp_f32_e32 v15, v14
	v_nop
	v_fma_f32 v16, -v14, v15, 1.0
	s_delay_alu instid0(VALU_DEP_1) | instskip(NEXT) | instid1(VALU_DEP_1)
	v_fmac_f32_e32 v15, v16, v15
	v_mul_f32_e32 v16, v17, v15
	s_delay_alu instid0(VALU_DEP_1) | instskip(NEXT) | instid1(VALU_DEP_1)
	v_fma_f32 v18, -v14, v16, v17
	v_fmac_f32_e32 v16, v18, v15
	s_delay_alu instid0(VALU_DEP_1) | instskip(NEXT) | instid1(VALU_DEP_1)
	v_fma_f32 v14, -v14, v16, v17
	v_div_fmas_f32 v14, v14, v15, v16
	s_delay_alu instid0(VALU_DEP_1) | instskip(NEXT) | instid1(VALU_DEP_1)
	v_div_fixup_f32 v15, v14, v12, v13
	v_fma_f32 v14, v13, v15, v12
	s_delay_alu instid0(VALU_DEP_1) | instskip(NEXT) | instid1(VALU_DEP_1)
	v_div_scale_f32 v16, null, v14, v14, 1.0
	v_rcp_f32_e32 v17, v16
	v_nop
	s_delay_alu instid0(TRANS32_DEP_1) | instskip(NEXT) | instid1(VALU_DEP_1)
	v_fma_f32 v18, -v16, v17, 1.0
	v_fmac_f32_e32 v17, v18, v17
	v_div_scale_f32 v18, vcc_lo, 1.0, v14, 1.0
	s_delay_alu instid0(VALU_DEP_1) | instskip(NEXT) | instid1(VALU_DEP_1)
	v_mul_f32_e32 v19, v18, v17
	v_fma_f32 v24, -v16, v19, v18
	s_delay_alu instid0(VALU_DEP_1) | instskip(NEXT) | instid1(VALU_DEP_1)
	v_fmac_f32_e32 v19, v24, v17
	v_fma_f32 v16, -v16, v19, v18
	s_delay_alu instid0(VALU_DEP_1) | instskip(NEXT) | instid1(VALU_DEP_1)
	v_div_fmas_f32 v16, v16, v17, v19
	v_div_fixup_f32 v14, v16, v14, 1.0
	s_delay_alu instid0(VALU_DEP_1)
	v_mul_f32_e64 v15, v15, -v14
.LBB182_48:                             ;   in Loop: Header=BB182_5 Depth=1
	s_or_b32 exec_lo, exec_lo, s12
	s_mov_b32 s12, 0
.LBB182_49:                             ;   in Loop: Header=BB182_5 Depth=1
	s_delay_alu instid0(SALU_CYCLE_1)
	s_and_not1_b32 vcc_lo, exec_lo, s12
	s_cbranch_vccnz .LBB182_2
; %bb.50:                               ;   in Loop: Header=BB182_5 Depth=1
	s_wait_loadcnt_dscnt 0x0
	v_mov_b64_e32 v[14:15], v[12:13]
	s_branch .LBB182_2
.LBB182_51:
	s_endpgm
	.section	.rodata,"a",@progbits
	.p2align	6, 0x0
	.amdhsa_kernel _ZL39rocblas_trsm_block_forward_substitutionI19rocblas_complex_numIfES1_PKS1_PS1_Lb0ELb1ELb0EEv18rocblas_operation_llT0_T1_lllT2_lllib
		.amdhsa_group_segment_fixed_size 0
		.amdhsa_private_segment_fixed_size 0
		.amdhsa_kernarg_size 360
		.amdhsa_user_sgpr_count 2
		.amdhsa_user_sgpr_dispatch_ptr 0
		.amdhsa_user_sgpr_queue_ptr 0
		.amdhsa_user_sgpr_kernarg_segment_ptr 1
		.amdhsa_user_sgpr_dispatch_id 0
		.amdhsa_user_sgpr_kernarg_preload_length 0
		.amdhsa_user_sgpr_kernarg_preload_offset 0
		.amdhsa_user_sgpr_private_segment_size 0
		.amdhsa_wavefront_size32 1
		.amdhsa_uses_dynamic_stack 0
		.amdhsa_enable_private_segment 0
		.amdhsa_system_sgpr_workgroup_id_x 1
		.amdhsa_system_sgpr_workgroup_id_y 1
		.amdhsa_system_sgpr_workgroup_id_z 1
		.amdhsa_system_sgpr_workgroup_info 0
		.amdhsa_system_vgpr_workitem_id 1
		.amdhsa_next_free_vgpr 29
		.amdhsa_next_free_sgpr 42
		.amdhsa_named_barrier_count 0
		.amdhsa_reserve_vcc 1
		.amdhsa_float_round_mode_32 0
		.amdhsa_float_round_mode_16_64 0
		.amdhsa_float_denorm_mode_32 3
		.amdhsa_float_denorm_mode_16_64 3
		.amdhsa_fp16_overflow 0
		.amdhsa_memory_ordered 1
		.amdhsa_forward_progress 1
		.amdhsa_inst_pref_size 23
		.amdhsa_round_robin_scheduling 0
		.amdhsa_exception_fp_ieee_invalid_op 0
		.amdhsa_exception_fp_denorm_src 0
		.amdhsa_exception_fp_ieee_div_zero 0
		.amdhsa_exception_fp_ieee_overflow 0
		.amdhsa_exception_fp_ieee_underflow 0
		.amdhsa_exception_fp_ieee_inexact 0
		.amdhsa_exception_int_div_zero 0
	.end_amdhsa_kernel
	.section	.text._ZL39rocblas_trsm_block_forward_substitutionI19rocblas_complex_numIfES1_PKS1_PS1_Lb0ELb1ELb0EEv18rocblas_operation_llT0_T1_lllT2_lllib,"axG",@progbits,_ZL39rocblas_trsm_block_forward_substitutionI19rocblas_complex_numIfES1_PKS1_PS1_Lb0ELb1ELb0EEv18rocblas_operation_llT0_T1_lllT2_lllib,comdat
.Lfunc_end182:
	.size	_ZL39rocblas_trsm_block_forward_substitutionI19rocblas_complex_numIfES1_PKS1_PS1_Lb0ELb1ELb0EEv18rocblas_operation_llT0_T1_lllT2_lllib, .Lfunc_end182-_ZL39rocblas_trsm_block_forward_substitutionI19rocblas_complex_numIfES1_PKS1_PS1_Lb0ELb1ELb0EEv18rocblas_operation_llT0_T1_lllT2_lllib
                                        ; -- End function
	.set _ZL39rocblas_trsm_block_forward_substitutionI19rocblas_complex_numIfES1_PKS1_PS1_Lb0ELb1ELb0EEv18rocblas_operation_llT0_T1_lllT2_lllib.num_vgpr, 29
	.set _ZL39rocblas_trsm_block_forward_substitutionI19rocblas_complex_numIfES1_PKS1_PS1_Lb0ELb1ELb0EEv18rocblas_operation_llT0_T1_lllT2_lllib.num_agpr, 0
	.set _ZL39rocblas_trsm_block_forward_substitutionI19rocblas_complex_numIfES1_PKS1_PS1_Lb0ELb1ELb0EEv18rocblas_operation_llT0_T1_lllT2_lllib.numbered_sgpr, 42
	.set _ZL39rocblas_trsm_block_forward_substitutionI19rocblas_complex_numIfES1_PKS1_PS1_Lb0ELb1ELb0EEv18rocblas_operation_llT0_T1_lllT2_lllib.num_named_barrier, 0
	.set _ZL39rocblas_trsm_block_forward_substitutionI19rocblas_complex_numIfES1_PKS1_PS1_Lb0ELb1ELb0EEv18rocblas_operation_llT0_T1_lllT2_lllib.private_seg_size, 0
	.set _ZL39rocblas_trsm_block_forward_substitutionI19rocblas_complex_numIfES1_PKS1_PS1_Lb0ELb1ELb0EEv18rocblas_operation_llT0_T1_lllT2_lllib.uses_vcc, 1
	.set _ZL39rocblas_trsm_block_forward_substitutionI19rocblas_complex_numIfES1_PKS1_PS1_Lb0ELb1ELb0EEv18rocblas_operation_llT0_T1_lllT2_lllib.uses_flat_scratch, 0
	.set _ZL39rocblas_trsm_block_forward_substitutionI19rocblas_complex_numIfES1_PKS1_PS1_Lb0ELb1ELb0EEv18rocblas_operation_llT0_T1_lllT2_lllib.has_dyn_sized_stack, 0
	.set _ZL39rocblas_trsm_block_forward_substitutionI19rocblas_complex_numIfES1_PKS1_PS1_Lb0ELb1ELb0EEv18rocblas_operation_llT0_T1_lllT2_lllib.has_recursion, 0
	.set _ZL39rocblas_trsm_block_forward_substitutionI19rocblas_complex_numIfES1_PKS1_PS1_Lb0ELb1ELb0EEv18rocblas_operation_llT0_T1_lllT2_lllib.has_indirect_call, 0
	.section	.AMDGPU.csdata,"",@progbits
; Kernel info:
; codeLenInByte = 2828
; TotalNumSgprs: 44
; NumVgprs: 29
; ScratchSize: 0
; MemoryBound: 0
; FloatMode: 240
; IeeeMode: 1
; LDSByteSize: 0 bytes/workgroup (compile time only)
; SGPRBlocks: 0
; VGPRBlocks: 1
; NumSGPRsForWavesPerEU: 44
; NumVGPRsForWavesPerEU: 29
; NamedBarCnt: 0
; Occupancy: 16
; WaveLimiterHint : 0
; COMPUTE_PGM_RSRC2:SCRATCH_EN: 0
; COMPUTE_PGM_RSRC2:USER_SGPR: 2
; COMPUTE_PGM_RSRC2:TRAP_HANDLER: 0
; COMPUTE_PGM_RSRC2:TGID_X_EN: 1
; COMPUTE_PGM_RSRC2:TGID_Y_EN: 1
; COMPUTE_PGM_RSRC2:TGID_Z_EN: 1
; COMPUTE_PGM_RSRC2:TIDIG_COMP_CNT: 1
	.section	.text._ZL40rocblas_trsm_block_backward_substitutionI19rocblas_complex_numIfES1_PKS1_PS1_Lb0ELb1ELb0EEv18rocblas_operation_llT0_T1_lllT2_lllib,"axG",@progbits,_ZL40rocblas_trsm_block_backward_substitutionI19rocblas_complex_numIfES1_PKS1_PS1_Lb0ELb1ELb0EEv18rocblas_operation_llT0_T1_lllT2_lllib,comdat
	.globl	_ZL40rocblas_trsm_block_backward_substitutionI19rocblas_complex_numIfES1_PKS1_PS1_Lb0ELb1ELb0EEv18rocblas_operation_llT0_T1_lllT2_lllib ; -- Begin function _ZL40rocblas_trsm_block_backward_substitutionI19rocblas_complex_numIfES1_PKS1_PS1_Lb0ELb1ELb0EEv18rocblas_operation_llT0_T1_lllT2_lllib
	.p2align	8
	.type	_ZL40rocblas_trsm_block_backward_substitutionI19rocblas_complex_numIfES1_PKS1_PS1_Lb0ELb1ELb0EEv18rocblas_operation_llT0_T1_lllT2_lllib,@function
_ZL40rocblas_trsm_block_backward_substitutionI19rocblas_complex_numIfES1_PKS1_PS1_Lb0ELb1ELb0EEv18rocblas_operation_llT0_T1_lllT2_lllib: ; @_ZL40rocblas_trsm_block_backward_substitutionI19rocblas_complex_numIfES1_PKS1_PS1_Lb0ELb1ELb0EEv18rocblas_operation_llT0_T1_lllT2_lllib
; %bb.0:
	s_load_b64 s[24:25], s[0:1], 0x60
	s_bfe_u32 s2, ttmp6, 0x40014
	s_lshr_b32 s3, ttmp7, 16
	s_add_co_i32 s2, s2, 1
	s_bfe_u32 s4, ttmp6, 0x40008
	s_mul_i32 s2, s3, s2
	s_getreg_b32 s28, hwreg(HW_REG_IB_STS2, 6, 4)
	s_add_co_i32 s4, s4, s2
	s_cmp_eq_u32 s28, 0
	s_mov_b32 s27, 0
	s_cselect_b32 s26, s3, s4
	s_wait_kmcnt 0x0
	s_cmp_ge_u32 s26, s24
	s_cbranch_scc1 .LBB183_52
; %bb.1:
	s_mov_b64 s[2:3], src_shared_base
	s_clause 0x1
	s_load_b32 s2, s[0:1], 0x0
	s_load_b512 s[4:19], s[0:1], 0x20
	s_bitcmp1_b32 s25, 0
	s_clause 0x1
	s_load_u16 s25, s[0:1], 0x76
	s_load_b128 s[20:23], s[0:1], 0x8
	s_cselect_b32 s29, -1, 0
	v_bfe_u32 v23, v0, 10, 10
	s_xor_b32 s33, s29, -1
	v_and_b32_e32 v0, 0x3ff, v0
	v_mov_b32_e32 v3, 0
	v_cndmask_b32_e64 v22, 0, 1, s29
	v_lshl_add_u32 v24, v23, 3, 0
	s_wait_kmcnt 0x0
	s_cmp_lg_u32 s2, 0x71
	s_cselect_b32 s40, -1, 0
	s_bfe_u32 s2, ttmp6, 0x40010
	s_lshl_b64 s[34:35], s[6:7], 3
	s_and_b32 s6, ttmp7, 0xffff
	s_add_co_i32 s2, s2, 1
	s_bfe_u32 s7, ttmp6, 0x40004
	s_mul_i32 s2, s6, s2
	s_lshl_b64 s[36:37], s[14:15], 3
	s_add_co_i32 s7, s7, s2
	s_cmp_eq_u32 s28, 0
	s_add_nc_u64 s[14:15], s[0:1], 0x68
	s_cselect_b32 s2, s6, s7
	s_load_b64 s[6:7], s[0:1], 0x18
	v_mad_u32 v2, s2, s25, v23
	v_cmp_gt_i64_e64 s42, s[20:21], 0
	v_cmp_lt_i64_e64 s44, s[20:21], 2
	s_wait_xcnt 0x0
	v_cmp_eq_u32_e64 s0, 0, v0
	s_add_nc_u64 s[30:31], s[20:21], -1
	s_add_nc_u64 s[4:5], s[4:5], s[34:35]
	v_mul_u64_e32 v[8:9], s[16:17], v[2:3]
	v_cmp_gt_i64_e32 vcc_lo, s[22:23], v[2:3]
	v_dual_mov_b32 v1, v3 :: v_dual_lshlrev_b32 v2, 3, v0
	s_mov_b32 s17, s3
	s_add_nc_u64 s[2:3], s[12:13], s[36:37]
	s_lshl_b32 s12, s25, 3
	s_delay_alu instid0(VALU_DEP_1)
	v_mul_u64_e32 v[4:5], s[8:9], v[0:1]
	v_lshlrev_b64_e32 v[6:7], 3, v[0:1]
	v_cmp_le_i64_e64 s41, s[20:21], v[0:1]
	v_cmp_gt_i64_e64 s1, s[20:21], v[0:1]
	s_add_co_i32 s16, s12, 0
	s_wait_kmcnt 0x0
	s_mov_b32 s28, s7
	v_lshl_add_u32 v25, v0, 3, s16
	s_mov_b32 s29, s6
	s_lshl_b64 s[12:13], s[30:31], 3
	s_xor_b32 s45, s41, -1
	s_and_b32 s43, vcc_lo, s1
	v_lshl_add_u64 v[8:9], v[8:9], 3, s[2:3]
	s_delay_alu instid0(VALU_DEP_1)
	v_add_nc_u64_e32 v[8:9], v[8:9], v[6:7]
	s_branch .LBB183_5
.LBB183_2:                              ;   in Loop: Header=BB183_5 Depth=1
	s_wait_loadcnt_dscnt 0x0
	s_wait_xcnt 0x0
	s_delay_alu instid0(VALU_DEP_1) | instskip(NEXT) | instid1(VALU_DEP_1)
	v_pk_mul_f32 v[14:15], v[12:13], v[16:17] op_sel:[1,1] op_sel_hi:[1,0]
	v_pk_fma_f32 v[18:19], v[12:13], v[16:17], v[14:15] op_sel_hi:[0,1,1]
	v_pk_fma_f32 v[12:13], v[12:13], v[16:17], v[14:15] neg_lo:[0,0,1] neg_hi:[0,0,1]
	s_delay_alu instid0(VALU_DEP_2)
	v_mov_b32_e32 v13, v19
.LBB183_3:                              ;   in Loop: Header=BB183_5 Depth=1
	s_or_b32 exec_lo, exec_lo, s36
	global_store_b64 v[10:11], v[12:13], off
.LBB183_4:                              ;   in Loop: Header=BB183_5 Depth=1
	s_wait_xcnt 0x0
	s_or_b32 exec_lo, exec_lo, s46
	s_add_co_i32 s26, s26, 0x10000
	s_delay_alu instid0(SALU_CYCLE_1)
	s_cmp_lt_u32 s26, s24
	s_cbranch_scc0 .LBB183_52
.LBB183_5:                              ; =>This Loop Header: Depth=1
                                        ;     Child Loop BB183_10 Depth 2
                                        ;     Child Loop BB183_28 Depth 2
	v_cmp_ne_u32_e32 vcc_lo, 1, v22
	s_mul_u64 s[2:3], s[10:11], s[26:27]
	s_delay_alu instid0(SALU_CYCLE_1) | instskip(NEXT) | instid1(SALU_CYCLE_1)
	s_lshl_b64 s[2:3], s[2:3], 3
	s_add_nc_u64 s[2:3], s[4:5], s[2:3]
	s_cbranch_vccnz .LBB183_20
; %bb.6:                                ;   in Loop: Header=BB183_5 Depth=1
	s_and_not1_b32 vcc_lo, exec_lo, s42
	s_cbranch_vccnz .LBB183_21
; %bb.7:                                ;   in Loop: Header=BB183_5 Depth=1
	v_lshl_add_u64 v[10:11], v[4:5], 3, s[2:3]
	v_mov_b32_e32 v14, v23
	s_mov_b32 s22, s25
	s_delay_alu instid0(VALU_DEP_2)
	v_add_nc_u64_e32 v[12:13], v[10:11], v[2:3]
	s_branch .LBB183_10
.LBB183_8:                              ;   in Loop: Header=BB183_10 Depth=2
	s_or_b32 exec_lo, exec_lo, s3
	s_load_b32 s3, s[14:15], 0xc
	s_wait_kmcnt 0x0
	s_and_b32 s3, s3, 0xffff
	s_delay_alu instid0(SALU_CYCLE_1) | instskip(NEXT) | instid1(VALU_DEP_1)
	v_mul_u32_u24_e32 v7, s3, v0
	v_lshl_add_u32 v7, v7, 3, v25
	ds_store_b64 v7, v[18:19]
.LBB183_9:                              ;   in Loop: Header=BB183_10 Depth=2
	s_or_b32 exec_lo, exec_lo, s2
	s_ashr_i32 s23, s22, 31
	v_add_nc_u32_e32 v14, s25, v14
	v_cmp_le_i64_e64 s2, s[20:21], s[22:23]
	s_add_co_i32 s22, s22, s25
	s_and_b32 vcc_lo, exec_lo, s2
	s_cbranch_vccnz .LBB183_21
.LBB183_10:                             ;   Parent Loop BB183_5 Depth=1
                                        ; =>  This Inner Loop Header: Depth=2
	s_mov_b32 s23, s41
	s_and_saveexec_b32 s3, s1
	s_cbranch_execz .LBB183_14
; %bb.11:                               ;   in Loop: Header=BB183_10 Depth=2
	v_ashrrev_i32_e32 v15, 31, v14
	v_cmp_lt_i32_e64 s2, v0, v14
	s_mov_b32 s23, -1
	v_cmp_gt_i64_e32 vcc_lo, s[20:21], v[14:15]
	s_and_b32 s34, s2, vcc_lo
	s_delay_alu instid0(SALU_CYCLE_1)
	s_and_saveexec_b32 s2, s34
	s_cbranch_execz .LBB183_13
; %bb.12:                               ;   in Loop: Header=BB183_10 Depth=2
	v_lshl_add_u64 v[16:17], v[14:15], 3, v[10:11]
	s_load_b32 s23, s[14:15], 0xc
	global_load_b64 v[16:17], v[16:17], off
	s_wait_kmcnt 0x0
	s_and_b32 s23, s23, 0xffff
	s_delay_alu instid0(SALU_CYCLE_1) | instskip(SKIP_1) | instid1(VALU_DEP_1)
	v_mul_lo_u32 v7, v14, s23
	s_xor_b32 s23, exec_lo, -1
	v_lshl_add_u32 v7, v7, 3, v25
	s_wait_loadcnt 0x0
	ds_store_b64 v7, v[16:17]
.LBB183_13:                             ;   in Loop: Header=BB183_10 Depth=2
	s_wait_xcnt 0x0
	s_or_b32 exec_lo, exec_lo, s2
	s_delay_alu instid0(SALU_CYCLE_1) | instskip(SKIP_1) | instid1(SALU_CYCLE_1)
	s_and_not1_b32 s2, s41, exec_lo
	s_and_b32 s23, s23, exec_lo
	s_or_b32 s23, s2, s23
.LBB183_14:                             ;   in Loop: Header=BB183_10 Depth=2
	s_or_b32 exec_lo, exec_lo, s3
	s_and_saveexec_b32 s2, s23
	s_cbranch_execz .LBB183_9
; %bb.15:                               ;   in Loop: Header=BB183_10 Depth=2
	v_cmp_eq_u32_e32 vcc_lo, v0, v14
	s_and_b32 s3, s45, vcc_lo
	s_delay_alu instid0(SALU_CYCLE_1)
	s_and_b32 exec_lo, exec_lo, s3
	s_cbranch_execz .LBB183_9
; %bb.16:                               ;   in Loop: Header=BB183_10 Depth=2
	global_load_b64 v[16:17], v[12:13], off
                                        ; implicit-def: $vgpr18_vgpr19
	s_wait_loadcnt 0x0
	v_cmp_ngt_f32_e64 s3, |v16|, |v17|
	s_wait_xcnt 0x0
	s_and_saveexec_b32 s23, s3
	s_delay_alu instid0(SALU_CYCLE_1)
	s_xor_b32 s3, exec_lo, s23
	s_cbranch_execz .LBB183_18
; %bb.17:                               ;   in Loop: Header=BB183_10 Depth=2
	v_div_scale_f32 v7, null, v17, v17, v16
	v_div_scale_f32 v19, vcc_lo, v16, v17, v16
	s_delay_alu instid0(VALU_DEP_2) | instskip(SKIP_1) | instid1(TRANS32_DEP_1)
	v_rcp_f32_e32 v15, v7
	v_nop
	v_fma_f32 v18, -v7, v15, 1.0
	s_delay_alu instid0(VALU_DEP_1) | instskip(NEXT) | instid1(VALU_DEP_1)
	v_fmac_f32_e32 v15, v18, v15
	v_mul_f32_e32 v18, v19, v15
	s_delay_alu instid0(VALU_DEP_1) | instskip(NEXT) | instid1(VALU_DEP_1)
	v_fma_f32 v20, -v7, v18, v19
	v_fmac_f32_e32 v18, v20, v15
	s_delay_alu instid0(VALU_DEP_1) | instskip(NEXT) | instid1(VALU_DEP_1)
	v_fma_f32 v7, -v7, v18, v19
	v_div_fmas_f32 v7, v7, v15, v18
	s_delay_alu instid0(VALU_DEP_1) | instskip(NEXT) | instid1(VALU_DEP_1)
	v_div_fixup_f32 v7, v7, v17, v16
	v_fmac_f32_e32 v17, v16, v7
	s_delay_alu instid0(VALU_DEP_1) | instskip(SKIP_1) | instid1(VALU_DEP_2)
	v_div_scale_f32 v15, null, v17, v17, 1.0
	v_div_scale_f32 v19, vcc_lo, 1.0, v17, 1.0
	v_rcp_f32_e32 v16, v15
	v_nop
	s_delay_alu instid0(TRANS32_DEP_1) | instskip(NEXT) | instid1(VALU_DEP_1)
	v_fma_f32 v18, -v15, v16, 1.0
	v_fmac_f32_e32 v16, v18, v16
	s_delay_alu instid0(VALU_DEP_1) | instskip(NEXT) | instid1(VALU_DEP_1)
	v_mul_f32_e32 v18, v19, v16
	v_fma_f32 v20, -v15, v18, v19
	s_delay_alu instid0(VALU_DEP_1) | instskip(NEXT) | instid1(VALU_DEP_1)
	v_fmac_f32_e32 v18, v20, v16
	v_fma_f32 v15, -v15, v18, v19
	s_delay_alu instid0(VALU_DEP_1) | instskip(NEXT) | instid1(VALU_DEP_1)
	v_div_fmas_f32 v15, v15, v16, v18
	v_div_fixup_f32 v15, v15, v17, 1.0
                                        ; implicit-def: $vgpr16_vgpr17
	s_delay_alu instid0(VALU_DEP_1)
	v_mul_f32_e32 v18, v7, v15
	v_xor_b32_e32 v19, 0x80000000, v15
.LBB183_18:                             ;   in Loop: Header=BB183_10 Depth=2
	s_and_not1_saveexec_b32 s3, s3
	s_cbranch_execz .LBB183_8
; %bb.19:                               ;   in Loop: Header=BB183_10 Depth=2
	v_div_scale_f32 v7, null, v16, v16, v17
	v_div_scale_f32 v19, vcc_lo, v17, v16, v17
	s_delay_alu instid0(VALU_DEP_2) | instskip(SKIP_1) | instid1(TRANS32_DEP_1)
	v_rcp_f32_e32 v15, v7
	v_nop
	v_fma_f32 v18, -v7, v15, 1.0
	s_delay_alu instid0(VALU_DEP_1) | instskip(NEXT) | instid1(VALU_DEP_1)
	v_fmac_f32_e32 v15, v18, v15
	v_mul_f32_e32 v18, v19, v15
	s_delay_alu instid0(VALU_DEP_1) | instskip(NEXT) | instid1(VALU_DEP_1)
	v_fma_f32 v20, -v7, v18, v19
	v_fmac_f32_e32 v18, v20, v15
	s_delay_alu instid0(VALU_DEP_1) | instskip(NEXT) | instid1(VALU_DEP_1)
	v_fma_f32 v7, -v7, v18, v19
	v_div_fmas_f32 v7, v7, v15, v18
	s_delay_alu instid0(VALU_DEP_1) | instskip(NEXT) | instid1(VALU_DEP_1)
	v_div_fixup_f32 v7, v7, v16, v17
	v_fmac_f32_e32 v16, v17, v7
	s_delay_alu instid0(VALU_DEP_1) | instskip(NEXT) | instid1(VALU_DEP_1)
	v_div_scale_f32 v15, null, v16, v16, 1.0
	v_rcp_f32_e32 v17, v15
	v_nop
	s_delay_alu instid0(TRANS32_DEP_1) | instskip(NEXT) | instid1(VALU_DEP_1)
	v_fma_f32 v18, -v15, v17, 1.0
	v_fmac_f32_e32 v17, v18, v17
	v_div_scale_f32 v18, vcc_lo, 1.0, v16, 1.0
	s_delay_alu instid0(VALU_DEP_1) | instskip(NEXT) | instid1(VALU_DEP_1)
	v_mul_f32_e32 v19, v18, v17
	v_fma_f32 v20, -v15, v19, v18
	s_delay_alu instid0(VALU_DEP_1) | instskip(NEXT) | instid1(VALU_DEP_1)
	v_fmac_f32_e32 v19, v20, v17
	v_fma_f32 v15, -v15, v19, v18
	s_delay_alu instid0(VALU_DEP_1) | instskip(NEXT) | instid1(VALU_DEP_1)
	v_div_fmas_f32 v15, v15, v17, v19
	v_div_fixup_f32 v18, v15, v16, 1.0
	s_delay_alu instid0(VALU_DEP_1)
	v_mul_f32_e64 v19, v7, -v18
	s_branch .LBB183_8
.LBB183_20:                             ;   in Loop: Header=BB183_5 Depth=1
	s_mov_b64 s[22:23], 1
	s_mov_b64 s[34:35], s[8:9]
	s_and_saveexec_b32 s46, s43
	s_cbranch_execz .LBB183_4
	s_branch .LBB183_22
.LBB183_21:                             ;   in Loop: Header=BB183_5 Depth=1
	s_load_b32 s2, s[14:15], 0xc
	s_mov_b32 s23, s27
	s_mov_b64 s[34:35], 1
	s_wait_kmcnt 0x0
	s_and_b32 s22, s2, 0xffff
	s_mov_b64 s[2:3], s[16:17]
	s_and_saveexec_b32 s46, s43
	s_cbranch_execz .LBB183_4
.LBB183_22:                             ;   in Loop: Header=BB183_5 Depth=1
	s_mul_u64 s[36:37], s[18:19], s[26:27]
	v_mov_b64_e32 v[14:15], s[28:29]
	v_lshl_add_u64 v[10:11], s[36:37], 3, v[8:9]
	v_mov_b64_e32 v[16:17], s[6:7]
	s_and_not1_b32 vcc_lo, exec_lo, s44
	s_mov_b32 s36, -1
	global_load_b64 v[12:13], v[10:11], off
	s_wait_loadcnt 0x0
	v_pk_mul_f32 v[14:15], v[14:15], v[12:13] op_sel:[0,1]
	v_pk_mul_f32 v[20:21], v[16:17], v[12:13] op_sel_hi:[1,0]
	s_delay_alu instid0(VALU_DEP_2) | instskip(NEXT) | instid1(VALU_DEP_2)
	v_pk_fma_f32 v[18:19], v[16:17], v[12:13], v[14:15] op_sel_hi:[1,0,1]
	v_sub_f32_e32 v18, v20, v14
                                        ; implicit-def: $vgpr12_vgpr13
	s_cbranch_vccnz .LBB183_24
; %bb.23:                               ;   in Loop: Header=BB183_5 Depth=1
	s_delay_alu instid0(VALU_DEP_1)
	v_mov_b64_e32 v[12:13], v[18:19]
	s_mov_b32 s36, 0
.LBB183_24:                             ;   in Loop: Header=BB183_5 Depth=1
	s_delay_alu instid0(SALU_CYCLE_1)
	s_and_not1_b32 vcc_lo, exec_lo, s36
	s_cbranch_vccnz .LBB183_43
; %bb.25:                               ;   in Loop: Header=BB183_5 Depth=1
	s_add_nc_u64 s[36:37], s[22:23], s[34:35]
	s_mov_b64 s[38:39], s[30:31]
	v_mul_u64_e32 v[12:13], s[36:37], v[0:1]
	s_mul_u64 s[36:37], s[12:13], s[22:23]
	s_delay_alu instid0(SALU_CYCLE_1) | instskip(NEXT) | instid1(SALU_CYCLE_1)
	s_add_nc_u64 s[36:37], s[2:3], s[36:37]
	v_mad_nc_u64_u32 v[14:15], v6, s34, s[36:37]
	s_lshl_b32 s36, s22, 3
	s_mov_b32 s37, s27
	s_delay_alu instid0(SALU_CYCLE_1) | instskip(NEXT) | instid1(VALU_DEP_1)
	s_sub_nc_u64 s[36:37], 0, s[36:37]
	v_mad_u32 v15, v6, s35, v15
	s_delay_alu instid0(VALU_DEP_1) | instskip(NEXT) | instid1(VALU_DEP_4)
	v_add_nc_u64_e32 v[14:15], 4, v[14:15]
	v_lshl_add_u64 v[16:17], v[12:13], 3, s[2:3]
	s_branch .LBB183_28
.LBB183_26:                             ;   in Loop: Header=BB183_28 Depth=2
	ds_load_b64 v[26:27], v24
	s_wait_dscnt 0x0
	v_pk_mul_f32 v[20:21], v[20:21], v[26:27] op_sel:[0,1] op_sel_hi:[0,0]
	s_delay_alu instid0(VALU_DEP_1) | instskip(SKIP_1) | instid1(VALU_DEP_2)
	v_pk_fma_f32 v[28:29], v[26:27], v[18:19], v[20:21] op_sel_hi:[1,0,1]
	v_pk_fma_f32 v[18:19], v[26:27], v[18:19], v[20:21] neg_lo:[0,0,1] neg_hi:[0,0,1]
	v_mov_b32_e32 v19, v29
	s_delay_alu instid0(VALU_DEP_1) | instskip(NEXT) | instid1(VALU_DEP_1)
	v_pk_add_f32 v[18:19], v[12:13], v[18:19] neg_lo:[0,1] neg_hi:[0,1]
	v_mov_b64_e32 v[12:13], v[18:19]
.LBB183_27:                             ;   in Loop: Header=BB183_28 Depth=2
	s_wait_xcnt 0x0
	s_or_b32 exec_lo, exec_lo, s47
	s_add_nc_u64 s[48:49], s[38:39], 1
	v_add_nc_u64_e32 v[14:15], s[36:37], v[14:15]
	v_cmp_lt_u64_e64 s47, s[48:49], 3
	s_add_nc_u64 s[38:39], s[38:39], -1
	s_and_b32 vcc_lo, exec_lo, s47
	s_cbranch_vccnz .LBB183_43
.LBB183_28:                             ;   Parent Loop BB183_5 Depth=1
                                        ; =>  This Inner Loop Header: Depth=2
	v_mov_b64_e32 v[12:13], v[18:19]
	s_mov_b32 s47, exec_lo
	s_wait_dscnt 0x0
	s_barrier_signal -1
	s_barrier_wait -1
	s_wait_xcnt 0x0
	v_cmpx_eq_u64_e64 s[38:39], v[0:1]
	s_cbranch_execz .LBB183_38
; %bb.29:                               ;   in Loop: Header=BB183_28 Depth=2
	flat_load_b64 v[12:13], v[16:17]
	s_and_b32 vcc_lo, exec_lo, s33
	s_mov_b32 s48, -1
                                        ; implicit-def: $vgpr20_vgpr21
	s_cbranch_vccz .LBB183_35
; %bb.30:                               ;   in Loop: Header=BB183_28 Depth=2
	s_wait_loadcnt_dscnt 0x0
	v_cmp_ngt_f32_e64 s48, |v12|, |v13|
                                        ; implicit-def: $vgpr20_vgpr21
	s_wait_xcnt 0x0
	s_and_saveexec_b32 s49, s48
	s_delay_alu instid0(SALU_CYCLE_1)
	s_xor_b32 s48, exec_lo, s49
	s_cbranch_execz .LBB183_32
; %bb.31:                               ;   in Loop: Header=BB183_28 Depth=2
	v_div_scale_f32 v7, null, v13, v13, v12
	v_div_scale_f32 v26, vcc_lo, v12, v13, v12
	s_delay_alu instid0(VALU_DEP_2) | instskip(SKIP_1) | instid1(TRANS32_DEP_1)
	v_rcp_f32_e32 v20, v7
	v_nop
	v_fma_f32 v21, -v7, v20, 1.0
	s_delay_alu instid0(VALU_DEP_1) | instskip(NEXT) | instid1(VALU_DEP_1)
	v_fmac_f32_e32 v20, v21, v20
	v_mul_f32_e32 v21, v26, v20
	s_delay_alu instid0(VALU_DEP_1) | instskip(NEXT) | instid1(VALU_DEP_1)
	v_fma_f32 v27, -v7, v21, v26
	v_fmac_f32_e32 v21, v27, v20
	s_delay_alu instid0(VALU_DEP_1) | instskip(NEXT) | instid1(VALU_DEP_1)
	v_fma_f32 v7, -v7, v21, v26
	v_div_fmas_f32 v7, v7, v20, v21
	s_delay_alu instid0(VALU_DEP_1) | instskip(NEXT) | instid1(VALU_DEP_1)
	v_div_fixup_f32 v7, v7, v13, v12
	v_fma_f32 v20, v12, v7, v13
	s_delay_alu instid0(VALU_DEP_1) | instskip(SKIP_1) | instid1(VALU_DEP_2)
	v_div_scale_f32 v21, null, v20, v20, 1.0
	v_div_scale_f32 v28, vcc_lo, 1.0, v20, 1.0
	v_rcp_f32_e32 v26, v21
	v_nop
	s_delay_alu instid0(TRANS32_DEP_1) | instskip(NEXT) | instid1(VALU_DEP_1)
	v_fma_f32 v27, -v21, v26, 1.0
	v_fmac_f32_e32 v26, v27, v26
	s_delay_alu instid0(VALU_DEP_1) | instskip(NEXT) | instid1(VALU_DEP_1)
	v_mul_f32_e32 v27, v28, v26
	v_fma_f32 v29, -v21, v27, v28
	s_delay_alu instid0(VALU_DEP_1) | instskip(NEXT) | instid1(VALU_DEP_1)
	v_fmac_f32_e32 v27, v29, v26
	v_fma_f32 v21, -v21, v27, v28
	s_delay_alu instid0(VALU_DEP_1) | instskip(NEXT) | instid1(VALU_DEP_1)
	v_div_fmas_f32 v21, v21, v26, v27
	v_div_fixup_f32 v21, v21, v20, 1.0
	s_delay_alu instid0(VALU_DEP_1)
	v_mul_f32_e32 v20, v7, v21
	v_xor_b32_e32 v21, 0x80000000, v21
.LBB183_32:                             ;   in Loop: Header=BB183_28 Depth=2
	s_and_not1_saveexec_b32 s48, s48
	s_cbranch_execz .LBB183_34
; %bb.33:                               ;   in Loop: Header=BB183_28 Depth=2
	v_div_scale_f32 v7, null, v12, v12, v13
	v_div_scale_f32 v26, vcc_lo, v13, v12, v13
	s_delay_alu instid0(VALU_DEP_2) | instskip(SKIP_1) | instid1(TRANS32_DEP_1)
	v_rcp_f32_e32 v20, v7
	v_nop
	v_fma_f32 v21, -v7, v20, 1.0
	s_delay_alu instid0(VALU_DEP_1) | instskip(NEXT) | instid1(VALU_DEP_1)
	v_fmac_f32_e32 v20, v21, v20
	v_mul_f32_e32 v21, v26, v20
	s_delay_alu instid0(VALU_DEP_1) | instskip(NEXT) | instid1(VALU_DEP_1)
	v_fma_f32 v27, -v7, v21, v26
	v_fmac_f32_e32 v21, v27, v20
	s_delay_alu instid0(VALU_DEP_1) | instskip(NEXT) | instid1(VALU_DEP_1)
	v_fma_f32 v7, -v7, v21, v26
	v_div_fmas_f32 v7, v7, v20, v21
	s_delay_alu instid0(VALU_DEP_1) | instskip(NEXT) | instid1(VALU_DEP_1)
	v_div_fixup_f32 v7, v7, v12, v13
	v_fma_f32 v20, v13, v7, v12
	s_delay_alu instid0(VALU_DEP_1) | instskip(NEXT) | instid1(VALU_DEP_1)
	v_div_scale_f32 v21, null, v20, v20, 1.0
	v_rcp_f32_e32 v26, v21
	v_nop
	s_delay_alu instid0(TRANS32_DEP_1) | instskip(NEXT) | instid1(VALU_DEP_1)
	v_fma_f32 v27, -v21, v26, 1.0
	v_fmac_f32_e32 v26, v27, v26
	v_div_scale_f32 v27, vcc_lo, 1.0, v20, 1.0
	s_delay_alu instid0(VALU_DEP_1) | instskip(NEXT) | instid1(VALU_DEP_1)
	v_mul_f32_e32 v28, v27, v26
	v_fma_f32 v29, -v21, v28, v27
	s_delay_alu instid0(VALU_DEP_1) | instskip(NEXT) | instid1(VALU_DEP_1)
	v_fmac_f32_e32 v28, v29, v26
	v_fma_f32 v21, -v21, v28, v27
	s_delay_alu instid0(VALU_DEP_1) | instskip(NEXT) | instid1(VALU_DEP_1)
	v_div_fmas_f32 v21, v21, v26, v28
	v_div_fixup_f32 v20, v21, v20, 1.0
	s_delay_alu instid0(VALU_DEP_1)
	v_mul_f32_e64 v21, v7, -v20
.LBB183_34:                             ;   in Loop: Header=BB183_28 Depth=2
	s_or_b32 exec_lo, exec_lo, s48
	s_mov_b32 s48, 0
.LBB183_35:                             ;   in Loop: Header=BB183_28 Depth=2
	s_delay_alu instid0(SALU_CYCLE_1)
	s_and_not1_b32 vcc_lo, exec_lo, s48
	s_cbranch_vccnz .LBB183_37
; %bb.36:                               ;   in Loop: Header=BB183_28 Depth=2
	s_wait_loadcnt_dscnt 0x0
	v_mov_b64_e32 v[20:21], v[12:13]
.LBB183_37:                             ;   in Loop: Header=BB183_28 Depth=2
	s_delay_alu instid0(VALU_DEP_1) | instskip(SKIP_1) | instid1(VALU_DEP_1)
	v_pk_mul_f32 v[26:27], v[18:19], v[20:21] op_sel:[1,1] op_sel_hi:[0,1]
	s_wait_loadcnt_dscnt 0x0
	v_pk_fma_f32 v[12:13], v[18:19], v[20:21], v[26:27] op_sel_hi:[1,0,1] neg_lo:[0,0,1] neg_hi:[0,0,1]
	v_pk_fma_f32 v[18:19], v[18:19], v[20:21], v[26:27] op_sel_hi:[1,0,1]
	s_delay_alu instid0(VALU_DEP_1)
	v_dual_mov_b32 v18, v12 :: v_dual_mov_b32 v13, v19
	ds_store_b64 v24, v[12:13]
.LBB183_38:                             ;   in Loop: Header=BB183_28 Depth=2
	s_wait_xcnt 0x0
	s_or_b32 exec_lo, exec_lo, s47
	s_delay_alu instid0(SALU_CYCLE_1)
	s_mov_b32 s47, exec_lo
	s_wait_dscnt 0x0
	s_barrier_signal -1
	s_barrier_wait -1
	v_cmpx_gt_i64_e64 s[38:39], v[0:1]
	s_cbranch_execz .LBB183_27
; %bb.39:                               ;   in Loop: Header=BB183_28 Depth=2
	s_and_b32 vcc_lo, exec_lo, s40
	s_mov_b32 s48, -1
                                        ; implicit-def: $vgpr18
                                        ; implicit-def: $vgpr20
	s_cbranch_vccz .LBB183_41
; %bb.40:                               ;   in Loop: Header=BB183_28 Depth=2
	flat_load_b64 v[18:19], v[14:15] offset:-4
	s_mov_b32 s48, 0
	s_wait_loadcnt_dscnt 0x0
	v_mov_b32_e32 v20, v19
.LBB183_41:                             ;   in Loop: Header=BB183_28 Depth=2
	s_and_not1_b32 vcc_lo, exec_lo, s48
	s_cbranch_vccnz .LBB183_26
; %bb.42:                               ;   in Loop: Header=BB183_28 Depth=2
	flat_load_b64 v[18:19], v[14:15] offset:-4
	s_wait_loadcnt_dscnt 0x0
	v_xor_b32_e32 v20, 0x80000000, v19
	s_branch .LBB183_26
.LBB183_43:                             ;   in Loop: Header=BB183_5 Depth=1
	s_wait_xcnt 0x0
	s_and_saveexec_b32 s36, s0
	s_cbranch_execz .LBB183_3
; %bb.44:                               ;   in Loop: Header=BB183_5 Depth=1
	s_add_nc_u64 s[22:23], s[22:23], s[34:35]
	s_and_b32 vcc_lo, exec_lo, s33
	v_mul_u64_e32 v[14:15], s[22:23], v[0:1]
                                        ; implicit-def: $vgpr16_vgpr17
	s_delay_alu instid0(VALU_DEP_1)
	v_lshl_add_u64 v[14:15], v[14:15], 3, s[2:3]
	s_mov_b32 s2, -1
	flat_load_b64 v[14:15], v[14:15]
	s_cbranch_vccz .LBB183_50
; %bb.45:                               ;   in Loop: Header=BB183_5 Depth=1
	s_wait_loadcnt_dscnt 0x0
	v_cmp_ngt_f32_e64 s2, |v14|, |v15|
                                        ; implicit-def: $vgpr16_vgpr17
	s_wait_xcnt 0x0
	s_and_saveexec_b32 s3, s2
	s_delay_alu instid0(SALU_CYCLE_1)
	s_xor_b32 s2, exec_lo, s3
	s_cbranch_execz .LBB183_47
; %bb.46:                               ;   in Loop: Header=BB183_5 Depth=1
	v_div_scale_f32 v7, null, v15, v15, v14
	v_div_scale_f32 v18, vcc_lo, v14, v15, v14
	s_delay_alu instid0(VALU_DEP_2) | instskip(SKIP_1) | instid1(TRANS32_DEP_1)
	v_rcp_f32_e32 v16, v7
	v_nop
	v_fma_f32 v17, -v7, v16, 1.0
	s_delay_alu instid0(VALU_DEP_1) | instskip(NEXT) | instid1(VALU_DEP_1)
	v_fmac_f32_e32 v16, v17, v16
	v_mul_f32_e32 v17, v18, v16
	s_delay_alu instid0(VALU_DEP_1) | instskip(NEXT) | instid1(VALU_DEP_1)
	v_fma_f32 v19, -v7, v17, v18
	v_fmac_f32_e32 v17, v19, v16
	s_delay_alu instid0(VALU_DEP_1) | instskip(NEXT) | instid1(VALU_DEP_1)
	v_fma_f32 v7, -v7, v17, v18
	v_div_fmas_f32 v7, v7, v16, v17
	s_delay_alu instid0(VALU_DEP_1) | instskip(NEXT) | instid1(VALU_DEP_1)
	v_div_fixup_f32 v7, v7, v15, v14
	v_fma_f32 v16, v14, v7, v15
	s_delay_alu instid0(VALU_DEP_1) | instskip(SKIP_1) | instid1(VALU_DEP_2)
	v_div_scale_f32 v17, null, v16, v16, 1.0
	v_div_scale_f32 v20, vcc_lo, 1.0, v16, 1.0
	v_rcp_f32_e32 v18, v17
	v_nop
	s_delay_alu instid0(TRANS32_DEP_1) | instskip(NEXT) | instid1(VALU_DEP_1)
	v_fma_f32 v19, -v17, v18, 1.0
	v_fmac_f32_e32 v18, v19, v18
	s_delay_alu instid0(VALU_DEP_1) | instskip(NEXT) | instid1(VALU_DEP_1)
	v_mul_f32_e32 v19, v20, v18
	v_fma_f32 v21, -v17, v19, v20
	s_delay_alu instid0(VALU_DEP_1) | instskip(NEXT) | instid1(VALU_DEP_1)
	v_fmac_f32_e32 v19, v21, v18
	v_fma_f32 v17, -v17, v19, v20
	s_delay_alu instid0(VALU_DEP_1) | instskip(NEXT) | instid1(VALU_DEP_1)
	v_div_fmas_f32 v17, v17, v18, v19
	v_div_fixup_f32 v17, v17, v16, 1.0
	s_delay_alu instid0(VALU_DEP_1)
	v_mul_f32_e32 v16, v7, v17
	v_xor_b32_e32 v17, 0x80000000, v17
.LBB183_47:                             ;   in Loop: Header=BB183_5 Depth=1
	s_and_not1_saveexec_b32 s2, s2
	s_cbranch_execz .LBB183_49
; %bb.48:                               ;   in Loop: Header=BB183_5 Depth=1
	v_div_scale_f32 v7, null, v14, v14, v15
	v_div_scale_f32 v18, vcc_lo, v15, v14, v15
	s_delay_alu instid0(VALU_DEP_2) | instskip(SKIP_1) | instid1(TRANS32_DEP_1)
	v_rcp_f32_e32 v16, v7
	v_nop
	v_fma_f32 v17, -v7, v16, 1.0
	s_delay_alu instid0(VALU_DEP_1) | instskip(NEXT) | instid1(VALU_DEP_1)
	v_fmac_f32_e32 v16, v17, v16
	v_mul_f32_e32 v17, v18, v16
	s_delay_alu instid0(VALU_DEP_1) | instskip(NEXT) | instid1(VALU_DEP_1)
	v_fma_f32 v19, -v7, v17, v18
	v_fmac_f32_e32 v17, v19, v16
	s_delay_alu instid0(VALU_DEP_1) | instskip(NEXT) | instid1(VALU_DEP_1)
	v_fma_f32 v7, -v7, v17, v18
	v_div_fmas_f32 v7, v7, v16, v17
	s_delay_alu instid0(VALU_DEP_1) | instskip(NEXT) | instid1(VALU_DEP_1)
	v_div_fixup_f32 v7, v7, v14, v15
	v_fma_f32 v16, v15, v7, v14
	s_delay_alu instid0(VALU_DEP_1) | instskip(NEXT) | instid1(VALU_DEP_1)
	v_div_scale_f32 v17, null, v16, v16, 1.0
	v_rcp_f32_e32 v18, v17
	v_nop
	s_delay_alu instid0(TRANS32_DEP_1) | instskip(NEXT) | instid1(VALU_DEP_1)
	v_fma_f32 v19, -v17, v18, 1.0
	v_fmac_f32_e32 v18, v19, v18
	v_div_scale_f32 v19, vcc_lo, 1.0, v16, 1.0
	s_delay_alu instid0(VALU_DEP_1) | instskip(NEXT) | instid1(VALU_DEP_1)
	v_mul_f32_e32 v20, v19, v18
	v_fma_f32 v21, -v17, v20, v19
	s_delay_alu instid0(VALU_DEP_1) | instskip(NEXT) | instid1(VALU_DEP_1)
	v_fmac_f32_e32 v20, v21, v18
	v_fma_f32 v17, -v17, v20, v19
	s_delay_alu instid0(VALU_DEP_1) | instskip(NEXT) | instid1(VALU_DEP_1)
	v_div_fmas_f32 v17, v17, v18, v20
	v_div_fixup_f32 v16, v17, v16, 1.0
	s_delay_alu instid0(VALU_DEP_1)
	v_mul_f32_e64 v17, v7, -v16
.LBB183_49:                             ;   in Loop: Header=BB183_5 Depth=1
	s_or_b32 exec_lo, exec_lo, s2
	s_mov_b32 s2, 0
.LBB183_50:                             ;   in Loop: Header=BB183_5 Depth=1
	s_delay_alu instid0(SALU_CYCLE_1)
	s_and_not1_b32 vcc_lo, exec_lo, s2
	s_cbranch_vccnz .LBB183_2
; %bb.51:                               ;   in Loop: Header=BB183_5 Depth=1
	s_wait_loadcnt_dscnt 0x0
	v_mov_b64_e32 v[16:17], v[14:15]
	s_branch .LBB183_2
.LBB183_52:
	s_endpgm
	.section	.rodata,"a",@progbits
	.p2align	6, 0x0
	.amdhsa_kernel _ZL40rocblas_trsm_block_backward_substitutionI19rocblas_complex_numIfES1_PKS1_PS1_Lb0ELb1ELb0EEv18rocblas_operation_llT0_T1_lllT2_lllib
		.amdhsa_group_segment_fixed_size 0
		.amdhsa_private_segment_fixed_size 0
		.amdhsa_kernarg_size 360
		.amdhsa_user_sgpr_count 2
		.amdhsa_user_sgpr_dispatch_ptr 0
		.amdhsa_user_sgpr_queue_ptr 0
		.amdhsa_user_sgpr_kernarg_segment_ptr 1
		.amdhsa_user_sgpr_dispatch_id 0
		.amdhsa_user_sgpr_kernarg_preload_length 0
		.amdhsa_user_sgpr_kernarg_preload_offset 0
		.amdhsa_user_sgpr_private_segment_size 0
		.amdhsa_wavefront_size32 1
		.amdhsa_uses_dynamic_stack 0
		.amdhsa_enable_private_segment 0
		.amdhsa_system_sgpr_workgroup_id_x 1
		.amdhsa_system_sgpr_workgroup_id_y 1
		.amdhsa_system_sgpr_workgroup_id_z 1
		.amdhsa_system_sgpr_workgroup_info 0
		.amdhsa_system_vgpr_workitem_id 1
		.amdhsa_next_free_vgpr 30
		.amdhsa_next_free_sgpr 50
		.amdhsa_named_barrier_count 0
		.amdhsa_reserve_vcc 1
		.amdhsa_float_round_mode_32 0
		.amdhsa_float_round_mode_16_64 0
		.amdhsa_float_denorm_mode_32 3
		.amdhsa_float_denorm_mode_16_64 3
		.amdhsa_fp16_overflow 0
		.amdhsa_memory_ordered 1
		.amdhsa_forward_progress 1
		.amdhsa_inst_pref_size 23
		.amdhsa_round_robin_scheduling 0
		.amdhsa_exception_fp_ieee_invalid_op 0
		.amdhsa_exception_fp_denorm_src 0
		.amdhsa_exception_fp_ieee_div_zero 0
		.amdhsa_exception_fp_ieee_overflow 0
		.amdhsa_exception_fp_ieee_underflow 0
		.amdhsa_exception_fp_ieee_inexact 0
		.amdhsa_exception_int_div_zero 0
	.end_amdhsa_kernel
	.section	.text._ZL40rocblas_trsm_block_backward_substitutionI19rocblas_complex_numIfES1_PKS1_PS1_Lb0ELb1ELb0EEv18rocblas_operation_llT0_T1_lllT2_lllib,"axG",@progbits,_ZL40rocblas_trsm_block_backward_substitutionI19rocblas_complex_numIfES1_PKS1_PS1_Lb0ELb1ELb0EEv18rocblas_operation_llT0_T1_lllT2_lllib,comdat
.Lfunc_end183:
	.size	_ZL40rocblas_trsm_block_backward_substitutionI19rocblas_complex_numIfES1_PKS1_PS1_Lb0ELb1ELb0EEv18rocblas_operation_llT0_T1_lllT2_lllib, .Lfunc_end183-_ZL40rocblas_trsm_block_backward_substitutionI19rocblas_complex_numIfES1_PKS1_PS1_Lb0ELb1ELb0EEv18rocblas_operation_llT0_T1_lllT2_lllib
                                        ; -- End function
	.set _ZL40rocblas_trsm_block_backward_substitutionI19rocblas_complex_numIfES1_PKS1_PS1_Lb0ELb1ELb0EEv18rocblas_operation_llT0_T1_lllT2_lllib.num_vgpr, 30
	.set _ZL40rocblas_trsm_block_backward_substitutionI19rocblas_complex_numIfES1_PKS1_PS1_Lb0ELb1ELb0EEv18rocblas_operation_llT0_T1_lllT2_lllib.num_agpr, 0
	.set _ZL40rocblas_trsm_block_backward_substitutionI19rocblas_complex_numIfES1_PKS1_PS1_Lb0ELb1ELb0EEv18rocblas_operation_llT0_T1_lllT2_lllib.numbered_sgpr, 50
	.set _ZL40rocblas_trsm_block_backward_substitutionI19rocblas_complex_numIfES1_PKS1_PS1_Lb0ELb1ELb0EEv18rocblas_operation_llT0_T1_lllT2_lllib.num_named_barrier, 0
	.set _ZL40rocblas_trsm_block_backward_substitutionI19rocblas_complex_numIfES1_PKS1_PS1_Lb0ELb1ELb0EEv18rocblas_operation_llT0_T1_lllT2_lllib.private_seg_size, 0
	.set _ZL40rocblas_trsm_block_backward_substitutionI19rocblas_complex_numIfES1_PKS1_PS1_Lb0ELb1ELb0EEv18rocblas_operation_llT0_T1_lllT2_lllib.uses_vcc, 1
	.set _ZL40rocblas_trsm_block_backward_substitutionI19rocblas_complex_numIfES1_PKS1_PS1_Lb0ELb1ELb0EEv18rocblas_operation_llT0_T1_lllT2_lllib.uses_flat_scratch, 0
	.set _ZL40rocblas_trsm_block_backward_substitutionI19rocblas_complex_numIfES1_PKS1_PS1_Lb0ELb1ELb0EEv18rocblas_operation_llT0_T1_lllT2_lllib.has_dyn_sized_stack, 0
	.set _ZL40rocblas_trsm_block_backward_substitutionI19rocblas_complex_numIfES1_PKS1_PS1_Lb0ELb1ELb0EEv18rocblas_operation_llT0_T1_lllT2_lllib.has_recursion, 0
	.set _ZL40rocblas_trsm_block_backward_substitutionI19rocblas_complex_numIfES1_PKS1_PS1_Lb0ELb1ELb0EEv18rocblas_operation_llT0_T1_lllT2_lllib.has_indirect_call, 0
	.section	.AMDGPU.csdata,"",@progbits
; Kernel info:
; codeLenInByte = 2900
; TotalNumSgprs: 52
; NumVgprs: 30
; ScratchSize: 0
; MemoryBound: 0
; FloatMode: 240
; IeeeMode: 1
; LDSByteSize: 0 bytes/workgroup (compile time only)
; SGPRBlocks: 0
; VGPRBlocks: 1
; NumSGPRsForWavesPerEU: 52
; NumVGPRsForWavesPerEU: 30
; NamedBarCnt: 0
; Occupancy: 16
; WaveLimiterHint : 0
; COMPUTE_PGM_RSRC2:SCRATCH_EN: 0
; COMPUTE_PGM_RSRC2:USER_SGPR: 2
; COMPUTE_PGM_RSRC2:TRAP_HANDLER: 0
; COMPUTE_PGM_RSRC2:TGID_X_EN: 1
; COMPUTE_PGM_RSRC2:TGID_Y_EN: 1
; COMPUTE_PGM_RSRC2:TGID_Z_EN: 1
; COMPUTE_PGM_RSRC2:TIDIG_COMP_CNT: 1
	.section	.text._ZL39rocblas_trsm_block_forward_substitutionI19rocblas_complex_numIfES1_PKS1_PS1_Lb0ELb1ELb1EEv18rocblas_operation_llT0_T1_lllT2_lllib,"axG",@progbits,_ZL39rocblas_trsm_block_forward_substitutionI19rocblas_complex_numIfES1_PKS1_PS1_Lb0ELb1ELb1EEv18rocblas_operation_llT0_T1_lllT2_lllib,comdat
	.globl	_ZL39rocblas_trsm_block_forward_substitutionI19rocblas_complex_numIfES1_PKS1_PS1_Lb0ELb1ELb1EEv18rocblas_operation_llT0_T1_lllT2_lllib ; -- Begin function _ZL39rocblas_trsm_block_forward_substitutionI19rocblas_complex_numIfES1_PKS1_PS1_Lb0ELb1ELb1EEv18rocblas_operation_llT0_T1_lllT2_lllib
	.p2align	8
	.type	_ZL39rocblas_trsm_block_forward_substitutionI19rocblas_complex_numIfES1_PKS1_PS1_Lb0ELb1ELb1EEv18rocblas_operation_llT0_T1_lllT2_lllib,@function
_ZL39rocblas_trsm_block_forward_substitutionI19rocblas_complex_numIfES1_PKS1_PS1_Lb0ELb1ELb1EEv18rocblas_operation_llT0_T1_lllT2_lllib: ; @_ZL39rocblas_trsm_block_forward_substitutionI19rocblas_complex_numIfES1_PKS1_PS1_Lb0ELb1ELb1EEv18rocblas_operation_llT0_T1_lllT2_lllib
; %bb.0:
	s_load_b64 s[2:3], s[0:1], 0x60
	s_bfe_u32 s4, ttmp6, 0x40014
	s_lshr_b32 s5, ttmp7, 16
	s_add_co_i32 s4, s4, 1
	s_bfe_u32 s6, ttmp6, 0x40008
	s_mul_i32 s4, s5, s4
	s_getreg_b32 s26, hwreg(HW_REG_IB_STS2, 6, 4)
	s_add_co_i32 s6, s6, s4
	s_cmp_eq_u32 s26, 0
	s_mov_b32 s25, 0
	s_cselect_b32 s24, s5, s6
	s_wait_kmcnt 0x0
	s_cmp_ge_u32 s24, s2
	s_cbranch_scc1 .LBB184_25
; %bb.1:
	s_clause 0x1
	s_load_b512 s[4:19], s[0:1], 0x20
	s_load_b32 s27, s[0:1], 0x0
	v_and_b32_e32 v2, 0x3ff, v0
	v_mov_b32_e32 v1, 0
	s_clause 0x1
	s_load_b128 s[20:23], s[0:1], 0x8
	s_load_u16 s30, s[0:1], 0x76
	s_bitcmp1_b32 s3, 0
	v_bfe_u32 v17, v0, 10, 10
	v_dual_mov_b32 v3, v1 :: v_dual_lshlrev_b32 v8, 3, v2
	v_mov_b32_e32 v5, v1
	s_cselect_b32 s3, -1, 0
	s_delay_alu instid0(VALU_DEP_3)
	v_lshl_add_u32 v18, v17, 3, 0
	s_mov_b64 s[28:29], src_shared_base
	s_wait_kmcnt 0x0
	v_mul_u64_e32 v[6:7], s[16:17], v[2:3]
	s_cmp_lg_u32 s27, 0x71
	s_load_b64 s[16:17], s[0:1], 0x18
	s_cselect_b32 s31, -1, 0
	s_lshl_b64 s[34:35], s[6:7], 3
	s_bfe_u32 s6, ttmp6, 0x40010
	s_and_b32 s27, ttmp7, 0xffff
	s_add_co_i32 s6, s6, 1
	s_bfe_u32 s7, ttmp6, 0x40004
	s_mul_i32 s6, s27, s6
	s_lshl_b64 s[36:37], s[14:15], 3
	s_add_co_i32 s14, s7, s6
	s_cmp_eq_u32 s26, 0
	s_add_nc_u64 s[6:7], s[0:1], 0x68
	s_wait_xcnt 0x0
	s_cselect_b32 s0, s27, s14
	s_add_nc_u64 s[12:13], s[12:13], s[36:37]
	v_mad_u32 v0, s0, s30, v17
	v_cmp_gt_i64_e64 s0, s[20:21], v[2:3]
	s_lshl_b32 s14, s30, 3
	v_cmp_gt_i64_e64 s1, s[20:21], 0
	v_cmp_lt_i64_e64 s33, s[20:21], 2
	s_add_co_i32 s14, s14, 0
	s_delay_alu instid0(SALU_CYCLE_1)
	v_dual_add_nc_u32 v19, s14, v8 :: v_dual_bitop2_b32 v4, 4, v8 bitop3:0x54
	s_mov_b32 s15, s29
	s_add_nc_u64 s[4:5], s[4:5], s[34:35]
	v_cmp_gt_i64_e32 vcc_lo, s[22:23], v[0:1]
	s_add_nc_u64 s[22:23], s[20:21], -1
	v_lshl_add_u64 v[6:7], v[6:7], 3, s[12:13]
	s_wait_kmcnt 0x0
	s_mov_b32 s12, s17
	s_and_b32 s34, vcc_lo, s0
	s_mov_b32 s13, s16
	v_lshl_add_u64 v[6:7], v[0:1], 3, v[6:7]
	v_lshlrev_b32_e32 v0, 3, v2
	s_branch .LBB184_4
.LBB184_2:                              ;   in Loop: Header=BB184_4 Depth=1
	global_store_b64 v[8:9], v[10:11], off
.LBB184_3:                              ;   in Loop: Header=BB184_4 Depth=1
	s_wait_xcnt 0x0
	s_or_b32 exec_lo, exec_lo, s35
	s_add_co_i32 s24, s24, 0x10000
	s_delay_alu instid0(SALU_CYCLE_1)
	s_cmp_lt_u32 s24, s2
	s_cbranch_scc0 .LBB184_25
.LBB184_4:                              ; =>This Loop Header: Depth=1
                                        ;     Child Loop BB184_9 Depth 2
                                        ;     Child Loop BB184_18 Depth 2
	s_mul_u64 s[26:27], s[10:11], s[24:25]
	s_and_not1_b32 vcc_lo, exec_lo, s3
	s_lshl_b64 s[26:27], s[26:27], 3
	s_delay_alu instid0(SALU_CYCLE_1)
	s_add_nc_u64 s[26:27], s[4:5], s[26:27]
	s_cbranch_vccz .LBB184_6
; %bb.5:                                ;   in Loop: Header=BB184_4 Depth=1
	s_and_saveexec_b32 s35, s34
	s_cbranch_execz .LBB184_3
	s_branch .LBB184_12
.LBB184_6:                              ;   in Loop: Header=BB184_4 Depth=1
	s_and_not1_b32 vcc_lo, exec_lo, s1
	s_cbranch_vccnz .LBB184_11
; %bb.7:                                ;   in Loop: Header=BB184_4 Depth=1
	v_add_nc_u64_e32 v[8:9], s[26:27], v[0:1]
	s_mov_b32 s26, 0
	s_branch .LBB184_9
.LBB184_8:                              ;   in Loop: Header=BB184_9 Depth=2
	s_wait_xcnt 0x0
	s_or_b32 exec_lo, exec_lo, s27
	s_add_co_i32 s26, s26, s30
	s_delay_alu instid0(SALU_CYCLE_1) | instskip(NEXT) | instid1(SALU_CYCLE_1)
	s_ashr_i32 s27, s26, 31
	v_cmp_le_i64_e64 s27, s[20:21], s[26:27]
	s_and_b32 vcc_lo, exec_lo, s27
	s_cbranch_vccnz .LBB184_11
.LBB184_9:                              ;   Parent Loop BB184_4 Depth=1
                                        ; =>  This Inner Loop Header: Depth=2
	v_add_nc_u32_e32 v10, s26, v17
	s_delay_alu instid0(VALU_DEP_1) | instskip(SKIP_1) | instid1(SALU_CYCLE_1)
	v_cmp_gt_i32_e32 vcc_lo, v2, v10
	s_and_b32 s28, s0, vcc_lo
	s_and_saveexec_b32 s27, s28
	s_cbranch_execz .LBB184_8
; %bb.10:                               ;   in Loop: Header=BB184_9 Depth=2
	v_ashrrev_i32_e32 v11, 31, v10
	s_load_b32 s28, s[6:7], 0xc
	s_delay_alu instid0(VALU_DEP_1) | instskip(SKIP_2) | instid1(SALU_CYCLE_1)
	v_mul_u64_e32 v[12:13], s[8:9], v[10:11]
	s_wait_kmcnt 0x0
	s_and_b32 s28, s28, 0xffff
	v_mul_lo_u32 v10, v10, s28
	s_delay_alu instid0(VALU_DEP_1) | instskip(NEXT) | instid1(VALU_DEP_3)
	v_lshl_add_u32 v10, v10, 3, v19
	v_lshl_add_u64 v[12:13], v[12:13], 3, v[8:9]
	global_load_b64 v[12:13], v[12:13], off
	s_wait_loadcnt 0x0
	ds_store_b64 v10, v[12:13]
	s_branch .LBB184_8
.LBB184_11:                             ;   in Loop: Header=BB184_4 Depth=1
	s_load_b32 s8, s[6:7], 0xc
	s_mov_b32 s9, s25
	s_mov_b64 s[26:27], s[14:15]
	s_wait_kmcnt 0x0
	s_and_b32 s8, s8, 0xffff
	s_and_saveexec_b32 s35, s34
	s_cbranch_execz .LBB184_3
.LBB184_12:                             ;   in Loop: Header=BB184_4 Depth=1
	s_mul_u64 s[28:29], s[18:19], s[24:25]
	v_mov_b64_e32 v[12:13], s[12:13]
	v_lshl_add_u64 v[8:9], s[28:29], 3, v[6:7]
	v_mov_b64_e32 v[14:15], s[16:17]
	s_and_not1_b32 vcc_lo, exec_lo, s33
	s_mov_b32 s28, -1
	global_load_b64 v[10:11], v[8:9], off
	s_wait_loadcnt 0x0
	v_pk_mul_f32 v[12:13], v[12:13], v[10:11] op_sel:[0,1]
	v_pk_mul_f32 v[20:21], v[14:15], v[10:11] op_sel_hi:[1,0]
	s_delay_alu instid0(VALU_DEP_2) | instskip(NEXT) | instid1(VALU_DEP_2)
	v_pk_fma_f32 v[10:11], v[14:15], v[10:11], v[12:13] op_sel_hi:[1,0,1]
	v_sub_f32_e32 v10, v20, v12
	s_cbranch_vccnz .LBB184_14
; %bb.13:                               ;   in Loop: Header=BB184_4 Depth=1
	s_mov_b32 s28, 0
.LBB184_14:                             ;   in Loop: Header=BB184_4 Depth=1
	s_delay_alu instid0(SALU_CYCLE_1)
	s_and_not1_b32 vcc_lo, exec_lo, s28
	s_cbranch_vccnz .LBB184_2
; %bb.15:                               ;   in Loop: Header=BB184_4 Depth=1
	v_add_nc_u64_e32 v[12:13], s[26:27], v[4:5]
	s_lshl_b64 s[26:27], s[8:9], 3
	s_mov_b64 s[28:29], 0
	s_branch .LBB184_18
.LBB184_16:                             ;   in Loop: Header=BB184_18 Depth=2
	ds_load_b64 v[20:21], v18
	s_wait_dscnt 0x0
	v_pk_mul_f32 v[22:23], v[16:17], v[20:21] op_sel:[0,1] op_sel_hi:[0,0]
	s_delay_alu instid0(VALU_DEP_1) | instskip(SKIP_1) | instid1(VALU_DEP_2)
	v_pk_fma_f32 v[24:25], v[20:21], v[14:15], v[22:23] op_sel_hi:[1,0,1]
	v_pk_fma_f32 v[14:15], v[20:21], v[14:15], v[22:23] neg_lo:[0,0,1] neg_hi:[0,0,1]
	v_mov_b32_e32 v15, v25
	s_delay_alu instid0(VALU_DEP_1)
	v_pk_add_f32 v[10:11], v[10:11], v[14:15] neg_lo:[0,1] neg_hi:[0,1]
.LBB184_17:                             ;   in Loop: Header=BB184_18 Depth=2
	s_wait_xcnt 0x0
	s_or_b32 exec_lo, exec_lo, s36
	v_add_nc_u64_e32 v[12:13], s[26:27], v[12:13]
	s_add_nc_u64 s[28:29], s[28:29], 1
	s_delay_alu instid0(SALU_CYCLE_1)
	s_cmp_eq_u64 s[22:23], s[28:29]
	s_cbranch_scc1 .LBB184_2
.LBB184_18:                             ;   Parent Loop BB184_4 Depth=1
                                        ; =>  This Inner Loop Header: Depth=2
	s_mov_b32 s36, exec_lo
	s_wait_dscnt 0x0
	s_barrier_signal -1
	s_barrier_wait -1
	s_wait_xcnt 0x0
	v_cmpx_eq_u64_e64 s[28:29], v[2:3]
; %bb.19:                               ;   in Loop: Header=BB184_18 Depth=2
	ds_store_b64 v18, v[10:11]
; %bb.20:                               ;   in Loop: Header=BB184_18 Depth=2
	s_or_b32 exec_lo, exec_lo, s36
	s_delay_alu instid0(SALU_CYCLE_1)
	s_mov_b32 s36, exec_lo
	s_wait_dscnt 0x0
	s_barrier_signal -1
	s_barrier_wait -1
	v_cmpx_lt_u64_e64 s[28:29], v[2:3]
	s_cbranch_execz .LBB184_17
; %bb.21:                               ;   in Loop: Header=BB184_18 Depth=2
	s_and_b32 vcc_lo, exec_lo, s31
	s_mov_b32 s37, -1
                                        ; implicit-def: $vgpr14
                                        ; implicit-def: $vgpr16
	s_cbranch_vccz .LBB184_23
; %bb.22:                               ;   in Loop: Header=BB184_18 Depth=2
	flat_load_b64 v[14:15], v[12:13] offset:-4
	s_mov_b32 s37, 0
	s_wait_loadcnt_dscnt 0x0
	v_mov_b32_e32 v16, v15
.LBB184_23:                             ;   in Loop: Header=BB184_18 Depth=2
	s_and_not1_b32 vcc_lo, exec_lo, s37
	s_cbranch_vccnz .LBB184_16
; %bb.24:                               ;   in Loop: Header=BB184_18 Depth=2
	flat_load_b64 v[14:15], v[12:13] offset:-4
	s_wait_loadcnt_dscnt 0x0
	v_xor_b32_e32 v16, 0x80000000, v15
	s_branch .LBB184_16
.LBB184_25:
	s_endpgm
	.section	.rodata,"a",@progbits
	.p2align	6, 0x0
	.amdhsa_kernel _ZL39rocblas_trsm_block_forward_substitutionI19rocblas_complex_numIfES1_PKS1_PS1_Lb0ELb1ELb1EEv18rocblas_operation_llT0_T1_lllT2_lllib
		.amdhsa_group_segment_fixed_size 0
		.amdhsa_private_segment_fixed_size 0
		.amdhsa_kernarg_size 360
		.amdhsa_user_sgpr_count 2
		.amdhsa_user_sgpr_dispatch_ptr 0
		.amdhsa_user_sgpr_queue_ptr 0
		.amdhsa_user_sgpr_kernarg_segment_ptr 1
		.amdhsa_user_sgpr_dispatch_id 0
		.amdhsa_user_sgpr_kernarg_preload_length 0
		.amdhsa_user_sgpr_kernarg_preload_offset 0
		.amdhsa_user_sgpr_private_segment_size 0
		.amdhsa_wavefront_size32 1
		.amdhsa_uses_dynamic_stack 0
		.amdhsa_enable_private_segment 0
		.amdhsa_system_sgpr_workgroup_id_x 1
		.amdhsa_system_sgpr_workgroup_id_y 1
		.amdhsa_system_sgpr_workgroup_id_z 1
		.amdhsa_system_sgpr_workgroup_info 0
		.amdhsa_system_vgpr_workitem_id 1
		.amdhsa_next_free_vgpr 26
		.amdhsa_next_free_sgpr 38
		.amdhsa_named_barrier_count 0
		.amdhsa_reserve_vcc 1
		.amdhsa_float_round_mode_32 0
		.amdhsa_float_round_mode_16_64 0
		.amdhsa_float_denorm_mode_32 3
		.amdhsa_float_denorm_mode_16_64 3
		.amdhsa_fp16_overflow 0
		.amdhsa_memory_ordered 1
		.amdhsa_forward_progress 1
		.amdhsa_inst_pref_size 8
		.amdhsa_round_robin_scheduling 0
		.amdhsa_exception_fp_ieee_invalid_op 0
		.amdhsa_exception_fp_denorm_src 0
		.amdhsa_exception_fp_ieee_div_zero 0
		.amdhsa_exception_fp_ieee_overflow 0
		.amdhsa_exception_fp_ieee_underflow 0
		.amdhsa_exception_fp_ieee_inexact 0
		.amdhsa_exception_int_div_zero 0
	.end_amdhsa_kernel
	.section	.text._ZL39rocblas_trsm_block_forward_substitutionI19rocblas_complex_numIfES1_PKS1_PS1_Lb0ELb1ELb1EEv18rocblas_operation_llT0_T1_lllT2_lllib,"axG",@progbits,_ZL39rocblas_trsm_block_forward_substitutionI19rocblas_complex_numIfES1_PKS1_PS1_Lb0ELb1ELb1EEv18rocblas_operation_llT0_T1_lllT2_lllib,comdat
.Lfunc_end184:
	.size	_ZL39rocblas_trsm_block_forward_substitutionI19rocblas_complex_numIfES1_PKS1_PS1_Lb0ELb1ELb1EEv18rocblas_operation_llT0_T1_lllT2_lllib, .Lfunc_end184-_ZL39rocblas_trsm_block_forward_substitutionI19rocblas_complex_numIfES1_PKS1_PS1_Lb0ELb1ELb1EEv18rocblas_operation_llT0_T1_lllT2_lllib
                                        ; -- End function
	.set _ZL39rocblas_trsm_block_forward_substitutionI19rocblas_complex_numIfES1_PKS1_PS1_Lb0ELb1ELb1EEv18rocblas_operation_llT0_T1_lllT2_lllib.num_vgpr, 26
	.set _ZL39rocblas_trsm_block_forward_substitutionI19rocblas_complex_numIfES1_PKS1_PS1_Lb0ELb1ELb1EEv18rocblas_operation_llT0_T1_lllT2_lllib.num_agpr, 0
	.set _ZL39rocblas_trsm_block_forward_substitutionI19rocblas_complex_numIfES1_PKS1_PS1_Lb0ELb1ELb1EEv18rocblas_operation_llT0_T1_lllT2_lllib.numbered_sgpr, 38
	.set _ZL39rocblas_trsm_block_forward_substitutionI19rocblas_complex_numIfES1_PKS1_PS1_Lb0ELb1ELb1EEv18rocblas_operation_llT0_T1_lllT2_lllib.num_named_barrier, 0
	.set _ZL39rocblas_trsm_block_forward_substitutionI19rocblas_complex_numIfES1_PKS1_PS1_Lb0ELb1ELb1EEv18rocblas_operation_llT0_T1_lllT2_lllib.private_seg_size, 0
	.set _ZL39rocblas_trsm_block_forward_substitutionI19rocblas_complex_numIfES1_PKS1_PS1_Lb0ELb1ELb1EEv18rocblas_operation_llT0_T1_lllT2_lllib.uses_vcc, 1
	.set _ZL39rocblas_trsm_block_forward_substitutionI19rocblas_complex_numIfES1_PKS1_PS1_Lb0ELb1ELb1EEv18rocblas_operation_llT0_T1_lllT2_lllib.uses_flat_scratch, 0
	.set _ZL39rocblas_trsm_block_forward_substitutionI19rocblas_complex_numIfES1_PKS1_PS1_Lb0ELb1ELb1EEv18rocblas_operation_llT0_T1_lllT2_lllib.has_dyn_sized_stack, 0
	.set _ZL39rocblas_trsm_block_forward_substitutionI19rocblas_complex_numIfES1_PKS1_PS1_Lb0ELb1ELb1EEv18rocblas_operation_llT0_T1_lllT2_lllib.has_recursion, 0
	.set _ZL39rocblas_trsm_block_forward_substitutionI19rocblas_complex_numIfES1_PKS1_PS1_Lb0ELb1ELb1EEv18rocblas_operation_llT0_T1_lllT2_lllib.has_indirect_call, 0
	.section	.AMDGPU.csdata,"",@progbits
; Kernel info:
; codeLenInByte = 996
; TotalNumSgprs: 40
; NumVgprs: 26
; ScratchSize: 0
; MemoryBound: 0
; FloatMode: 240
; IeeeMode: 1
; LDSByteSize: 0 bytes/workgroup (compile time only)
; SGPRBlocks: 0
; VGPRBlocks: 1
; NumSGPRsForWavesPerEU: 40
; NumVGPRsForWavesPerEU: 26
; NamedBarCnt: 0
; Occupancy: 16
; WaveLimiterHint : 0
; COMPUTE_PGM_RSRC2:SCRATCH_EN: 0
; COMPUTE_PGM_RSRC2:USER_SGPR: 2
; COMPUTE_PGM_RSRC2:TRAP_HANDLER: 0
; COMPUTE_PGM_RSRC2:TGID_X_EN: 1
; COMPUTE_PGM_RSRC2:TGID_Y_EN: 1
; COMPUTE_PGM_RSRC2:TGID_Z_EN: 1
; COMPUTE_PGM_RSRC2:TIDIG_COMP_CNT: 1
	.section	.text._ZL40rocblas_trsm_block_backward_substitutionI19rocblas_complex_numIfES1_PKS1_PS1_Lb0ELb1ELb1EEv18rocblas_operation_llT0_T1_lllT2_lllib,"axG",@progbits,_ZL40rocblas_trsm_block_backward_substitutionI19rocblas_complex_numIfES1_PKS1_PS1_Lb0ELb1ELb1EEv18rocblas_operation_llT0_T1_lllT2_lllib,comdat
	.globl	_ZL40rocblas_trsm_block_backward_substitutionI19rocblas_complex_numIfES1_PKS1_PS1_Lb0ELb1ELb1EEv18rocblas_operation_llT0_T1_lllT2_lllib ; -- Begin function _ZL40rocblas_trsm_block_backward_substitutionI19rocblas_complex_numIfES1_PKS1_PS1_Lb0ELb1ELb1EEv18rocblas_operation_llT0_T1_lllT2_lllib
	.p2align	8
	.type	_ZL40rocblas_trsm_block_backward_substitutionI19rocblas_complex_numIfES1_PKS1_PS1_Lb0ELb1ELb1EEv18rocblas_operation_llT0_T1_lllT2_lllib,@function
_ZL40rocblas_trsm_block_backward_substitutionI19rocblas_complex_numIfES1_PKS1_PS1_Lb0ELb1ELb1EEv18rocblas_operation_llT0_T1_lllT2_lllib: ; @_ZL40rocblas_trsm_block_backward_substitutionI19rocblas_complex_numIfES1_PKS1_PS1_Lb0ELb1ELb1EEv18rocblas_operation_llT0_T1_lllT2_lllib
; %bb.0:
	s_load_b64 s[2:3], s[0:1], 0x60
	s_bfe_u32 s4, ttmp6, 0x40014
	s_lshr_b32 s5, ttmp7, 16
	s_add_co_i32 s4, s4, 1
	s_bfe_u32 s6, ttmp6, 0x40008
	s_mul_i32 s4, s5, s4
	s_getreg_b32 s26, hwreg(HW_REG_IB_STS2, 6, 4)
	s_add_co_i32 s6, s6, s4
	s_cmp_eq_u32 s26, 0
	s_mov_b32 s25, 0
	s_cselect_b32 s24, s5, s6
	s_wait_kmcnt 0x0
	s_cmp_ge_u32 s24, s2
	s_cbranch_scc1 .LBB185_25
; %bb.1:
	s_clause 0x2
	s_load_b32 s27, s[0:1], 0x0
	s_load_b512 s[4:19], s[0:1], 0x20
	s_load_u16 s33, s[0:1], 0x76
	s_bitcmp1_b32 s3, 0
	v_bfe_u32 v17, v0, 10, 10
	s_cselect_b32 s3, -1, 0
	v_mov_b32_e32 v7, 0
	v_and_b32_e32 v0, 0x3ff, v0
	s_load_b128 s[20:23], s[0:1], 0x8
	v_lshl_add_u32 v18, v17, 3, 0
	s_mov_b64 s[28:29], src_shared_base
	v_mov_b32_e32 v1, v7
	s_delay_alu instid0(VALU_DEP_1)
	v_lshlrev_b64_e32 v[4:5], 3, v[0:1]
	s_wait_kmcnt 0x0
	s_cmp_lg_u32 s27, 0x71
	v_mul_u64_e32 v[2:3], s[8:9], v[0:1]
	s_cselect_b32 s36, -1, 0
	s_lshl_b64 s[30:31], s[6:7], 3
	s_bfe_u32 s6, ttmp6, 0x40010
	s_and_b32 s7, ttmp7, 0xffff
	s_add_co_i32 s6, s6, 1
	s_bfe_u32 s27, ttmp6, 0x40004
	s_mul_i32 s6, s7, s6
	s_lshl_b64 s[34:35], s[14:15], 3
	s_add_co_i32 s27, s27, s6
	s_cmp_eq_u32 s26, 0
	s_add_nc_u64 s[12:13], s[12:13], s[34:35]
	s_cselect_b32 s6, s7, s27
	s_add_nc_u64 s[14:15], s[0:1], 0x68
	v_mad_u32 v6, s6, s33, v17
	s_load_b64 s[6:7], s[0:1], 0x18
	s_wait_xcnt 0x0
	v_cmp_gt_i64_e64 s0, s[20:21], v[0:1]
	s_lshl_b32 s1, s33, 3
	v_cmp_gt_i64_e64 s38, s[20:21], 0
	v_cmp_lt_i64_e64 s39, s[20:21], 2
	s_add_nc_u64 s[4:5], s[4:5], s[30:31]
	v_mul_u64_e32 v[8:9], s[16:17], v[6:7]
	v_cmp_gt_i64_e32 vcc_lo, s[22:23], v[6:7]
	s_add_co_i32 s16, s1, 0
	s_mov_b32 s17, s29
	v_lshl_add_u32 v19, v0, 3, s16
	s_and_b32 s37, vcc_lo, s0
	s_wait_kmcnt 0x0
	s_mov_b32 s26, s7
	s_mov_b32 s27, s6
	s_delay_alu instid0(VALU_DEP_3) | instskip(SKIP_1) | instid1(SALU_CYCLE_1)
	v_lshl_add_u64 v[6:7], v[8:9], 3, s[12:13]
	s_add_nc_u64 s[12:13], s[20:21], -1
	s_lshl_b64 s[22:23], s[12:13], 3
	s_delay_alu instid0(VALU_DEP_1)
	v_add_nc_u64_e32 v[6:7], v[6:7], v[4:5]
	s_branch .LBB185_4
.LBB185_2:                              ;   in Loop: Header=BB185_4 Depth=1
	global_store_b64 v[8:9], v[10:11], off
.LBB185_3:                              ;   in Loop: Header=BB185_4 Depth=1
	s_wait_xcnt 0x0
	s_or_b32 exec_lo, exec_lo, s1
	s_add_co_i32 s24, s24, 0x10000
	s_delay_alu instid0(SALU_CYCLE_1)
	s_cmp_lt_u32 s24, s2
	s_cbranch_scc0 .LBB185_25
.LBB185_4:                              ; =>This Loop Header: Depth=1
                                        ;     Child Loop BB185_8 Depth 2
                                        ;     Child Loop BB185_18 Depth 2
	s_mul_u64 s[28:29], s[10:11], s[24:25]
	s_and_not1_b32 vcc_lo, exec_lo, s3
	s_lshl_b64 s[28:29], s[28:29], 3
	s_delay_alu instid0(SALU_CYCLE_1)
	s_add_nc_u64 s[30:31], s[4:5], s[28:29]
	s_cbranch_vccnz .LBB185_10
; %bb.5:                                ;   in Loop: Header=BB185_4 Depth=1
	s_and_not1_b32 vcc_lo, exec_lo, s38
	s_cbranch_vccnz .LBB185_11
; %bb.6:                                ;   in Loop: Header=BB185_4 Depth=1
	v_lshl_add_u64 v[8:9], v[2:3], 3, s[30:31]
	s_mov_b32 s28, 0
	s_branch .LBB185_8
.LBB185_7:                              ;   in Loop: Header=BB185_8 Depth=2
	s_wait_xcnt 0x0
	s_or_b32 exec_lo, exec_lo, s1
	s_add_co_i32 s28, s28, s33
	s_delay_alu instid0(SALU_CYCLE_1) | instskip(NEXT) | instid1(SALU_CYCLE_1)
	s_ashr_i32 s29, s28, 31
	v_cmp_le_i64_e64 s1, s[20:21], s[28:29]
	s_and_b32 vcc_lo, exec_lo, s1
	s_cbranch_vccnz .LBB185_11
.LBB185_8:                              ;   Parent Loop BB185_4 Depth=1
                                        ; =>  This Inner Loop Header: Depth=2
	v_add_nc_u32_e32 v10, s28, v17
	s_delay_alu instid0(VALU_DEP_1) | instskip(SKIP_1) | instid1(VALU_DEP_2)
	v_ashrrev_i32_e32 v11, 31, v10
	v_cmp_lt_i32_e64 s1, v0, v10
	v_cmp_gt_i64_e32 vcc_lo, s[20:21], v[10:11]
	s_and_b32 s1, s1, vcc_lo
	s_delay_alu instid0(SALU_CYCLE_1) | instskip(NEXT) | instid1(SALU_CYCLE_1)
	s_and_b32 s29, s0, s1
	s_and_saveexec_b32 s1, s29
	s_cbranch_execz .LBB185_7
; %bb.9:                                ;   in Loop: Header=BB185_8 Depth=2
	v_lshl_add_u64 v[12:13], v[10:11], 3, v[8:9]
	s_load_b32 s29, s[14:15], 0xc
	global_load_b64 v[12:13], v[12:13], off
	s_wait_kmcnt 0x0
	s_and_b32 s29, s29, 0xffff
	s_delay_alu instid0(SALU_CYCLE_1) | instskip(NEXT) | instid1(VALU_DEP_1)
	v_mul_lo_u32 v5, v10, s29
	v_lshl_add_u32 v5, v5, 3, v19
	s_wait_loadcnt 0x0
	ds_store_b64 v5, v[12:13]
	s_branch .LBB185_7
.LBB185_10:                             ;   in Loop: Header=BB185_4 Depth=1
	s_mov_b64 s[28:29], 1
	s_mov_b64 s[34:35], s[8:9]
	s_and_saveexec_b32 s1, s37
	s_cbranch_execz .LBB185_3
	s_branch .LBB185_12
.LBB185_11:                             ;   in Loop: Header=BB185_4 Depth=1
	s_load_b32 s1, s[14:15], 0xc
	s_mov_b32 s29, s25
	s_mov_b64 s[34:35], 1
	s_mov_b64 s[30:31], s[16:17]
	s_wait_kmcnt 0x0
	s_and_b32 s28, s1, 0xffff
	s_and_saveexec_b32 s1, s37
	s_cbranch_execz .LBB185_3
.LBB185_12:                             ;   in Loop: Header=BB185_4 Depth=1
	s_mul_u64 s[40:41], s[18:19], s[24:25]
	v_mov_b64_e32 v[12:13], s[26:27]
	v_lshl_add_u64 v[8:9], s[40:41], 3, v[6:7]
	v_mov_b64_e32 v[14:15], s[6:7]
	s_and_not1_b32 vcc_lo, exec_lo, s39
	s_mov_b32 s40, -1
	global_load_b64 v[10:11], v[8:9], off
	s_wait_loadcnt 0x0
	v_pk_mul_f32 v[12:13], v[12:13], v[10:11] op_sel:[0,1]
	v_pk_mul_f32 v[20:21], v[14:15], v[10:11] op_sel_hi:[1,0]
	s_delay_alu instid0(VALU_DEP_2) | instskip(NEXT) | instid1(VALU_DEP_2)
	v_pk_fma_f32 v[10:11], v[14:15], v[10:11], v[12:13] op_sel_hi:[1,0,1]
	v_sub_f32_e32 v10, v20, v12
	s_cbranch_vccnz .LBB185_14
; %bb.13:                               ;   in Loop: Header=BB185_4 Depth=1
	s_mov_b32 s40, 0
.LBB185_14:                             ;   in Loop: Header=BB185_4 Depth=1
	s_delay_alu instid0(SALU_CYCLE_1)
	s_and_not1_b32 vcc_lo, exec_lo, s40
	s_cbranch_vccnz .LBB185_2
; %bb.15:                               ;   in Loop: Header=BB185_4 Depth=1
	s_mul_u64 s[40:41], s[22:23], s[28:29]
	s_lshl_b32 s28, s28, 3
	s_add_nc_u64 s[30:31], s[30:31], s[40:41]
	s_mov_b32 s29, s25
	v_mad_nc_u64_u32 v[12:13], v4, s34, s[30:31]
	s_sub_nc_u64 s[28:29], 0, s[28:29]
	s_mov_b64 s[30:31], s[12:13]
	s_delay_alu instid0(VALU_DEP_1) | instskip(NEXT) | instid1(VALU_DEP_1)
	v_mad_u32 v13, v4, s35, v13
	v_add_nc_u64_e32 v[12:13], 4, v[12:13]
	s_branch .LBB185_18
.LBB185_16:                             ;   in Loop: Header=BB185_18 Depth=2
	ds_load_b64 v[20:21], v18
	s_wait_dscnt 0x0
	v_pk_mul_f32 v[22:23], v[16:17], v[20:21] op_sel:[0,1] op_sel_hi:[0,0]
	s_delay_alu instid0(VALU_DEP_1) | instskip(SKIP_1) | instid1(VALU_DEP_2)
	v_pk_fma_f32 v[24:25], v[20:21], v[14:15], v[22:23] op_sel_hi:[1,0,1]
	v_pk_fma_f32 v[14:15], v[20:21], v[14:15], v[22:23] neg_lo:[0,0,1] neg_hi:[0,0,1]
	v_mov_b32_e32 v15, v25
	s_delay_alu instid0(VALU_DEP_1)
	v_pk_add_f32 v[10:11], v[10:11], v[14:15] neg_lo:[0,1] neg_hi:[0,1]
.LBB185_17:                             ;   in Loop: Header=BB185_18 Depth=2
	s_wait_xcnt 0x0
	s_or_b32 exec_lo, exec_lo, s34
	s_add_nc_u64 s[34:35], s[30:31], 1
	v_add_nc_u64_e32 v[12:13], s[28:29], v[12:13]
	v_cmp_lt_u64_e64 s34, s[34:35], 3
	s_add_nc_u64 s[30:31], s[30:31], -1
	s_and_b32 vcc_lo, exec_lo, s34
	s_cbranch_vccnz .LBB185_2
.LBB185_18:                             ;   Parent Loop BB185_4 Depth=1
                                        ; =>  This Inner Loop Header: Depth=2
	s_mov_b32 s34, exec_lo
	s_wait_dscnt 0x0
	s_barrier_signal -1
	s_barrier_wait -1
	s_wait_xcnt 0x0
	v_cmpx_eq_u64_e64 s[30:31], v[0:1]
; %bb.19:                               ;   in Loop: Header=BB185_18 Depth=2
	ds_store_b64 v18, v[10:11]
; %bb.20:                               ;   in Loop: Header=BB185_18 Depth=2
	s_or_b32 exec_lo, exec_lo, s34
	s_delay_alu instid0(SALU_CYCLE_1)
	s_mov_b32 s34, exec_lo
	s_wait_dscnt 0x0
	s_barrier_signal -1
	s_barrier_wait -1
	v_cmpx_gt_i64_e64 s[30:31], v[0:1]
	s_cbranch_execz .LBB185_17
; %bb.21:                               ;   in Loop: Header=BB185_18 Depth=2
	s_and_b32 vcc_lo, exec_lo, s36
	s_mov_b32 s35, -1
                                        ; implicit-def: $vgpr14
                                        ; implicit-def: $vgpr16
	s_cbranch_vccz .LBB185_23
; %bb.22:                               ;   in Loop: Header=BB185_18 Depth=2
	flat_load_b64 v[14:15], v[12:13] offset:-4
	s_mov_b32 s35, 0
	s_wait_loadcnt_dscnt 0x0
	v_mov_b32_e32 v16, v15
.LBB185_23:                             ;   in Loop: Header=BB185_18 Depth=2
	s_and_not1_b32 vcc_lo, exec_lo, s35
	s_cbranch_vccnz .LBB185_16
; %bb.24:                               ;   in Loop: Header=BB185_18 Depth=2
	flat_load_b64 v[14:15], v[12:13] offset:-4
	s_wait_loadcnt_dscnt 0x0
	v_xor_b32_e32 v16, 0x80000000, v15
	s_branch .LBB185_16
.LBB185_25:
	s_endpgm
	.section	.rodata,"a",@progbits
	.p2align	6, 0x0
	.amdhsa_kernel _ZL40rocblas_trsm_block_backward_substitutionI19rocblas_complex_numIfES1_PKS1_PS1_Lb0ELb1ELb1EEv18rocblas_operation_llT0_T1_lllT2_lllib
		.amdhsa_group_segment_fixed_size 0
		.amdhsa_private_segment_fixed_size 0
		.amdhsa_kernarg_size 360
		.amdhsa_user_sgpr_count 2
		.amdhsa_user_sgpr_dispatch_ptr 0
		.amdhsa_user_sgpr_queue_ptr 0
		.amdhsa_user_sgpr_kernarg_segment_ptr 1
		.amdhsa_user_sgpr_dispatch_id 0
		.amdhsa_user_sgpr_kernarg_preload_length 0
		.amdhsa_user_sgpr_kernarg_preload_offset 0
		.amdhsa_user_sgpr_private_segment_size 0
		.amdhsa_wavefront_size32 1
		.amdhsa_uses_dynamic_stack 0
		.amdhsa_enable_private_segment 0
		.amdhsa_system_sgpr_workgroup_id_x 1
		.amdhsa_system_sgpr_workgroup_id_y 1
		.amdhsa_system_sgpr_workgroup_id_z 1
		.amdhsa_system_sgpr_workgroup_info 0
		.amdhsa_system_vgpr_workitem_id 1
		.amdhsa_next_free_vgpr 26
		.amdhsa_next_free_sgpr 42
		.amdhsa_named_barrier_count 0
		.amdhsa_reserve_vcc 1
		.amdhsa_float_round_mode_32 0
		.amdhsa_float_round_mode_16_64 0
		.amdhsa_float_denorm_mode_32 3
		.amdhsa_float_denorm_mode_16_64 3
		.amdhsa_fp16_overflow 0
		.amdhsa_memory_ordered 1
		.amdhsa_forward_progress 1
		.amdhsa_inst_pref_size 9
		.amdhsa_round_robin_scheduling 0
		.amdhsa_exception_fp_ieee_invalid_op 0
		.amdhsa_exception_fp_denorm_src 0
		.amdhsa_exception_fp_ieee_div_zero 0
		.amdhsa_exception_fp_ieee_overflow 0
		.amdhsa_exception_fp_ieee_underflow 0
		.amdhsa_exception_fp_ieee_inexact 0
		.amdhsa_exception_int_div_zero 0
	.end_amdhsa_kernel
	.section	.text._ZL40rocblas_trsm_block_backward_substitutionI19rocblas_complex_numIfES1_PKS1_PS1_Lb0ELb1ELb1EEv18rocblas_operation_llT0_T1_lllT2_lllib,"axG",@progbits,_ZL40rocblas_trsm_block_backward_substitutionI19rocblas_complex_numIfES1_PKS1_PS1_Lb0ELb1ELb1EEv18rocblas_operation_llT0_T1_lllT2_lllib,comdat
.Lfunc_end185:
	.size	_ZL40rocblas_trsm_block_backward_substitutionI19rocblas_complex_numIfES1_PKS1_PS1_Lb0ELb1ELb1EEv18rocblas_operation_llT0_T1_lllT2_lllib, .Lfunc_end185-_ZL40rocblas_trsm_block_backward_substitutionI19rocblas_complex_numIfES1_PKS1_PS1_Lb0ELb1ELb1EEv18rocblas_operation_llT0_T1_lllT2_lllib
                                        ; -- End function
	.set _ZL40rocblas_trsm_block_backward_substitutionI19rocblas_complex_numIfES1_PKS1_PS1_Lb0ELb1ELb1EEv18rocblas_operation_llT0_T1_lllT2_lllib.num_vgpr, 26
	.set _ZL40rocblas_trsm_block_backward_substitutionI19rocblas_complex_numIfES1_PKS1_PS1_Lb0ELb1ELb1EEv18rocblas_operation_llT0_T1_lllT2_lllib.num_agpr, 0
	.set _ZL40rocblas_trsm_block_backward_substitutionI19rocblas_complex_numIfES1_PKS1_PS1_Lb0ELb1ELb1EEv18rocblas_operation_llT0_T1_lllT2_lllib.numbered_sgpr, 42
	.set _ZL40rocblas_trsm_block_backward_substitutionI19rocblas_complex_numIfES1_PKS1_PS1_Lb0ELb1ELb1EEv18rocblas_operation_llT0_T1_lllT2_lllib.num_named_barrier, 0
	.set _ZL40rocblas_trsm_block_backward_substitutionI19rocblas_complex_numIfES1_PKS1_PS1_Lb0ELb1ELb1EEv18rocblas_operation_llT0_T1_lllT2_lllib.private_seg_size, 0
	.set _ZL40rocblas_trsm_block_backward_substitutionI19rocblas_complex_numIfES1_PKS1_PS1_Lb0ELb1ELb1EEv18rocblas_operation_llT0_T1_lllT2_lllib.uses_vcc, 1
	.set _ZL40rocblas_trsm_block_backward_substitutionI19rocblas_complex_numIfES1_PKS1_PS1_Lb0ELb1ELb1EEv18rocblas_operation_llT0_T1_lllT2_lllib.uses_flat_scratch, 0
	.set _ZL40rocblas_trsm_block_backward_substitutionI19rocblas_complex_numIfES1_PKS1_PS1_Lb0ELb1ELb1EEv18rocblas_operation_llT0_T1_lllT2_lllib.has_dyn_sized_stack, 0
	.set _ZL40rocblas_trsm_block_backward_substitutionI19rocblas_complex_numIfES1_PKS1_PS1_Lb0ELb1ELb1EEv18rocblas_operation_llT0_T1_lllT2_lllib.has_recursion, 0
	.set _ZL40rocblas_trsm_block_backward_substitutionI19rocblas_complex_numIfES1_PKS1_PS1_Lb0ELb1ELb1EEv18rocblas_operation_llT0_T1_lllT2_lllib.has_indirect_call, 0
	.section	.AMDGPU.csdata,"",@progbits
; Kernel info:
; codeLenInByte = 1056
; TotalNumSgprs: 44
; NumVgprs: 26
; ScratchSize: 0
; MemoryBound: 0
; FloatMode: 240
; IeeeMode: 1
; LDSByteSize: 0 bytes/workgroup (compile time only)
; SGPRBlocks: 0
; VGPRBlocks: 1
; NumSGPRsForWavesPerEU: 44
; NumVGPRsForWavesPerEU: 26
; NamedBarCnt: 0
; Occupancy: 16
; WaveLimiterHint : 0
; COMPUTE_PGM_RSRC2:SCRATCH_EN: 0
; COMPUTE_PGM_RSRC2:USER_SGPR: 2
; COMPUTE_PGM_RSRC2:TRAP_HANDLER: 0
; COMPUTE_PGM_RSRC2:TGID_X_EN: 1
; COMPUTE_PGM_RSRC2:TGID_Y_EN: 1
; COMPUTE_PGM_RSRC2:TGID_Z_EN: 1
; COMPUTE_PGM_RSRC2:TIDIG_COMP_CNT: 1
	.section	.text._ZL39rocblas_trsm_block_forward_substitutionI19rocblas_complex_numIfES1_PKS1_PS1_Lb1ELb1ELb0EEv18rocblas_operation_llT0_T1_lllT2_lllib,"axG",@progbits,_ZL39rocblas_trsm_block_forward_substitutionI19rocblas_complex_numIfES1_PKS1_PS1_Lb1ELb1ELb0EEv18rocblas_operation_llT0_T1_lllT2_lllib,comdat
	.globl	_ZL39rocblas_trsm_block_forward_substitutionI19rocblas_complex_numIfES1_PKS1_PS1_Lb1ELb1ELb0EEv18rocblas_operation_llT0_T1_lllT2_lllib ; -- Begin function _ZL39rocblas_trsm_block_forward_substitutionI19rocblas_complex_numIfES1_PKS1_PS1_Lb1ELb1ELb0EEv18rocblas_operation_llT0_T1_lllT2_lllib
	.p2align	8
	.type	_ZL39rocblas_trsm_block_forward_substitutionI19rocblas_complex_numIfES1_PKS1_PS1_Lb1ELb1ELb0EEv18rocblas_operation_llT0_T1_lllT2_lllib,@function
_ZL39rocblas_trsm_block_forward_substitutionI19rocblas_complex_numIfES1_PKS1_PS1_Lb1ELb1ELb0EEv18rocblas_operation_llT0_T1_lllT2_lllib: ; @_ZL39rocblas_trsm_block_forward_substitutionI19rocblas_complex_numIfES1_PKS1_PS1_Lb1ELb1ELb0EEv18rocblas_operation_llT0_T1_lllT2_lllib
; %bb.0:
	s_load_b64 s[24:25], s[0:1], 0x60
	s_bfe_u32 s2, ttmp6, 0x40014
	s_lshr_b32 s3, ttmp7, 16
	s_add_co_i32 s2, s2, 1
	s_bfe_u32 s5, ttmp6, 0x40008
	s_mul_i32 s4, s3, s2
	s_getreg_b32 s2, hwreg(HW_REG_IB_STS2, 6, 4)
	s_add_co_i32 s5, s5, s4
	s_cmp_eq_u32 s2, 0
	s_mov_b32 s27, 0
	s_cselect_b32 s26, s3, s5
	s_wait_kmcnt 0x0
	s_cmp_ge_u32 s26, s24
	s_cbranch_scc1 .LBB186_51
; %bb.1:
	s_clause 0x1
	s_load_b512 s[4:19], s[0:1], 0x20
	s_load_b32 s3, s[0:1], 0x0
	v_and_b32_e32 v2, 0x3ff, v0
	v_mov_b32_e32 v5, 0
	v_bfe_u32 v18, v0, 10, 10
	s_clause 0x1
	s_load_b128 s[20:23], s[0:1], 0x8
	s_load_b64 s[28:29], s[0:1], 0x18
	s_bitcmp1_b32 s25, 0
	v_dual_mov_b32 v3, v5 :: v_dual_lshlrev_b32 v0, 3, v2
	s_load_u16 s25, s[0:1], 0x76
	v_lshl_add_u32 v19, v18, 3, 0
	s_mov_b64 s[30:31], src_shared_base
	s_wait_kmcnt 0x0
	v_mul_u64_e32 v[6:7], s[16:17], v[2:3]
	s_cselect_b32 s16, -1, 0
	s_delay_alu instid0(SALU_CYCLE_1)
	s_xor_b32 s33, s16, -1
	s_cmp_lg_u32 s3, 0x71
	v_cndmask_b32_e64 v1, 0, 1, s16
	s_cselect_b32 s36, -1, 0
	s_bfe_u32 s3, ttmp6, 0x40010
	s_lshl_b64 s[34:35], s[6:7], 3
	s_and_b32 s6, ttmp7, 0xffff
	s_add_co_i32 s3, s3, 1
	s_bfe_u32 s7, ttmp6, 0x40004
	s_mul_i32 s3, s6, s3
	s_lshl_b64 s[38:39], s[14:15], 3
	s_add_co_i32 s7, s7, s3
	s_cmp_eq_u32 s2, 0
	s_add_nc_u64 s[12:13], s[12:13], s[38:39]
	s_cselect_b32 s2, s6, s7
	s_lshl_b32 s3, s25, 3
	v_mad_u32 v4, s2, s25, v18
	s_add_co_i32 s14, s3, 0
	s_add_nc_u64 s[6:7], s[0:1], 0x68
	s_add_nc_u64 s[16:17], s[20:21], -1
	v_add_nc_u32_e32 v20, s14, v0
	v_cmp_le_i64_e32 vcc_lo, s[20:21], v[2:3]
	v_cmp_gt_i64_e64 s1, s[20:21], v[2:3]
	v_cmp_gt_i64_e64 s37, s[20:21], 0
	v_cmp_eq_u64_e64 s0, s[16:17], v[2:3]
	v_cmp_lt_i64_e64 s38, s[20:21], 2
	s_mov_b32 s15, s31
	v_cmp_gt_i64_e64 s2, s[22:23], v[4:5]
	s_mov_b32 s30, s29
	v_lshl_add_u64 v[6:7], v[6:7], 3, s[12:13]
	s_add_nc_u64 s[4:5], s[4:5], s[34:35]
	s_mov_b32 s31, s28
	s_xor_b32 s39, vcc_lo, -1
	s_and_b32 s1, s2, s1
	v_lshl_add_u64 v[4:5], v[4:5], 3, v[6:7]
	s_mov_b64 s[2:3], 1
	s_branch .LBB186_5
.LBB186_2:                              ;   in Loop: Header=BB186_5 Depth=1
	s_wait_loadcnt_dscnt 0x0
	s_wait_xcnt 0x0
	s_delay_alu instid0(VALU_DEP_1) | instskip(NEXT) | instid1(VALU_DEP_1)
	v_pk_mul_f32 v[10:11], v[8:9], v[12:13] op_sel:[1,1] op_sel_hi:[1,0]
	v_pk_fma_f32 v[14:15], v[8:9], v[12:13], v[10:11] op_sel_hi:[0,1,1]
	v_pk_fma_f32 v[8:9], v[8:9], v[12:13], v[10:11] neg_lo:[0,0,1] neg_hi:[0,0,1]
	s_delay_alu instid0(VALU_DEP_2)
	v_mov_b32_e32 v9, v15
.LBB186_3:                              ;   in Loop: Header=BB186_5 Depth=1
	s_or_b32 exec_lo, exec_lo, s22
	global_store_b64 v[6:7], v[8:9], off
.LBB186_4:                              ;   in Loop: Header=BB186_5 Depth=1
	s_wait_xcnt 0x0
	s_or_b32 exec_lo, exec_lo, s40
	s_add_co_i32 s26, s26, 0x10000
	s_delay_alu instid0(SALU_CYCLE_1)
	s_cmp_lt_u32 s26, s24
	s_cbranch_scc0 .LBB186_51
.LBB186_5:                              ; =>This Loop Header: Depth=1
                                        ;     Child Loop BB186_12 Depth 2
                                        ;     Child Loop BB186_27 Depth 2
	v_cmp_ne_u32_e32 vcc_lo, 1, v1
	s_mul_u64 s[12:13], s[10:11], s[26:27]
	s_delay_alu instid0(SALU_CYCLE_1) | instskip(NEXT) | instid1(SALU_CYCLE_1)
	s_lshl_b64 s[12:13], s[12:13], 3
	s_add_nc_u64 s[12:13], s[4:5], s[12:13]
	s_cbranch_vccz .LBB186_7
; %bb.6:                                ;   in Loop: Header=BB186_5 Depth=1
	s_and_saveexec_b32 s40, s1
	s_cbranch_execz .LBB186_4
	s_branch .LBB186_21
.LBB186_7:                              ;   in Loop: Header=BB186_5 Depth=1
	s_and_not1_b32 vcc_lo, exec_lo, s37
	s_cbranch_vccnz .LBB186_20
; %bb.8:                                ;   in Loop: Header=BB186_5 Depth=1
	v_mul_u64_e32 v[6:7], s[8:9], v[2:3]
	v_mul_hi_u32_u24_e32 v9, s2, v2
	v_mul_u32_u24_e32 v8, s2, v2
	v_mov_b32_e32 v10, v18
	s_mov_b32 s8, s25
	s_delay_alu instid0(VALU_DEP_4) | instskip(NEXT) | instid1(VALU_DEP_1)
	v_lshl_add_u64 v[6:7], v[6:7], 3, s[12:13]
	v_lshl_add_u64 v[8:9], v[8:9], 3, v[6:7]
	s_branch .LBB186_12
.LBB186_9:                              ;   in Loop: Header=BB186_12 Depth=2
	s_or_b32 exec_lo, exec_lo, s13
	s_load_b32 s13, s[6:7], 0xc
	s_wait_kmcnt 0x0
	s_and_b32 s13, s13, 0xffff
	s_delay_alu instid0(SALU_CYCLE_1) | instskip(NEXT) | instid1(VALU_DEP_1)
	v_mul_u32_u24_e32 v11, s13, v2
	v_lshl_add_u32 v11, v11, 3, v20
	ds_store_b64 v11, v[14:15]
.LBB186_10:                             ;   in Loop: Header=BB186_12 Depth=2
	s_or_b32 exec_lo, exec_lo, s12
.LBB186_11:                             ;   in Loop: Header=BB186_12 Depth=2
	s_delay_alu instid0(SALU_CYCLE_1)
	s_or_b32 exec_lo, exec_lo, s9
	s_ashr_i32 s9, s8, 31
	v_add_nc_u32_e32 v10, s25, v10
	v_cmp_le_i64_e64 s9, s[20:21], s[8:9]
	s_add_co_i32 s8, s8, s25
	s_and_b32 vcc_lo, exec_lo, s9
	s_cbranch_vccnz .LBB186_20
.LBB186_12:                             ;   Parent Loop BB186_5 Depth=1
                                        ; =>  This Inner Loop Header: Depth=2
	v_cmp_gt_i32_e32 vcc_lo, v2, v10
	s_and_b32 s9, s39, vcc_lo
	s_delay_alu instid0(SALU_CYCLE_1) | instskip(NEXT) | instid1(SALU_CYCLE_1)
	s_and_saveexec_b32 s12, s9
	s_xor_b32 s9, exec_lo, s12
	s_cbranch_execz .LBB186_14
; %bb.13:                               ;   in Loop: Header=BB186_12 Depth=2
	v_ashrrev_i32_e32 v11, 31, v10
	s_load_b32 s12, s[6:7], 0xc
	s_delay_alu instid0(VALU_DEP_1) | instskip(SKIP_2) | instid1(SALU_CYCLE_1)
	v_mul_u64_e32 v[12:13], s[2:3], v[10:11]
	s_wait_kmcnt 0x0
	s_and_b32 s12, s12, 0xffff
	v_mul_lo_u32 v11, v10, s12
	s_delay_alu instid0(VALU_DEP_1) | instskip(NEXT) | instid1(VALU_DEP_3)
	v_lshl_add_u32 v11, v11, 3, v20
	v_lshl_add_u64 v[12:13], v[12:13], 3, v[6:7]
	global_load_b64 v[12:13], v[12:13], off
	s_wait_loadcnt 0x0
	ds_store_b64 v11, v[12:13]
.LBB186_14:                             ;   in Loop: Header=BB186_12 Depth=2
	s_wait_xcnt 0x0
	s_and_not1_saveexec_b32 s9, s9
	s_cbranch_execz .LBB186_11
; %bb.15:                               ;   in Loop: Header=BB186_12 Depth=2
	v_cmp_eq_u32_e32 vcc_lo, v2, v10
	s_and_b32 s13, s39, vcc_lo
	s_delay_alu instid0(SALU_CYCLE_1)
	s_and_saveexec_b32 s12, s13
	s_cbranch_execz .LBB186_10
; %bb.16:                               ;   in Loop: Header=BB186_12 Depth=2
	global_load_b64 v[12:13], v[8:9], off
                                        ; implicit-def: $vgpr14_vgpr15
	s_wait_loadcnt 0x0
	v_cmp_ngt_f32_e64 s13, |v12|, |v13|
	s_wait_xcnt 0x0
	s_and_saveexec_b32 s22, s13
	s_delay_alu instid0(SALU_CYCLE_1)
	s_xor_b32 s13, exec_lo, s22
	s_cbranch_execz .LBB186_18
; %bb.17:                               ;   in Loop: Header=BB186_12 Depth=2
	v_div_scale_f32 v11, null, v13, v13, v12
	v_div_scale_f32 v16, vcc_lo, v12, v13, v12
	s_delay_alu instid0(VALU_DEP_2) | instskip(SKIP_1) | instid1(TRANS32_DEP_1)
	v_rcp_f32_e32 v14, v11
	v_nop
	v_fma_f32 v15, -v11, v14, 1.0
	s_delay_alu instid0(VALU_DEP_1) | instskip(NEXT) | instid1(VALU_DEP_1)
	v_fmac_f32_e32 v14, v15, v14
	v_mul_f32_e32 v15, v16, v14
	s_delay_alu instid0(VALU_DEP_1) | instskip(NEXT) | instid1(VALU_DEP_1)
	v_fma_f32 v17, -v11, v15, v16
	v_fmac_f32_e32 v15, v17, v14
	s_delay_alu instid0(VALU_DEP_1) | instskip(NEXT) | instid1(VALU_DEP_1)
	v_fma_f32 v11, -v11, v15, v16
	v_div_fmas_f32 v11, v11, v14, v15
	s_delay_alu instid0(VALU_DEP_1) | instskip(NEXT) | instid1(VALU_DEP_1)
	v_div_fixup_f32 v11, v11, v13, v12
	v_fmac_f32_e32 v13, v12, v11
	s_delay_alu instid0(VALU_DEP_1) | instskip(SKIP_1) | instid1(VALU_DEP_2)
	v_div_scale_f32 v12, null, v13, v13, 1.0
	v_div_scale_f32 v16, vcc_lo, 1.0, v13, 1.0
	v_rcp_f32_e32 v14, v12
	v_nop
	s_delay_alu instid0(TRANS32_DEP_1) | instskip(NEXT) | instid1(VALU_DEP_1)
	v_fma_f32 v15, -v12, v14, 1.0
	v_fmac_f32_e32 v14, v15, v14
	s_delay_alu instid0(VALU_DEP_1) | instskip(NEXT) | instid1(VALU_DEP_1)
	v_mul_f32_e32 v15, v16, v14
	v_fma_f32 v17, -v12, v15, v16
	s_delay_alu instid0(VALU_DEP_1) | instskip(NEXT) | instid1(VALU_DEP_1)
	v_fmac_f32_e32 v15, v17, v14
	v_fma_f32 v12, -v12, v15, v16
	s_delay_alu instid0(VALU_DEP_1) | instskip(NEXT) | instid1(VALU_DEP_1)
	v_div_fmas_f32 v12, v12, v14, v15
	v_div_fixup_f32 v12, v12, v13, 1.0
	s_delay_alu instid0(VALU_DEP_1)
	v_mul_f32_e32 v14, v11, v12
	v_xor_b32_e32 v15, 0x80000000, v12
                                        ; implicit-def: $vgpr12_vgpr13
.LBB186_18:                             ;   in Loop: Header=BB186_12 Depth=2
	s_and_not1_saveexec_b32 s13, s13
	s_cbranch_execz .LBB186_9
; %bb.19:                               ;   in Loop: Header=BB186_12 Depth=2
	v_div_scale_f32 v11, null, v12, v12, v13
	v_div_scale_f32 v16, vcc_lo, v13, v12, v13
	s_delay_alu instid0(VALU_DEP_2) | instskip(SKIP_1) | instid1(TRANS32_DEP_1)
	v_rcp_f32_e32 v14, v11
	v_nop
	v_fma_f32 v15, -v11, v14, 1.0
	s_delay_alu instid0(VALU_DEP_1) | instskip(NEXT) | instid1(VALU_DEP_1)
	v_fmac_f32_e32 v14, v15, v14
	v_mul_f32_e32 v15, v16, v14
	s_delay_alu instid0(VALU_DEP_1) | instskip(NEXT) | instid1(VALU_DEP_1)
	v_fma_f32 v17, -v11, v15, v16
	v_fmac_f32_e32 v15, v17, v14
	s_delay_alu instid0(VALU_DEP_1) | instskip(NEXT) | instid1(VALU_DEP_1)
	v_fma_f32 v11, -v11, v15, v16
	v_div_fmas_f32 v11, v11, v14, v15
	s_delay_alu instid0(VALU_DEP_1) | instskip(NEXT) | instid1(VALU_DEP_1)
	v_div_fixup_f32 v11, v11, v12, v13
	v_fmac_f32_e32 v12, v13, v11
	s_delay_alu instid0(VALU_DEP_1) | instskip(NEXT) | instid1(VALU_DEP_1)
	v_div_scale_f32 v13, null, v12, v12, 1.0
	v_rcp_f32_e32 v14, v13
	v_nop
	s_delay_alu instid0(TRANS32_DEP_1) | instskip(NEXT) | instid1(VALU_DEP_1)
	v_fma_f32 v15, -v13, v14, 1.0
	v_fmac_f32_e32 v14, v15, v14
	v_div_scale_f32 v15, vcc_lo, 1.0, v12, 1.0
	s_delay_alu instid0(VALU_DEP_1) | instskip(NEXT) | instid1(VALU_DEP_1)
	v_mul_f32_e32 v16, v15, v14
	v_fma_f32 v17, -v13, v16, v15
	s_delay_alu instid0(VALU_DEP_1) | instskip(NEXT) | instid1(VALU_DEP_1)
	v_fmac_f32_e32 v16, v17, v14
	v_fma_f32 v13, -v13, v16, v15
	s_delay_alu instid0(VALU_DEP_1) | instskip(NEXT) | instid1(VALU_DEP_1)
	v_div_fmas_f32 v13, v13, v14, v16
	v_div_fixup_f32 v14, v13, v12, 1.0
	s_delay_alu instid0(VALU_DEP_1)
	v_mul_f32_e64 v15, v11, -v14
	s_branch .LBB186_9
.LBB186_20:                             ;   in Loop: Header=BB186_5 Depth=1
	s_load_b32 s2, s[6:7], 0xc
	s_mov_b32 s3, s27
	s_mov_b64 s[8:9], 1
	s_mov_b64 s[12:13], s[14:15]
	s_wait_kmcnt 0x0
	s_and_b32 s2, s2, 0xffff
	s_and_saveexec_b32 s40, s1
	s_cbranch_execz .LBB186_4
.LBB186_21:                             ;   in Loop: Header=BB186_5 Depth=1
	s_mul_u64 s[22:23], s[18:19], s[26:27]
	v_mov_b64_e32 v[10:11], s[30:31]
	v_lshl_add_u64 v[6:7], s[22:23], 3, v[4:5]
	v_mov_b64_e32 v[12:13], s[28:29]
	s_and_not1_b32 vcc_lo, exec_lo, s38
	s_mov_b32 s22, -1
	global_load_b64 v[8:9], v[6:7], off
	s_wait_loadcnt 0x0
	v_pk_mul_f32 v[10:11], v[10:11], v[8:9] op_sel:[0,1]
	v_pk_mul_f32 v[16:17], v[12:13], v[8:9] op_sel_hi:[1,0]
	s_delay_alu instid0(VALU_DEP_2) | instskip(NEXT) | instid1(VALU_DEP_2)
	v_pk_fma_f32 v[14:15], v[12:13], v[8:9], v[10:11] op_sel_hi:[1,0,1]
	v_sub_f32_e32 v14, v16, v10
                                        ; implicit-def: $vgpr8_vgpr9
	s_cbranch_vccnz .LBB186_23
; %bb.22:                               ;   in Loop: Header=BB186_5 Depth=1
	s_delay_alu instid0(VALU_DEP_1)
	v_mov_b64_e32 v[8:9], v[14:15]
	s_mov_b32 s22, 0
.LBB186_23:                             ;   in Loop: Header=BB186_5 Depth=1
	s_delay_alu instid0(SALU_CYCLE_1)
	s_and_not1_b32 vcc_lo, exec_lo, s22
	s_cbranch_vccnz .LBB186_42
; %bb.24:                               ;   in Loop: Header=BB186_5 Depth=1
	s_add_nc_u64 s[22:23], s[2:3], s[8:9]
	v_mad_nc_u64_u32 v[10:11], v0, s8, s[12:13]
	v_mul_u64_e32 v[8:9], s[22:23], v[2:3]
	s_lshl_b64 s[22:23], s[2:3], 3
	s_mov_b64 s[34:35], 0
	s_delay_alu instid0(VALU_DEP_2) | instskip(NEXT) | instid1(VALU_DEP_1)
	v_mad_u32 v11, v0, s9, v11
	v_add_nc_u64_e32 v[10:11], 4, v[10:11]
	s_delay_alu instid0(VALU_DEP_3)
	v_lshl_add_u64 v[12:13], v[8:9], 3, s[12:13]
	s_branch .LBB186_27
.LBB186_25:                             ;   in Loop: Header=BB186_27 Depth=2
	ds_load_b64 v[22:23], v19
	s_wait_dscnt 0x0
	v_pk_mul_f32 v[16:17], v[16:17], v[22:23] op_sel:[0,1] op_sel_hi:[0,0]
	s_delay_alu instid0(VALU_DEP_1) | instskip(SKIP_1) | instid1(VALU_DEP_2)
	v_pk_fma_f32 v[24:25], v[22:23], v[14:15], v[16:17] op_sel_hi:[1,0,1]
	v_pk_fma_f32 v[14:15], v[22:23], v[14:15], v[16:17] neg_lo:[0,0,1] neg_hi:[0,0,1]
	v_mov_b32_e32 v15, v25
	s_delay_alu instid0(VALU_DEP_1) | instskip(NEXT) | instid1(VALU_DEP_1)
	v_pk_add_f32 v[14:15], v[8:9], v[14:15] neg_lo:[0,1] neg_hi:[0,1]
	v_mov_b64_e32 v[8:9], v[14:15]
.LBB186_26:                             ;   in Loop: Header=BB186_27 Depth=2
	s_wait_xcnt 0x0
	s_or_b32 exec_lo, exec_lo, s41
	v_add_nc_u64_e32 v[10:11], s[22:23], v[10:11]
	s_add_nc_u64 s[34:35], s[34:35], 1
	s_delay_alu instid0(SALU_CYCLE_1)
	s_cmp_eq_u64 s[16:17], s[34:35]
	s_cbranch_scc1 .LBB186_42
.LBB186_27:                             ;   Parent Loop BB186_5 Depth=1
                                        ; =>  This Inner Loop Header: Depth=2
	v_mov_b64_e32 v[8:9], v[14:15]
	s_mov_b32 s41, exec_lo
	s_wait_dscnt 0x0
	s_barrier_signal -1
	s_barrier_wait -1
	s_wait_xcnt 0x0
	v_cmpx_eq_u64_e64 s[34:35], v[2:3]
	s_cbranch_execz .LBB186_37
; %bb.28:                               ;   in Loop: Header=BB186_27 Depth=2
	flat_load_b64 v[8:9], v[12:13]
	s_and_b32 vcc_lo, exec_lo, s33
	s_mov_b32 s42, -1
                                        ; implicit-def: $vgpr16_vgpr17
	s_cbranch_vccz .LBB186_34
; %bb.29:                               ;   in Loop: Header=BB186_27 Depth=2
	s_wait_loadcnt_dscnt 0x0
	v_cmp_ngt_f32_e64 s42, |v8|, |v9|
                                        ; implicit-def: $vgpr16_vgpr17
	s_wait_xcnt 0x0
	s_and_saveexec_b32 s43, s42
	s_delay_alu instid0(SALU_CYCLE_1)
	s_xor_b32 s42, exec_lo, s43
	s_cbranch_execz .LBB186_31
; %bb.30:                               ;   in Loop: Header=BB186_27 Depth=2
	v_div_scale_f32 v16, null, v9, v9, v8
	v_div_scale_f32 v22, vcc_lo, v8, v9, v8
	s_delay_alu instid0(VALU_DEP_2) | instskip(SKIP_1) | instid1(TRANS32_DEP_1)
	v_rcp_f32_e32 v17, v16
	v_nop
	v_fma_f32 v21, -v16, v17, 1.0
	s_delay_alu instid0(VALU_DEP_1) | instskip(NEXT) | instid1(VALU_DEP_1)
	v_fmac_f32_e32 v17, v21, v17
	v_mul_f32_e32 v21, v22, v17
	s_delay_alu instid0(VALU_DEP_1) | instskip(NEXT) | instid1(VALU_DEP_1)
	v_fma_f32 v23, -v16, v21, v22
	v_fmac_f32_e32 v21, v23, v17
	s_delay_alu instid0(VALU_DEP_1) | instskip(NEXT) | instid1(VALU_DEP_1)
	v_fma_f32 v16, -v16, v21, v22
	v_div_fmas_f32 v16, v16, v17, v21
	s_delay_alu instid0(VALU_DEP_1) | instskip(NEXT) | instid1(VALU_DEP_1)
	v_div_fixup_f32 v16, v16, v9, v8
	v_fma_f32 v17, v8, v16, v9
	s_delay_alu instid0(VALU_DEP_1) | instskip(SKIP_1) | instid1(VALU_DEP_2)
	v_div_scale_f32 v21, null, v17, v17, 1.0
	v_div_scale_f32 v24, vcc_lo, 1.0, v17, 1.0
	v_rcp_f32_e32 v22, v21
	v_nop
	s_delay_alu instid0(TRANS32_DEP_1) | instskip(NEXT) | instid1(VALU_DEP_1)
	v_fma_f32 v23, -v21, v22, 1.0
	v_fmac_f32_e32 v22, v23, v22
	s_delay_alu instid0(VALU_DEP_1) | instskip(NEXT) | instid1(VALU_DEP_1)
	v_mul_f32_e32 v23, v24, v22
	v_fma_f32 v25, -v21, v23, v24
	s_delay_alu instid0(VALU_DEP_1) | instskip(NEXT) | instid1(VALU_DEP_1)
	v_fmac_f32_e32 v23, v25, v22
	v_fma_f32 v21, -v21, v23, v24
	s_delay_alu instid0(VALU_DEP_1) | instskip(NEXT) | instid1(VALU_DEP_1)
	v_div_fmas_f32 v21, v21, v22, v23
	v_div_fixup_f32 v17, v21, v17, 1.0
	s_delay_alu instid0(VALU_DEP_1)
	v_mul_f32_e32 v16, v16, v17
	v_xor_b32_e32 v17, 0x80000000, v17
.LBB186_31:                             ;   in Loop: Header=BB186_27 Depth=2
	s_and_not1_saveexec_b32 s42, s42
	s_cbranch_execz .LBB186_33
; %bb.32:                               ;   in Loop: Header=BB186_27 Depth=2
	v_div_scale_f32 v16, null, v8, v8, v9
	v_div_scale_f32 v22, vcc_lo, v9, v8, v9
	s_delay_alu instid0(VALU_DEP_2) | instskip(SKIP_1) | instid1(TRANS32_DEP_1)
	v_rcp_f32_e32 v17, v16
	v_nop
	v_fma_f32 v21, -v16, v17, 1.0
	s_delay_alu instid0(VALU_DEP_1) | instskip(NEXT) | instid1(VALU_DEP_1)
	v_fmac_f32_e32 v17, v21, v17
	v_mul_f32_e32 v21, v22, v17
	s_delay_alu instid0(VALU_DEP_1) | instskip(NEXT) | instid1(VALU_DEP_1)
	v_fma_f32 v23, -v16, v21, v22
	v_fmac_f32_e32 v21, v23, v17
	s_delay_alu instid0(VALU_DEP_1) | instskip(NEXT) | instid1(VALU_DEP_1)
	v_fma_f32 v16, -v16, v21, v22
	v_div_fmas_f32 v16, v16, v17, v21
	s_delay_alu instid0(VALU_DEP_1) | instskip(NEXT) | instid1(VALU_DEP_1)
	v_div_fixup_f32 v17, v16, v8, v9
	v_fma_f32 v16, v9, v17, v8
	s_delay_alu instid0(VALU_DEP_1) | instskip(NEXT) | instid1(VALU_DEP_1)
	v_div_scale_f32 v21, null, v16, v16, 1.0
	v_rcp_f32_e32 v22, v21
	v_nop
	s_delay_alu instid0(TRANS32_DEP_1) | instskip(NEXT) | instid1(VALU_DEP_1)
	v_fma_f32 v23, -v21, v22, 1.0
	v_fmac_f32_e32 v22, v23, v22
	v_div_scale_f32 v23, vcc_lo, 1.0, v16, 1.0
	s_delay_alu instid0(VALU_DEP_1) | instskip(NEXT) | instid1(VALU_DEP_1)
	v_mul_f32_e32 v24, v23, v22
	v_fma_f32 v25, -v21, v24, v23
	s_delay_alu instid0(VALU_DEP_1) | instskip(NEXT) | instid1(VALU_DEP_1)
	v_fmac_f32_e32 v24, v25, v22
	v_fma_f32 v21, -v21, v24, v23
	s_delay_alu instid0(VALU_DEP_1) | instskip(NEXT) | instid1(VALU_DEP_1)
	v_div_fmas_f32 v21, v21, v22, v24
	v_div_fixup_f32 v16, v21, v16, 1.0
	s_delay_alu instid0(VALU_DEP_1)
	v_mul_f32_e64 v17, v17, -v16
.LBB186_33:                             ;   in Loop: Header=BB186_27 Depth=2
	s_or_b32 exec_lo, exec_lo, s42
	s_mov_b32 s42, 0
.LBB186_34:                             ;   in Loop: Header=BB186_27 Depth=2
	s_delay_alu instid0(SALU_CYCLE_1)
	s_and_not1_b32 vcc_lo, exec_lo, s42
	s_cbranch_vccnz .LBB186_36
; %bb.35:                               ;   in Loop: Header=BB186_27 Depth=2
	s_wait_loadcnt_dscnt 0x0
	v_mov_b64_e32 v[16:17], v[8:9]
.LBB186_36:                             ;   in Loop: Header=BB186_27 Depth=2
	s_delay_alu instid0(VALU_DEP_1) | instskip(SKIP_1) | instid1(VALU_DEP_1)
	v_pk_mul_f32 v[22:23], v[14:15], v[16:17] op_sel:[1,1] op_sel_hi:[0,1]
	s_wait_loadcnt_dscnt 0x0
	v_pk_fma_f32 v[8:9], v[14:15], v[16:17], v[22:23] op_sel_hi:[1,0,1] neg_lo:[0,0,1] neg_hi:[0,0,1]
	v_pk_fma_f32 v[14:15], v[14:15], v[16:17], v[22:23] op_sel_hi:[1,0,1]
	s_delay_alu instid0(VALU_DEP_1)
	v_dual_mov_b32 v14, v8 :: v_dual_mov_b32 v9, v15
	ds_store_b64 v19, v[8:9]
.LBB186_37:                             ;   in Loop: Header=BB186_27 Depth=2
	s_wait_xcnt 0x0
	s_or_b32 exec_lo, exec_lo, s41
	s_delay_alu instid0(SALU_CYCLE_1)
	s_mov_b32 s41, exec_lo
	s_wait_dscnt 0x0
	s_barrier_signal -1
	s_barrier_wait -1
	v_cmpx_lt_u64_e64 s[34:35], v[2:3]
	s_cbranch_execz .LBB186_26
; %bb.38:                               ;   in Loop: Header=BB186_27 Depth=2
	s_and_b32 vcc_lo, exec_lo, s36
	s_mov_b32 s42, -1
                                        ; implicit-def: $vgpr14
                                        ; implicit-def: $vgpr16
	s_cbranch_vccz .LBB186_40
; %bb.39:                               ;   in Loop: Header=BB186_27 Depth=2
	flat_load_b64 v[14:15], v[10:11] offset:-4
	s_mov_b32 s42, 0
	s_wait_loadcnt_dscnt 0x0
	v_mov_b32_e32 v16, v15
.LBB186_40:                             ;   in Loop: Header=BB186_27 Depth=2
	s_and_not1_b32 vcc_lo, exec_lo, s42
	s_cbranch_vccnz .LBB186_25
; %bb.41:                               ;   in Loop: Header=BB186_27 Depth=2
	flat_load_b64 v[14:15], v[10:11] offset:-4
	s_wait_loadcnt_dscnt 0x0
	v_xor_b32_e32 v16, 0x80000000, v15
	s_branch .LBB186_25
.LBB186_42:                             ;   in Loop: Header=BB186_5 Depth=1
	s_wait_xcnt 0x0
	s_and_saveexec_b32 s22, s0
	s_cbranch_execz .LBB186_3
; %bb.43:                               ;   in Loop: Header=BB186_5 Depth=1
	s_add_nc_u64 s[34:35], s[2:3], s[8:9]
	s_and_b32 vcc_lo, exec_lo, s33
	v_mul_u64_e32 v[10:11], s[34:35], v[2:3]
                                        ; implicit-def: $vgpr12_vgpr13
	s_delay_alu instid0(VALU_DEP_1)
	v_lshl_add_u64 v[10:11], v[10:11], 3, s[12:13]
	s_mov_b32 s12, -1
	flat_load_b64 v[10:11], v[10:11]
	s_cbranch_vccz .LBB186_49
; %bb.44:                               ;   in Loop: Header=BB186_5 Depth=1
	s_wait_loadcnt_dscnt 0x0
	v_cmp_ngt_f32_e64 s12, |v10|, |v11|
                                        ; implicit-def: $vgpr12_vgpr13
	s_wait_xcnt 0x0
	s_and_saveexec_b32 s13, s12
	s_delay_alu instid0(SALU_CYCLE_1)
	s_xor_b32 s12, exec_lo, s13
	s_cbranch_execz .LBB186_46
; %bb.45:                               ;   in Loop: Header=BB186_5 Depth=1
	v_div_scale_f32 v12, null, v11, v11, v10
	v_div_scale_f32 v15, vcc_lo, v10, v11, v10
	s_delay_alu instid0(VALU_DEP_2) | instskip(SKIP_1) | instid1(TRANS32_DEP_1)
	v_rcp_f32_e32 v13, v12
	v_nop
	v_fma_f32 v14, -v12, v13, 1.0
	s_delay_alu instid0(VALU_DEP_1) | instskip(NEXT) | instid1(VALU_DEP_1)
	v_fmac_f32_e32 v13, v14, v13
	v_mul_f32_e32 v14, v15, v13
	s_delay_alu instid0(VALU_DEP_1) | instskip(NEXT) | instid1(VALU_DEP_1)
	v_fma_f32 v16, -v12, v14, v15
	v_fmac_f32_e32 v14, v16, v13
	s_delay_alu instid0(VALU_DEP_1) | instskip(NEXT) | instid1(VALU_DEP_1)
	v_fma_f32 v12, -v12, v14, v15
	v_div_fmas_f32 v12, v12, v13, v14
	s_delay_alu instid0(VALU_DEP_1) | instskip(NEXT) | instid1(VALU_DEP_1)
	v_div_fixup_f32 v12, v12, v11, v10
	v_fma_f32 v13, v10, v12, v11
	s_delay_alu instid0(VALU_DEP_1) | instskip(SKIP_1) | instid1(VALU_DEP_2)
	v_div_scale_f32 v14, null, v13, v13, 1.0
	v_div_scale_f32 v17, vcc_lo, 1.0, v13, 1.0
	v_rcp_f32_e32 v15, v14
	v_nop
	s_delay_alu instid0(TRANS32_DEP_1) | instskip(NEXT) | instid1(VALU_DEP_1)
	v_fma_f32 v16, -v14, v15, 1.0
	v_fmac_f32_e32 v15, v16, v15
	s_delay_alu instid0(VALU_DEP_1) | instskip(NEXT) | instid1(VALU_DEP_1)
	v_mul_f32_e32 v16, v17, v15
	v_fma_f32 v21, -v14, v16, v17
	s_delay_alu instid0(VALU_DEP_1) | instskip(NEXT) | instid1(VALU_DEP_1)
	v_fmac_f32_e32 v16, v21, v15
	v_fma_f32 v14, -v14, v16, v17
	s_delay_alu instid0(VALU_DEP_1) | instskip(NEXT) | instid1(VALU_DEP_1)
	v_div_fmas_f32 v14, v14, v15, v16
	v_div_fixup_f32 v13, v14, v13, 1.0
	s_delay_alu instid0(VALU_DEP_1)
	v_mul_f32_e32 v12, v12, v13
	v_xor_b32_e32 v13, 0x80000000, v13
.LBB186_46:                             ;   in Loop: Header=BB186_5 Depth=1
	s_and_not1_saveexec_b32 s12, s12
	s_cbranch_execz .LBB186_48
; %bb.47:                               ;   in Loop: Header=BB186_5 Depth=1
	v_div_scale_f32 v12, null, v10, v10, v11
	v_div_scale_f32 v15, vcc_lo, v11, v10, v11
	s_delay_alu instid0(VALU_DEP_2) | instskip(SKIP_1) | instid1(TRANS32_DEP_1)
	v_rcp_f32_e32 v13, v12
	v_nop
	v_fma_f32 v14, -v12, v13, 1.0
	s_delay_alu instid0(VALU_DEP_1) | instskip(NEXT) | instid1(VALU_DEP_1)
	v_fmac_f32_e32 v13, v14, v13
	v_mul_f32_e32 v14, v15, v13
	s_delay_alu instid0(VALU_DEP_1) | instskip(NEXT) | instid1(VALU_DEP_1)
	v_fma_f32 v16, -v12, v14, v15
	v_fmac_f32_e32 v14, v16, v13
	s_delay_alu instid0(VALU_DEP_1) | instskip(NEXT) | instid1(VALU_DEP_1)
	v_fma_f32 v12, -v12, v14, v15
	v_div_fmas_f32 v12, v12, v13, v14
	s_delay_alu instid0(VALU_DEP_1) | instskip(NEXT) | instid1(VALU_DEP_1)
	v_div_fixup_f32 v13, v12, v10, v11
	v_fma_f32 v12, v11, v13, v10
	s_delay_alu instid0(VALU_DEP_1) | instskip(NEXT) | instid1(VALU_DEP_1)
	v_div_scale_f32 v14, null, v12, v12, 1.0
	v_rcp_f32_e32 v15, v14
	v_nop
	s_delay_alu instid0(TRANS32_DEP_1) | instskip(NEXT) | instid1(VALU_DEP_1)
	v_fma_f32 v16, -v14, v15, 1.0
	v_fmac_f32_e32 v15, v16, v15
	v_div_scale_f32 v16, vcc_lo, 1.0, v12, 1.0
	s_delay_alu instid0(VALU_DEP_1) | instskip(NEXT) | instid1(VALU_DEP_1)
	v_mul_f32_e32 v17, v16, v15
	v_fma_f32 v21, -v14, v17, v16
	s_delay_alu instid0(VALU_DEP_1) | instskip(NEXT) | instid1(VALU_DEP_1)
	v_fmac_f32_e32 v17, v21, v15
	v_fma_f32 v14, -v14, v17, v16
	s_delay_alu instid0(VALU_DEP_1) | instskip(NEXT) | instid1(VALU_DEP_1)
	v_div_fmas_f32 v14, v14, v15, v17
	v_div_fixup_f32 v12, v14, v12, 1.0
	s_delay_alu instid0(VALU_DEP_1)
	v_mul_f32_e64 v13, v13, -v12
.LBB186_48:                             ;   in Loop: Header=BB186_5 Depth=1
	s_or_b32 exec_lo, exec_lo, s12
	s_mov_b32 s12, 0
.LBB186_49:                             ;   in Loop: Header=BB186_5 Depth=1
	s_delay_alu instid0(SALU_CYCLE_1)
	s_and_not1_b32 vcc_lo, exec_lo, s12
	s_cbranch_vccnz .LBB186_2
; %bb.50:                               ;   in Loop: Header=BB186_5 Depth=1
	s_wait_loadcnt_dscnt 0x0
	v_mov_b64_e32 v[12:13], v[10:11]
	s_branch .LBB186_2
.LBB186_51:
	s_endpgm
	.section	.rodata,"a",@progbits
	.p2align	6, 0x0
	.amdhsa_kernel _ZL39rocblas_trsm_block_forward_substitutionI19rocblas_complex_numIfES1_PKS1_PS1_Lb1ELb1ELb0EEv18rocblas_operation_llT0_T1_lllT2_lllib
		.amdhsa_group_segment_fixed_size 0
		.amdhsa_private_segment_fixed_size 0
		.amdhsa_kernarg_size 360
		.amdhsa_user_sgpr_count 2
		.amdhsa_user_sgpr_dispatch_ptr 0
		.amdhsa_user_sgpr_queue_ptr 0
		.amdhsa_user_sgpr_kernarg_segment_ptr 1
		.amdhsa_user_sgpr_dispatch_id 0
		.amdhsa_user_sgpr_kernarg_preload_length 0
		.amdhsa_user_sgpr_kernarg_preload_offset 0
		.amdhsa_user_sgpr_private_segment_size 0
		.amdhsa_wavefront_size32 1
		.amdhsa_uses_dynamic_stack 0
		.amdhsa_enable_private_segment 0
		.amdhsa_system_sgpr_workgroup_id_x 1
		.amdhsa_system_sgpr_workgroup_id_y 1
		.amdhsa_system_sgpr_workgroup_id_z 1
		.amdhsa_system_sgpr_workgroup_info 0
		.amdhsa_system_vgpr_workitem_id 1
		.amdhsa_next_free_vgpr 26
		.amdhsa_next_free_sgpr 44
		.amdhsa_named_barrier_count 0
		.amdhsa_reserve_vcc 1
		.amdhsa_float_round_mode_32 0
		.amdhsa_float_round_mode_16_64 0
		.amdhsa_float_denorm_mode_32 3
		.amdhsa_float_denorm_mode_16_64 3
		.amdhsa_fp16_overflow 0
		.amdhsa_memory_ordered 1
		.amdhsa_forward_progress 1
		.amdhsa_inst_pref_size 23
		.amdhsa_round_robin_scheduling 0
		.amdhsa_exception_fp_ieee_invalid_op 0
		.amdhsa_exception_fp_denorm_src 0
		.amdhsa_exception_fp_ieee_div_zero 0
		.amdhsa_exception_fp_ieee_overflow 0
		.amdhsa_exception_fp_ieee_underflow 0
		.amdhsa_exception_fp_ieee_inexact 0
		.amdhsa_exception_int_div_zero 0
	.end_amdhsa_kernel
	.section	.text._ZL39rocblas_trsm_block_forward_substitutionI19rocblas_complex_numIfES1_PKS1_PS1_Lb1ELb1ELb0EEv18rocblas_operation_llT0_T1_lllT2_lllib,"axG",@progbits,_ZL39rocblas_trsm_block_forward_substitutionI19rocblas_complex_numIfES1_PKS1_PS1_Lb1ELb1ELb0EEv18rocblas_operation_llT0_T1_lllT2_lllib,comdat
.Lfunc_end186:
	.size	_ZL39rocblas_trsm_block_forward_substitutionI19rocblas_complex_numIfES1_PKS1_PS1_Lb1ELb1ELb0EEv18rocblas_operation_llT0_T1_lllT2_lllib, .Lfunc_end186-_ZL39rocblas_trsm_block_forward_substitutionI19rocblas_complex_numIfES1_PKS1_PS1_Lb1ELb1ELb0EEv18rocblas_operation_llT0_T1_lllT2_lllib
                                        ; -- End function
	.set _ZL39rocblas_trsm_block_forward_substitutionI19rocblas_complex_numIfES1_PKS1_PS1_Lb1ELb1ELb0EEv18rocblas_operation_llT0_T1_lllT2_lllib.num_vgpr, 26
	.set _ZL39rocblas_trsm_block_forward_substitutionI19rocblas_complex_numIfES1_PKS1_PS1_Lb1ELb1ELb0EEv18rocblas_operation_llT0_T1_lllT2_lllib.num_agpr, 0
	.set _ZL39rocblas_trsm_block_forward_substitutionI19rocblas_complex_numIfES1_PKS1_PS1_Lb1ELb1ELb0EEv18rocblas_operation_llT0_T1_lllT2_lllib.numbered_sgpr, 44
	.set _ZL39rocblas_trsm_block_forward_substitutionI19rocblas_complex_numIfES1_PKS1_PS1_Lb1ELb1ELb0EEv18rocblas_operation_llT0_T1_lllT2_lllib.num_named_barrier, 0
	.set _ZL39rocblas_trsm_block_forward_substitutionI19rocblas_complex_numIfES1_PKS1_PS1_Lb1ELb1ELb0EEv18rocblas_operation_llT0_T1_lllT2_lllib.private_seg_size, 0
	.set _ZL39rocblas_trsm_block_forward_substitutionI19rocblas_complex_numIfES1_PKS1_PS1_Lb1ELb1ELb0EEv18rocblas_operation_llT0_T1_lllT2_lllib.uses_vcc, 1
	.set _ZL39rocblas_trsm_block_forward_substitutionI19rocblas_complex_numIfES1_PKS1_PS1_Lb1ELb1ELb0EEv18rocblas_operation_llT0_T1_lllT2_lllib.uses_flat_scratch, 0
	.set _ZL39rocblas_trsm_block_forward_substitutionI19rocblas_complex_numIfES1_PKS1_PS1_Lb1ELb1ELb0EEv18rocblas_operation_llT0_T1_lllT2_lllib.has_dyn_sized_stack, 0
	.set _ZL39rocblas_trsm_block_forward_substitutionI19rocblas_complex_numIfES1_PKS1_PS1_Lb1ELb1ELb0EEv18rocblas_operation_llT0_T1_lllT2_lllib.has_recursion, 0
	.set _ZL39rocblas_trsm_block_forward_substitutionI19rocblas_complex_numIfES1_PKS1_PS1_Lb1ELb1ELb0EEv18rocblas_operation_llT0_T1_lllT2_lllib.has_indirect_call, 0
	.section	.AMDGPU.csdata,"",@progbits
; Kernel info:
; codeLenInByte = 2828
; TotalNumSgprs: 46
; NumVgprs: 26
; ScratchSize: 0
; MemoryBound: 0
; FloatMode: 240
; IeeeMode: 1
; LDSByteSize: 0 bytes/workgroup (compile time only)
; SGPRBlocks: 0
; VGPRBlocks: 1
; NumSGPRsForWavesPerEU: 46
; NumVGPRsForWavesPerEU: 26
; NamedBarCnt: 0
; Occupancy: 16
; WaveLimiterHint : 0
; COMPUTE_PGM_RSRC2:SCRATCH_EN: 0
; COMPUTE_PGM_RSRC2:USER_SGPR: 2
; COMPUTE_PGM_RSRC2:TRAP_HANDLER: 0
; COMPUTE_PGM_RSRC2:TGID_X_EN: 1
; COMPUTE_PGM_RSRC2:TGID_Y_EN: 1
; COMPUTE_PGM_RSRC2:TGID_Z_EN: 1
; COMPUTE_PGM_RSRC2:TIDIG_COMP_CNT: 1
	.section	.text._ZL40rocblas_trsm_block_backward_substitutionI19rocblas_complex_numIfES1_PKS1_PS1_Lb1ELb1ELb0EEv18rocblas_operation_llT0_T1_lllT2_lllib,"axG",@progbits,_ZL40rocblas_trsm_block_backward_substitutionI19rocblas_complex_numIfES1_PKS1_PS1_Lb1ELb1ELb0EEv18rocblas_operation_llT0_T1_lllT2_lllib,comdat
	.globl	_ZL40rocblas_trsm_block_backward_substitutionI19rocblas_complex_numIfES1_PKS1_PS1_Lb1ELb1ELb0EEv18rocblas_operation_llT0_T1_lllT2_lllib ; -- Begin function _ZL40rocblas_trsm_block_backward_substitutionI19rocblas_complex_numIfES1_PKS1_PS1_Lb1ELb1ELb0EEv18rocblas_operation_llT0_T1_lllT2_lllib
	.p2align	8
	.type	_ZL40rocblas_trsm_block_backward_substitutionI19rocblas_complex_numIfES1_PKS1_PS1_Lb1ELb1ELb0EEv18rocblas_operation_llT0_T1_lllT2_lllib,@function
_ZL40rocblas_trsm_block_backward_substitutionI19rocblas_complex_numIfES1_PKS1_PS1_Lb1ELb1ELb0EEv18rocblas_operation_llT0_T1_lllT2_lllib: ; @_ZL40rocblas_trsm_block_backward_substitutionI19rocblas_complex_numIfES1_PKS1_PS1_Lb1ELb1ELb0EEv18rocblas_operation_llT0_T1_lllT2_lllib
; %bb.0:
	s_load_b64 s[24:25], s[0:1], 0x60
	s_bfe_u32 s2, ttmp6, 0x40014
	s_lshr_b32 s3, ttmp7, 16
	s_add_co_i32 s2, s2, 1
	s_bfe_u32 s4, ttmp6, 0x40008
	s_mul_i32 s2, s3, s2
	s_getreg_b32 s28, hwreg(HW_REG_IB_STS2, 6, 4)
	s_add_co_i32 s4, s4, s2
	s_cmp_eq_u32 s28, 0
	s_mov_b32 s27, 0
	s_cselect_b32 s26, s3, s4
	s_wait_kmcnt 0x0
	s_cmp_ge_u32 s26, s24
	s_cbranch_scc1 .LBB187_52
; %bb.1:
	s_mov_b64 s[2:3], src_shared_base
	s_clause 0x1
	s_load_b32 s2, s[0:1], 0x0
	s_load_b512 s[4:19], s[0:1], 0x20
	s_bitcmp1_b32 s25, 0
	s_clause 0x1
	s_load_u16 s25, s[0:1], 0x76
	s_load_b128 s[20:23], s[0:1], 0x8
	s_cselect_b32 s29, -1, 0
	v_bfe_u32 v23, v0, 10, 10
	s_xor_b32 s33, s29, -1
	v_and_b32_e32 v0, 0x3ff, v0
	v_mov_b32_e32 v3, 0
	v_cndmask_b32_e64 v22, 0, 1, s29
	v_lshl_add_u32 v24, v23, 3, 0
	s_delay_alu instid0(VALU_DEP_3) | instskip(SKIP_1) | instid1(VALU_DEP_2)
	v_dual_mov_b32 v1, v3 :: v_dual_lshlrev_b32 v10, 3, v0
	v_dual_mov_b32 v11, v3 :: v_dual_mov_b32 v7, v3
	v_or_b32_e32 v6, 4, v10
	s_wait_kmcnt 0x0
	s_cmp_lg_u32 s2, 0x71
	v_mul_u64_e32 v[4:5], s[8:9], v[0:1]
	s_cselect_b32 s38, -1, 0
	s_bfe_u32 s2, ttmp6, 0x40010
	s_lshl_b64 s[34:35], s[6:7], 3
	s_and_b32 s6, ttmp7, 0xffff
	s_add_co_i32 s2, s2, 1
	s_bfe_u32 s7, ttmp6, 0x40004
	s_mul_i32 s2, s6, s2
	s_lshl_b64 s[36:37], s[14:15], 3
	s_add_co_i32 s7, s7, s2
	s_cmp_eq_u32 s28, 0
	s_add_nc_u64 s[14:15], s[0:1], 0x68
	s_cselect_b32 s2, s6, s7
	s_load_b64 s[6:7], s[0:1], 0x18
	v_mad_u32 v2, s2, s25, v23
	v_cmp_le_i64_e64 s39, s[20:21], v[0:1]
	s_wait_xcnt 0x0
	v_cmp_gt_i64_e64 s1, s[20:21], v[0:1]
	v_cmp_gt_i64_e64 s40, s[20:21], 0
	v_cmp_lt_i64_e64 s42, s[20:21], 2
	v_cmp_eq_u32_e64 s0, 0, v0
	s_add_nc_u64 s[30:31], s[20:21], -1
	s_add_nc_u64 s[4:5], s[4:5], s[34:35]
	s_xor_b32 s43, s39, -1
	v_mul_u64_e32 v[8:9], s[16:17], v[2:3]
	s_mov_b32 s17, s3
	s_add_nc_u64 s[2:3], s[12:13], s[36:37]
	v_cmp_gt_i64_e32 vcc_lo, s[22:23], v[2:3]
	s_lshl_b32 s12, s25, 3
	v_lshlrev_b32_e32 v2, 3, v0
	s_add_co_i32 s16, s12, 0
	s_lshl_b64 s[12:13], s[30:31], 3
	v_add_nc_u32_e32 v25, s16, v10
	s_wait_kmcnt 0x0
	s_mov_b32 s28, s7
	s_and_b32 s41, vcc_lo, s1
	s_mov_b32 s29, s6
	s_delay_alu instid0(VALU_DEP_4) | instskip(NEXT) | instid1(VALU_DEP_1)
	v_lshl_add_u64 v[8:9], v[8:9], 3, s[2:3]
	v_add_nc_u64_e32 v[8:9], v[8:9], v[10:11]
	s_branch .LBB187_5
.LBB187_2:                              ;   in Loop: Header=BB187_5 Depth=1
	s_wait_loadcnt_dscnt 0x0
	s_wait_xcnt 0x0
	s_delay_alu instid0(VALU_DEP_1) | instskip(NEXT) | instid1(VALU_DEP_1)
	v_pk_mul_f32 v[14:15], v[12:13], v[16:17] op_sel:[1,1] op_sel_hi:[1,0]
	v_pk_fma_f32 v[18:19], v[12:13], v[16:17], v[14:15] op_sel_hi:[0,1,1]
	v_pk_fma_f32 v[12:13], v[12:13], v[16:17], v[14:15] neg_lo:[0,0,1] neg_hi:[0,0,1]
	s_delay_alu instid0(VALU_DEP_2)
	v_mov_b32_e32 v13, v19
.LBB187_3:                              ;   in Loop: Header=BB187_5 Depth=1
	s_or_b32 exec_lo, exec_lo, s34
	global_store_b64 v[10:11], v[12:13], off
.LBB187_4:                              ;   in Loop: Header=BB187_5 Depth=1
	s_wait_xcnt 0x0
	s_or_b32 exec_lo, exec_lo, s44
	s_add_co_i32 s26, s26, 0x10000
	s_delay_alu instid0(SALU_CYCLE_1)
	s_cmp_lt_u32 s26, s24
	s_cbranch_scc0 .LBB187_52
.LBB187_5:                              ; =>This Loop Header: Depth=1
                                        ;     Child Loop BB187_10 Depth 2
                                        ;     Child Loop BB187_28 Depth 2
	v_cmp_ne_u32_e32 vcc_lo, 1, v22
	s_mul_u64 s[2:3], s[10:11], s[26:27]
	s_delay_alu instid0(SALU_CYCLE_1) | instskip(NEXT) | instid1(SALU_CYCLE_1)
	s_lshl_b64 s[2:3], s[2:3], 3
	s_add_nc_u64 s[2:3], s[4:5], s[2:3]
	s_cbranch_vccnz .LBB187_20
; %bb.6:                                ;   in Loop: Header=BB187_5 Depth=1
	s_and_not1_b32 vcc_lo, exec_lo, s40
	s_cbranch_vccnz .LBB187_21
; %bb.7:                                ;   in Loop: Header=BB187_5 Depth=1
	v_add_nc_u64_e32 v[10:11], s[2:3], v[2:3]
	v_mov_b32_e32 v14, v23
	s_mov_b32 s22, s25
	s_delay_alu instid0(VALU_DEP_2)
	v_lshl_add_u64 v[12:13], v[4:5], 3, v[10:11]
	s_branch .LBB187_10
.LBB187_8:                              ;   in Loop: Header=BB187_10 Depth=2
	s_or_b32 exec_lo, exec_lo, s3
	s_load_b32 s3, s[14:15], 0xc
	s_wait_kmcnt 0x0
	s_and_b32 s3, s3, 0xffff
	s_delay_alu instid0(SALU_CYCLE_1) | instskip(NEXT) | instid1(VALU_DEP_1)
	v_mul_u32_u24_e32 v15, s3, v0
	v_lshl_add_u32 v15, v15, 3, v25
	ds_store_b64 v15, v[18:19]
.LBB187_9:                              ;   in Loop: Header=BB187_10 Depth=2
	s_or_b32 exec_lo, exec_lo, s2
	s_ashr_i32 s23, s22, 31
	v_add_nc_u32_e32 v14, s25, v14
	v_cmp_le_i64_e64 s2, s[20:21], s[22:23]
	s_add_co_i32 s22, s22, s25
	s_and_b32 vcc_lo, exec_lo, s2
	s_cbranch_vccnz .LBB187_21
.LBB187_10:                             ;   Parent Loop BB187_5 Depth=1
                                        ; =>  This Inner Loop Header: Depth=2
	s_mov_b32 s23, s39
	s_and_saveexec_b32 s3, s1
	s_cbranch_execz .LBB187_14
; %bb.11:                               ;   in Loop: Header=BB187_10 Depth=2
	v_ashrrev_i32_e32 v15, 31, v14
	v_cmp_lt_i32_e64 s2, v0, v14
	s_mov_b32 s23, -1
	v_cmp_gt_i64_e32 vcc_lo, s[20:21], v[14:15]
	s_and_b32 s34, s2, vcc_lo
	s_delay_alu instid0(SALU_CYCLE_1)
	s_and_saveexec_b32 s2, s34
	s_cbranch_execz .LBB187_13
; %bb.12:                               ;   in Loop: Header=BB187_10 Depth=2
	v_mul_u64_e32 v[16:17], s[8:9], v[14:15]
	s_load_b32 s23, s[14:15], 0xc
	s_wait_kmcnt 0x0
	s_and_b32 s23, s23, 0xffff
	s_delay_alu instid0(SALU_CYCLE_1) | instskip(SKIP_1) | instid1(VALU_DEP_2)
	v_mul_lo_u32 v15, v14, s23
	s_xor_b32 s23, exec_lo, -1
	v_lshl_add_u64 v[16:17], v[16:17], 3, v[10:11]
	s_delay_alu instid0(VALU_DEP_2)
	v_lshl_add_u32 v15, v15, 3, v25
	global_load_b64 v[16:17], v[16:17], off
	s_wait_loadcnt 0x0
	ds_store_b64 v15, v[16:17]
.LBB187_13:                             ;   in Loop: Header=BB187_10 Depth=2
	s_wait_xcnt 0x0
	s_or_b32 exec_lo, exec_lo, s2
	s_delay_alu instid0(SALU_CYCLE_1) | instskip(SKIP_1) | instid1(SALU_CYCLE_1)
	s_and_not1_b32 s2, s39, exec_lo
	s_and_b32 s23, s23, exec_lo
	s_or_b32 s23, s2, s23
.LBB187_14:                             ;   in Loop: Header=BB187_10 Depth=2
	s_or_b32 exec_lo, exec_lo, s3
	s_and_saveexec_b32 s2, s23
	s_cbranch_execz .LBB187_9
; %bb.15:                               ;   in Loop: Header=BB187_10 Depth=2
	v_cmp_eq_u32_e32 vcc_lo, v0, v14
	s_and_b32 s3, s43, vcc_lo
	s_delay_alu instid0(SALU_CYCLE_1)
	s_and_b32 exec_lo, exec_lo, s3
	s_cbranch_execz .LBB187_9
; %bb.16:                               ;   in Loop: Header=BB187_10 Depth=2
	global_load_b64 v[16:17], v[12:13], off
                                        ; implicit-def: $vgpr18_vgpr19
	s_wait_loadcnt 0x0
	v_cmp_ngt_f32_e64 s3, |v16|, |v17|
	s_wait_xcnt 0x0
	s_and_saveexec_b32 s23, s3
	s_delay_alu instid0(SALU_CYCLE_1)
	s_xor_b32 s3, exec_lo, s23
	s_cbranch_execz .LBB187_18
; %bb.17:                               ;   in Loop: Header=BB187_10 Depth=2
	v_div_scale_f32 v15, null, v17, v17, v16
	v_div_scale_f32 v20, vcc_lo, v16, v17, v16
	s_delay_alu instid0(VALU_DEP_2) | instskip(SKIP_1) | instid1(TRANS32_DEP_1)
	v_rcp_f32_e32 v18, v15
	v_nop
	v_fma_f32 v19, -v15, v18, 1.0
	s_delay_alu instid0(VALU_DEP_1) | instskip(NEXT) | instid1(VALU_DEP_1)
	v_fmac_f32_e32 v18, v19, v18
	v_mul_f32_e32 v19, v20, v18
	s_delay_alu instid0(VALU_DEP_1) | instskip(NEXT) | instid1(VALU_DEP_1)
	v_fma_f32 v21, -v15, v19, v20
	v_fmac_f32_e32 v19, v21, v18
	s_delay_alu instid0(VALU_DEP_1) | instskip(NEXT) | instid1(VALU_DEP_1)
	v_fma_f32 v15, -v15, v19, v20
	v_div_fmas_f32 v15, v15, v18, v19
	s_delay_alu instid0(VALU_DEP_1) | instskip(NEXT) | instid1(VALU_DEP_1)
	v_div_fixup_f32 v15, v15, v17, v16
	v_fmac_f32_e32 v17, v16, v15
	s_delay_alu instid0(VALU_DEP_1) | instskip(SKIP_1) | instid1(VALU_DEP_2)
	v_div_scale_f32 v16, null, v17, v17, 1.0
	v_div_scale_f32 v20, vcc_lo, 1.0, v17, 1.0
	v_rcp_f32_e32 v18, v16
	v_nop
	s_delay_alu instid0(TRANS32_DEP_1) | instskip(NEXT) | instid1(VALU_DEP_1)
	v_fma_f32 v19, -v16, v18, 1.0
	v_fmac_f32_e32 v18, v19, v18
	s_delay_alu instid0(VALU_DEP_1) | instskip(NEXT) | instid1(VALU_DEP_1)
	v_mul_f32_e32 v19, v20, v18
	v_fma_f32 v21, -v16, v19, v20
	s_delay_alu instid0(VALU_DEP_1) | instskip(NEXT) | instid1(VALU_DEP_1)
	v_fmac_f32_e32 v19, v21, v18
	v_fma_f32 v16, -v16, v19, v20
	s_delay_alu instid0(VALU_DEP_1) | instskip(NEXT) | instid1(VALU_DEP_1)
	v_div_fmas_f32 v16, v16, v18, v19
	v_div_fixup_f32 v16, v16, v17, 1.0
	s_delay_alu instid0(VALU_DEP_1)
	v_mul_f32_e32 v18, v15, v16
	v_xor_b32_e32 v19, 0x80000000, v16
                                        ; implicit-def: $vgpr16_vgpr17
.LBB187_18:                             ;   in Loop: Header=BB187_10 Depth=2
	s_and_not1_saveexec_b32 s3, s3
	s_cbranch_execz .LBB187_8
; %bb.19:                               ;   in Loop: Header=BB187_10 Depth=2
	v_div_scale_f32 v15, null, v16, v16, v17
	v_div_scale_f32 v20, vcc_lo, v17, v16, v17
	s_delay_alu instid0(VALU_DEP_2) | instskip(SKIP_1) | instid1(TRANS32_DEP_1)
	v_rcp_f32_e32 v18, v15
	v_nop
	v_fma_f32 v19, -v15, v18, 1.0
	s_delay_alu instid0(VALU_DEP_1) | instskip(NEXT) | instid1(VALU_DEP_1)
	v_fmac_f32_e32 v18, v19, v18
	v_mul_f32_e32 v19, v20, v18
	s_delay_alu instid0(VALU_DEP_1) | instskip(NEXT) | instid1(VALU_DEP_1)
	v_fma_f32 v21, -v15, v19, v20
	v_fmac_f32_e32 v19, v21, v18
	s_delay_alu instid0(VALU_DEP_1) | instskip(NEXT) | instid1(VALU_DEP_1)
	v_fma_f32 v15, -v15, v19, v20
	v_div_fmas_f32 v15, v15, v18, v19
	s_delay_alu instid0(VALU_DEP_1) | instskip(NEXT) | instid1(VALU_DEP_1)
	v_div_fixup_f32 v15, v15, v16, v17
	v_fmac_f32_e32 v16, v17, v15
	s_delay_alu instid0(VALU_DEP_1) | instskip(NEXT) | instid1(VALU_DEP_1)
	v_div_scale_f32 v17, null, v16, v16, 1.0
	v_rcp_f32_e32 v18, v17
	v_nop
	s_delay_alu instid0(TRANS32_DEP_1) | instskip(NEXT) | instid1(VALU_DEP_1)
	v_fma_f32 v19, -v17, v18, 1.0
	v_fmac_f32_e32 v18, v19, v18
	v_div_scale_f32 v19, vcc_lo, 1.0, v16, 1.0
	s_delay_alu instid0(VALU_DEP_1) | instskip(NEXT) | instid1(VALU_DEP_1)
	v_mul_f32_e32 v20, v19, v18
	v_fma_f32 v21, -v17, v20, v19
	s_delay_alu instid0(VALU_DEP_1) | instskip(NEXT) | instid1(VALU_DEP_1)
	v_fmac_f32_e32 v20, v21, v18
	v_fma_f32 v17, -v17, v20, v19
	s_delay_alu instid0(VALU_DEP_1) | instskip(NEXT) | instid1(VALU_DEP_1)
	v_div_fmas_f32 v17, v17, v18, v20
	v_div_fixup_f32 v18, v17, v16, 1.0
	s_delay_alu instid0(VALU_DEP_1)
	v_mul_f32_e64 v19, v15, -v18
	s_branch .LBB187_8
.LBB187_20:                             ;   in Loop: Header=BB187_5 Depth=1
	s_mov_b64 s[22:23], s[8:9]
	s_and_saveexec_b32 s44, s41
	s_cbranch_execz .LBB187_4
	s_branch .LBB187_22
.LBB187_21:                             ;   in Loop: Header=BB187_5 Depth=1
	s_load_b32 s2, s[14:15], 0xc
	s_mov_b32 s23, s27
	s_wait_kmcnt 0x0
	s_and_b32 s22, s2, 0xffff
	s_mov_b64 s[2:3], s[16:17]
	s_and_saveexec_b32 s44, s41
	s_cbranch_execz .LBB187_4
.LBB187_22:                             ;   in Loop: Header=BB187_5 Depth=1
	s_mul_u64 s[34:35], s[18:19], s[26:27]
	v_mov_b64_e32 v[14:15], s[28:29]
	v_lshl_add_u64 v[10:11], s[34:35], 3, v[8:9]
	v_mov_b64_e32 v[16:17], s[6:7]
	s_and_not1_b32 vcc_lo, exec_lo, s42
	s_mov_b32 s34, -1
	global_load_b64 v[12:13], v[10:11], off
	s_wait_loadcnt 0x0
	v_pk_mul_f32 v[14:15], v[14:15], v[12:13] op_sel:[0,1]
	v_pk_mul_f32 v[20:21], v[16:17], v[12:13] op_sel_hi:[1,0]
	s_delay_alu instid0(VALU_DEP_2) | instskip(NEXT) | instid1(VALU_DEP_2)
	v_pk_fma_f32 v[18:19], v[16:17], v[12:13], v[14:15] op_sel_hi:[1,0,1]
	v_sub_f32_e32 v18, v20, v14
                                        ; implicit-def: $vgpr12_vgpr13
	s_cbranch_vccnz .LBB187_24
; %bb.23:                               ;   in Loop: Header=BB187_5 Depth=1
	s_delay_alu instid0(VALU_DEP_1)
	v_mov_b64_e32 v[12:13], v[18:19]
	s_mov_b32 s34, 0
.LBB187_24:                             ;   in Loop: Header=BB187_5 Depth=1
	s_delay_alu instid0(SALU_CYCLE_1)
	s_and_not1_b32 vcc_lo, exec_lo, s34
	s_cbranch_vccnz .LBB187_43
; %bb.25:                               ;   in Loop: Header=BB187_5 Depth=1
	v_mad_nc_u64_u32 v[12:13], v0, s22, v[0:1]
	v_add_nc_u64_e32 v[14:15], s[2:3], v[6:7]
	s_mul_i32 s34, s13, s22
	s_mul_i32 s35, s12, s23
	s_mov_b64 s[36:37], s[30:31]
	s_delay_alu instid0(VALU_DEP_1) | instskip(NEXT) | instid1(VALU_DEP_3)
	v_mad_nc_u64_u32 v[14:15], s12, s22, v[14:15]
	v_mad_u32 v13, v0, s23, v13
	s_delay_alu instid0(VALU_DEP_2) | instskip(SKIP_1) | instid1(SALU_CYCLE_1)
	v_add3_u32 v15, s35, s34, v15
	s_lshl_b64 s[34:35], s[22:23], 3
	s_sub_nc_u64 s[34:35], 0, s[34:35]
	s_delay_alu instid0(VALU_DEP_2)
	v_lshl_add_u64 v[16:17], v[12:13], 3, s[2:3]
	s_branch .LBB187_28
.LBB187_26:                             ;   in Loop: Header=BB187_28 Depth=2
	ds_load_b64 v[26:27], v24
	s_wait_dscnt 0x0
	v_pk_mul_f32 v[20:21], v[20:21], v[26:27] op_sel:[0,1] op_sel_hi:[0,0]
	s_delay_alu instid0(VALU_DEP_1) | instskip(SKIP_1) | instid1(VALU_DEP_2)
	v_pk_fma_f32 v[28:29], v[26:27], v[18:19], v[20:21] op_sel_hi:[1,0,1]
	v_pk_fma_f32 v[18:19], v[26:27], v[18:19], v[20:21] neg_lo:[0,0,1] neg_hi:[0,0,1]
	v_mov_b32_e32 v19, v29
	s_delay_alu instid0(VALU_DEP_1) | instskip(NEXT) | instid1(VALU_DEP_1)
	v_pk_add_f32 v[18:19], v[12:13], v[18:19] neg_lo:[0,1] neg_hi:[0,1]
	v_mov_b64_e32 v[12:13], v[18:19]
.LBB187_27:                             ;   in Loop: Header=BB187_28 Depth=2
	s_wait_xcnt 0x0
	s_or_b32 exec_lo, exec_lo, s45
	s_add_nc_u64 s[46:47], s[36:37], 1
	v_add_nc_u64_e32 v[14:15], s[34:35], v[14:15]
	v_cmp_lt_u64_e64 s45, s[46:47], 3
	s_add_nc_u64 s[36:37], s[36:37], -1
	s_and_b32 vcc_lo, exec_lo, s45
	s_cbranch_vccnz .LBB187_43
.LBB187_28:                             ;   Parent Loop BB187_5 Depth=1
                                        ; =>  This Inner Loop Header: Depth=2
	v_mov_b64_e32 v[12:13], v[18:19]
	s_mov_b32 s45, exec_lo
	s_wait_dscnt 0x0
	s_barrier_signal -1
	s_barrier_wait -1
	s_wait_xcnt 0x0
	v_cmpx_eq_u64_e64 s[36:37], v[0:1]
	s_cbranch_execz .LBB187_38
; %bb.29:                               ;   in Loop: Header=BB187_28 Depth=2
	flat_load_b64 v[12:13], v[16:17]
	s_and_b32 vcc_lo, exec_lo, s33
	s_mov_b32 s46, -1
                                        ; implicit-def: $vgpr20_vgpr21
	s_cbranch_vccz .LBB187_35
; %bb.30:                               ;   in Loop: Header=BB187_28 Depth=2
	s_wait_loadcnt_dscnt 0x0
	v_cmp_ngt_f32_e64 s46, |v12|, |v13|
                                        ; implicit-def: $vgpr20_vgpr21
	s_wait_xcnt 0x0
	s_and_saveexec_b32 s47, s46
	s_delay_alu instid0(SALU_CYCLE_1)
	s_xor_b32 s46, exec_lo, s47
	s_cbranch_execz .LBB187_32
; %bb.31:                               ;   in Loop: Header=BB187_28 Depth=2
	v_div_scale_f32 v20, null, v13, v13, v12
	v_div_scale_f32 v27, vcc_lo, v12, v13, v12
	s_delay_alu instid0(VALU_DEP_2) | instskip(SKIP_1) | instid1(TRANS32_DEP_1)
	v_rcp_f32_e32 v21, v20
	v_nop
	v_fma_f32 v26, -v20, v21, 1.0
	s_delay_alu instid0(VALU_DEP_1) | instskip(NEXT) | instid1(VALU_DEP_1)
	v_fmac_f32_e32 v21, v26, v21
	v_mul_f32_e32 v26, v27, v21
	s_delay_alu instid0(VALU_DEP_1) | instskip(NEXT) | instid1(VALU_DEP_1)
	v_fma_f32 v28, -v20, v26, v27
	v_fmac_f32_e32 v26, v28, v21
	s_delay_alu instid0(VALU_DEP_1) | instskip(NEXT) | instid1(VALU_DEP_1)
	v_fma_f32 v20, -v20, v26, v27
	v_div_fmas_f32 v20, v20, v21, v26
	s_delay_alu instid0(VALU_DEP_1) | instskip(NEXT) | instid1(VALU_DEP_1)
	v_div_fixup_f32 v20, v20, v13, v12
	v_fma_f32 v21, v12, v20, v13
	s_delay_alu instid0(VALU_DEP_1) | instskip(SKIP_1) | instid1(VALU_DEP_2)
	v_div_scale_f32 v26, null, v21, v21, 1.0
	v_div_scale_f32 v29, vcc_lo, 1.0, v21, 1.0
	v_rcp_f32_e32 v27, v26
	v_nop
	s_delay_alu instid0(TRANS32_DEP_1) | instskip(NEXT) | instid1(VALU_DEP_1)
	v_fma_f32 v28, -v26, v27, 1.0
	v_fmac_f32_e32 v27, v28, v27
	s_delay_alu instid0(VALU_DEP_1) | instskip(NEXT) | instid1(VALU_DEP_1)
	v_mul_f32_e32 v28, v29, v27
	v_fma_f32 v30, -v26, v28, v29
	s_delay_alu instid0(VALU_DEP_1) | instskip(NEXT) | instid1(VALU_DEP_1)
	v_fmac_f32_e32 v28, v30, v27
	v_fma_f32 v26, -v26, v28, v29
	s_delay_alu instid0(VALU_DEP_1) | instskip(NEXT) | instid1(VALU_DEP_1)
	v_div_fmas_f32 v26, v26, v27, v28
	v_div_fixup_f32 v21, v26, v21, 1.0
	s_delay_alu instid0(VALU_DEP_1)
	v_mul_f32_e32 v20, v20, v21
	v_xor_b32_e32 v21, 0x80000000, v21
.LBB187_32:                             ;   in Loop: Header=BB187_28 Depth=2
	s_and_not1_saveexec_b32 s46, s46
	s_cbranch_execz .LBB187_34
; %bb.33:                               ;   in Loop: Header=BB187_28 Depth=2
	v_div_scale_f32 v20, null, v12, v12, v13
	v_div_scale_f32 v27, vcc_lo, v13, v12, v13
	s_delay_alu instid0(VALU_DEP_2) | instskip(SKIP_1) | instid1(TRANS32_DEP_1)
	v_rcp_f32_e32 v21, v20
	v_nop
	v_fma_f32 v26, -v20, v21, 1.0
	s_delay_alu instid0(VALU_DEP_1) | instskip(NEXT) | instid1(VALU_DEP_1)
	v_fmac_f32_e32 v21, v26, v21
	v_mul_f32_e32 v26, v27, v21
	s_delay_alu instid0(VALU_DEP_1) | instskip(NEXT) | instid1(VALU_DEP_1)
	v_fma_f32 v28, -v20, v26, v27
	v_fmac_f32_e32 v26, v28, v21
	s_delay_alu instid0(VALU_DEP_1) | instskip(NEXT) | instid1(VALU_DEP_1)
	v_fma_f32 v20, -v20, v26, v27
	v_div_fmas_f32 v20, v20, v21, v26
	s_delay_alu instid0(VALU_DEP_1) | instskip(NEXT) | instid1(VALU_DEP_1)
	v_div_fixup_f32 v21, v20, v12, v13
	v_fma_f32 v20, v13, v21, v12
	s_delay_alu instid0(VALU_DEP_1) | instskip(NEXT) | instid1(VALU_DEP_1)
	v_div_scale_f32 v26, null, v20, v20, 1.0
	v_rcp_f32_e32 v27, v26
	v_nop
	s_delay_alu instid0(TRANS32_DEP_1) | instskip(NEXT) | instid1(VALU_DEP_1)
	v_fma_f32 v28, -v26, v27, 1.0
	v_fmac_f32_e32 v27, v28, v27
	v_div_scale_f32 v28, vcc_lo, 1.0, v20, 1.0
	s_delay_alu instid0(VALU_DEP_1) | instskip(NEXT) | instid1(VALU_DEP_1)
	v_mul_f32_e32 v29, v28, v27
	v_fma_f32 v30, -v26, v29, v28
	s_delay_alu instid0(VALU_DEP_1) | instskip(NEXT) | instid1(VALU_DEP_1)
	v_fmac_f32_e32 v29, v30, v27
	v_fma_f32 v26, -v26, v29, v28
	s_delay_alu instid0(VALU_DEP_1) | instskip(NEXT) | instid1(VALU_DEP_1)
	v_div_fmas_f32 v26, v26, v27, v29
	v_div_fixup_f32 v20, v26, v20, 1.0
	s_delay_alu instid0(VALU_DEP_1)
	v_mul_f32_e64 v21, v21, -v20
.LBB187_34:                             ;   in Loop: Header=BB187_28 Depth=2
	s_or_b32 exec_lo, exec_lo, s46
	s_mov_b32 s46, 0
.LBB187_35:                             ;   in Loop: Header=BB187_28 Depth=2
	s_delay_alu instid0(SALU_CYCLE_1)
	s_and_not1_b32 vcc_lo, exec_lo, s46
	s_cbranch_vccnz .LBB187_37
; %bb.36:                               ;   in Loop: Header=BB187_28 Depth=2
	s_wait_loadcnt_dscnt 0x0
	v_mov_b64_e32 v[20:21], v[12:13]
.LBB187_37:                             ;   in Loop: Header=BB187_28 Depth=2
	s_delay_alu instid0(VALU_DEP_1) | instskip(SKIP_1) | instid1(VALU_DEP_1)
	v_pk_mul_f32 v[26:27], v[18:19], v[20:21] op_sel:[1,1] op_sel_hi:[0,1]
	s_wait_loadcnt_dscnt 0x0
	v_pk_fma_f32 v[12:13], v[18:19], v[20:21], v[26:27] op_sel_hi:[1,0,1] neg_lo:[0,0,1] neg_hi:[0,0,1]
	v_pk_fma_f32 v[18:19], v[18:19], v[20:21], v[26:27] op_sel_hi:[1,0,1]
	s_delay_alu instid0(VALU_DEP_1)
	v_dual_mov_b32 v18, v12 :: v_dual_mov_b32 v13, v19
	ds_store_b64 v24, v[12:13]
.LBB187_38:                             ;   in Loop: Header=BB187_28 Depth=2
	s_wait_xcnt 0x0
	s_or_b32 exec_lo, exec_lo, s45
	s_delay_alu instid0(SALU_CYCLE_1)
	s_mov_b32 s45, exec_lo
	s_wait_dscnt 0x0
	s_barrier_signal -1
	s_barrier_wait -1
	v_cmpx_gt_i64_e64 s[36:37], v[0:1]
	s_cbranch_execz .LBB187_27
; %bb.39:                               ;   in Loop: Header=BB187_28 Depth=2
	s_and_b32 vcc_lo, exec_lo, s38
	s_mov_b32 s46, -1
                                        ; implicit-def: $vgpr18
                                        ; implicit-def: $vgpr20
	s_cbranch_vccz .LBB187_41
; %bb.40:                               ;   in Loop: Header=BB187_28 Depth=2
	flat_load_b64 v[18:19], v[14:15] offset:-4
	s_mov_b32 s46, 0
	s_wait_loadcnt_dscnt 0x0
	v_mov_b32_e32 v20, v19
.LBB187_41:                             ;   in Loop: Header=BB187_28 Depth=2
	s_and_not1_b32 vcc_lo, exec_lo, s46
	s_cbranch_vccnz .LBB187_26
; %bb.42:                               ;   in Loop: Header=BB187_28 Depth=2
	flat_load_b64 v[18:19], v[14:15] offset:-4
	s_wait_loadcnt_dscnt 0x0
	v_xor_b32_e32 v20, 0x80000000, v19
	s_branch .LBB187_26
.LBB187_43:                             ;   in Loop: Header=BB187_5 Depth=1
	s_wait_xcnt 0x0
	s_and_saveexec_b32 s34, s0
	s_cbranch_execz .LBB187_3
; %bb.44:                               ;   in Loop: Header=BB187_5 Depth=1
	v_mad_nc_u64_u32 v[14:15], v0, s22, v[0:1]
	s_and_b32 vcc_lo, exec_lo, s33
                                        ; implicit-def: $vgpr16_vgpr17
	s_delay_alu instid0(VALU_DEP_1) | instskip(NEXT) | instid1(VALU_DEP_1)
	v_mad_u32 v15, v0, s23, v15
	v_lshl_add_u64 v[14:15], v[14:15], 3, s[2:3]
	s_mov_b32 s2, -1
	flat_load_b64 v[14:15], v[14:15]
	s_cbranch_vccz .LBB187_50
; %bb.45:                               ;   in Loop: Header=BB187_5 Depth=1
	s_wait_loadcnt_dscnt 0x0
	v_cmp_ngt_f32_e64 s2, |v14|, |v15|
                                        ; implicit-def: $vgpr16_vgpr17
	s_wait_xcnt 0x0
	s_and_saveexec_b32 s3, s2
	s_delay_alu instid0(SALU_CYCLE_1)
	s_xor_b32 s2, exec_lo, s3
	s_cbranch_execz .LBB187_47
; %bb.46:                               ;   in Loop: Header=BB187_5 Depth=1
	v_div_scale_f32 v16, null, v15, v15, v14
	v_div_scale_f32 v19, vcc_lo, v14, v15, v14
	s_delay_alu instid0(VALU_DEP_2) | instskip(SKIP_1) | instid1(TRANS32_DEP_1)
	v_rcp_f32_e32 v17, v16
	v_nop
	v_fma_f32 v18, -v16, v17, 1.0
	s_delay_alu instid0(VALU_DEP_1) | instskip(NEXT) | instid1(VALU_DEP_1)
	v_fmac_f32_e32 v17, v18, v17
	v_mul_f32_e32 v18, v19, v17
	s_delay_alu instid0(VALU_DEP_1) | instskip(NEXT) | instid1(VALU_DEP_1)
	v_fma_f32 v20, -v16, v18, v19
	v_fmac_f32_e32 v18, v20, v17
	s_delay_alu instid0(VALU_DEP_1) | instskip(NEXT) | instid1(VALU_DEP_1)
	v_fma_f32 v16, -v16, v18, v19
	v_div_fmas_f32 v16, v16, v17, v18
	s_delay_alu instid0(VALU_DEP_1) | instskip(NEXT) | instid1(VALU_DEP_1)
	v_div_fixup_f32 v16, v16, v15, v14
	v_fma_f32 v17, v14, v16, v15
	s_delay_alu instid0(VALU_DEP_1) | instskip(SKIP_1) | instid1(VALU_DEP_2)
	v_div_scale_f32 v18, null, v17, v17, 1.0
	v_div_scale_f32 v21, vcc_lo, 1.0, v17, 1.0
	v_rcp_f32_e32 v19, v18
	v_nop
	s_delay_alu instid0(TRANS32_DEP_1) | instskip(NEXT) | instid1(VALU_DEP_1)
	v_fma_f32 v20, -v18, v19, 1.0
	v_fmac_f32_e32 v19, v20, v19
	s_delay_alu instid0(VALU_DEP_1) | instskip(NEXT) | instid1(VALU_DEP_1)
	v_mul_f32_e32 v20, v21, v19
	v_fma_f32 v26, -v18, v20, v21
	s_delay_alu instid0(VALU_DEP_1) | instskip(NEXT) | instid1(VALU_DEP_1)
	v_fmac_f32_e32 v20, v26, v19
	v_fma_f32 v18, -v18, v20, v21
	s_delay_alu instid0(VALU_DEP_1) | instskip(NEXT) | instid1(VALU_DEP_1)
	v_div_fmas_f32 v18, v18, v19, v20
	v_div_fixup_f32 v17, v18, v17, 1.0
	s_delay_alu instid0(VALU_DEP_1)
	v_mul_f32_e32 v16, v16, v17
	v_xor_b32_e32 v17, 0x80000000, v17
.LBB187_47:                             ;   in Loop: Header=BB187_5 Depth=1
	s_and_not1_saveexec_b32 s2, s2
	s_cbranch_execz .LBB187_49
; %bb.48:                               ;   in Loop: Header=BB187_5 Depth=1
	v_div_scale_f32 v16, null, v14, v14, v15
	v_div_scale_f32 v19, vcc_lo, v15, v14, v15
	s_delay_alu instid0(VALU_DEP_2) | instskip(SKIP_1) | instid1(TRANS32_DEP_1)
	v_rcp_f32_e32 v17, v16
	v_nop
	v_fma_f32 v18, -v16, v17, 1.0
	s_delay_alu instid0(VALU_DEP_1) | instskip(NEXT) | instid1(VALU_DEP_1)
	v_fmac_f32_e32 v17, v18, v17
	v_mul_f32_e32 v18, v19, v17
	s_delay_alu instid0(VALU_DEP_1) | instskip(NEXT) | instid1(VALU_DEP_1)
	v_fma_f32 v20, -v16, v18, v19
	v_fmac_f32_e32 v18, v20, v17
	s_delay_alu instid0(VALU_DEP_1) | instskip(NEXT) | instid1(VALU_DEP_1)
	v_fma_f32 v16, -v16, v18, v19
	v_div_fmas_f32 v16, v16, v17, v18
	s_delay_alu instid0(VALU_DEP_1) | instskip(NEXT) | instid1(VALU_DEP_1)
	v_div_fixup_f32 v17, v16, v14, v15
	v_fma_f32 v16, v15, v17, v14
	s_delay_alu instid0(VALU_DEP_1) | instskip(NEXT) | instid1(VALU_DEP_1)
	v_div_scale_f32 v18, null, v16, v16, 1.0
	v_rcp_f32_e32 v19, v18
	v_nop
	s_delay_alu instid0(TRANS32_DEP_1) | instskip(NEXT) | instid1(VALU_DEP_1)
	v_fma_f32 v20, -v18, v19, 1.0
	v_fmac_f32_e32 v19, v20, v19
	v_div_scale_f32 v20, vcc_lo, 1.0, v16, 1.0
	s_delay_alu instid0(VALU_DEP_1) | instskip(NEXT) | instid1(VALU_DEP_1)
	v_mul_f32_e32 v21, v20, v19
	v_fma_f32 v26, -v18, v21, v20
	s_delay_alu instid0(VALU_DEP_1) | instskip(NEXT) | instid1(VALU_DEP_1)
	v_fmac_f32_e32 v21, v26, v19
	v_fma_f32 v18, -v18, v21, v20
	s_delay_alu instid0(VALU_DEP_1) | instskip(NEXT) | instid1(VALU_DEP_1)
	v_div_fmas_f32 v18, v18, v19, v21
	v_div_fixup_f32 v16, v18, v16, 1.0
	s_delay_alu instid0(VALU_DEP_1)
	v_mul_f32_e64 v17, v17, -v16
.LBB187_49:                             ;   in Loop: Header=BB187_5 Depth=1
	s_or_b32 exec_lo, exec_lo, s2
	s_mov_b32 s2, 0
.LBB187_50:                             ;   in Loop: Header=BB187_5 Depth=1
	s_delay_alu instid0(SALU_CYCLE_1)
	s_and_not1_b32 vcc_lo, exec_lo, s2
	s_cbranch_vccnz .LBB187_2
; %bb.51:                               ;   in Loop: Header=BB187_5 Depth=1
	s_wait_loadcnt_dscnt 0x0
	v_mov_b64_e32 v[16:17], v[14:15]
	s_branch .LBB187_2
.LBB187_52:
	s_endpgm
	.section	.rodata,"a",@progbits
	.p2align	6, 0x0
	.amdhsa_kernel _ZL40rocblas_trsm_block_backward_substitutionI19rocblas_complex_numIfES1_PKS1_PS1_Lb1ELb1ELb0EEv18rocblas_operation_llT0_T1_lllT2_lllib
		.amdhsa_group_segment_fixed_size 0
		.amdhsa_private_segment_fixed_size 0
		.amdhsa_kernarg_size 360
		.amdhsa_user_sgpr_count 2
		.amdhsa_user_sgpr_dispatch_ptr 0
		.amdhsa_user_sgpr_queue_ptr 0
		.amdhsa_user_sgpr_kernarg_segment_ptr 1
		.amdhsa_user_sgpr_dispatch_id 0
		.amdhsa_user_sgpr_kernarg_preload_length 0
		.amdhsa_user_sgpr_kernarg_preload_offset 0
		.amdhsa_user_sgpr_private_segment_size 0
		.amdhsa_wavefront_size32 1
		.amdhsa_uses_dynamic_stack 0
		.amdhsa_enable_private_segment 0
		.amdhsa_system_sgpr_workgroup_id_x 1
		.amdhsa_system_sgpr_workgroup_id_y 1
		.amdhsa_system_sgpr_workgroup_id_z 1
		.amdhsa_system_sgpr_workgroup_info 0
		.amdhsa_system_vgpr_workitem_id 1
		.amdhsa_next_free_vgpr 31
		.amdhsa_next_free_sgpr 48
		.amdhsa_named_barrier_count 0
		.amdhsa_reserve_vcc 1
		.amdhsa_float_round_mode_32 0
		.amdhsa_float_round_mode_16_64 0
		.amdhsa_float_denorm_mode_32 3
		.amdhsa_float_denorm_mode_16_64 3
		.amdhsa_fp16_overflow 0
		.amdhsa_memory_ordered 1
		.amdhsa_forward_progress 1
		.amdhsa_inst_pref_size 23
		.amdhsa_round_robin_scheduling 0
		.amdhsa_exception_fp_ieee_invalid_op 0
		.amdhsa_exception_fp_denorm_src 0
		.amdhsa_exception_fp_ieee_div_zero 0
		.amdhsa_exception_fp_ieee_overflow 0
		.amdhsa_exception_fp_ieee_underflow 0
		.amdhsa_exception_fp_ieee_inexact 0
		.amdhsa_exception_int_div_zero 0
	.end_amdhsa_kernel
	.section	.text._ZL40rocblas_trsm_block_backward_substitutionI19rocblas_complex_numIfES1_PKS1_PS1_Lb1ELb1ELb0EEv18rocblas_operation_llT0_T1_lllT2_lllib,"axG",@progbits,_ZL40rocblas_trsm_block_backward_substitutionI19rocblas_complex_numIfES1_PKS1_PS1_Lb1ELb1ELb0EEv18rocblas_operation_llT0_T1_lllT2_lllib,comdat
.Lfunc_end187:
	.size	_ZL40rocblas_trsm_block_backward_substitutionI19rocblas_complex_numIfES1_PKS1_PS1_Lb1ELb1ELb0EEv18rocblas_operation_llT0_T1_lllT2_lllib, .Lfunc_end187-_ZL40rocblas_trsm_block_backward_substitutionI19rocblas_complex_numIfES1_PKS1_PS1_Lb1ELb1ELb0EEv18rocblas_operation_llT0_T1_lllT2_lllib
                                        ; -- End function
	.set _ZL40rocblas_trsm_block_backward_substitutionI19rocblas_complex_numIfES1_PKS1_PS1_Lb1ELb1ELb0EEv18rocblas_operation_llT0_T1_lllT2_lllib.num_vgpr, 31
	.set _ZL40rocblas_trsm_block_backward_substitutionI19rocblas_complex_numIfES1_PKS1_PS1_Lb1ELb1ELb0EEv18rocblas_operation_llT0_T1_lllT2_lllib.num_agpr, 0
	.set _ZL40rocblas_trsm_block_backward_substitutionI19rocblas_complex_numIfES1_PKS1_PS1_Lb1ELb1ELb0EEv18rocblas_operation_llT0_T1_lllT2_lllib.numbered_sgpr, 48
	.set _ZL40rocblas_trsm_block_backward_substitutionI19rocblas_complex_numIfES1_PKS1_PS1_Lb1ELb1ELb0EEv18rocblas_operation_llT0_T1_lllT2_lllib.num_named_barrier, 0
	.set _ZL40rocblas_trsm_block_backward_substitutionI19rocblas_complex_numIfES1_PKS1_PS1_Lb1ELb1ELb0EEv18rocblas_operation_llT0_T1_lllT2_lllib.private_seg_size, 0
	.set _ZL40rocblas_trsm_block_backward_substitutionI19rocblas_complex_numIfES1_PKS1_PS1_Lb1ELb1ELb0EEv18rocblas_operation_llT0_T1_lllT2_lllib.uses_vcc, 1
	.set _ZL40rocblas_trsm_block_backward_substitutionI19rocblas_complex_numIfES1_PKS1_PS1_Lb1ELb1ELb0EEv18rocblas_operation_llT0_T1_lllT2_lllib.uses_flat_scratch, 0
	.set _ZL40rocblas_trsm_block_backward_substitutionI19rocblas_complex_numIfES1_PKS1_PS1_Lb1ELb1ELb0EEv18rocblas_operation_llT0_T1_lllT2_lllib.has_dyn_sized_stack, 0
	.set _ZL40rocblas_trsm_block_backward_substitutionI19rocblas_complex_numIfES1_PKS1_PS1_Lb1ELb1ELb0EEv18rocblas_operation_llT0_T1_lllT2_lllib.has_recursion, 0
	.set _ZL40rocblas_trsm_block_backward_substitutionI19rocblas_complex_numIfES1_PKS1_PS1_Lb1ELb1ELb0EEv18rocblas_operation_llT0_T1_lllT2_lllib.has_indirect_call, 0
	.section	.AMDGPU.csdata,"",@progbits
; Kernel info:
; codeLenInByte = 2924
; TotalNumSgprs: 50
; NumVgprs: 31
; ScratchSize: 0
; MemoryBound: 0
; FloatMode: 240
; IeeeMode: 1
; LDSByteSize: 0 bytes/workgroup (compile time only)
; SGPRBlocks: 0
; VGPRBlocks: 1
; NumSGPRsForWavesPerEU: 50
; NumVGPRsForWavesPerEU: 31
; NamedBarCnt: 0
; Occupancy: 16
; WaveLimiterHint : 0
; COMPUTE_PGM_RSRC2:SCRATCH_EN: 0
; COMPUTE_PGM_RSRC2:USER_SGPR: 2
; COMPUTE_PGM_RSRC2:TRAP_HANDLER: 0
; COMPUTE_PGM_RSRC2:TGID_X_EN: 1
; COMPUTE_PGM_RSRC2:TGID_Y_EN: 1
; COMPUTE_PGM_RSRC2:TGID_Z_EN: 1
; COMPUTE_PGM_RSRC2:TIDIG_COMP_CNT: 1
	.section	.text._ZL39rocblas_trsm_block_forward_substitutionI19rocblas_complex_numIfES1_PKS1_PS1_Lb1ELb1ELb1EEv18rocblas_operation_llT0_T1_lllT2_lllib,"axG",@progbits,_ZL39rocblas_trsm_block_forward_substitutionI19rocblas_complex_numIfES1_PKS1_PS1_Lb1ELb1ELb1EEv18rocblas_operation_llT0_T1_lllT2_lllib,comdat
	.globl	_ZL39rocblas_trsm_block_forward_substitutionI19rocblas_complex_numIfES1_PKS1_PS1_Lb1ELb1ELb1EEv18rocblas_operation_llT0_T1_lllT2_lllib ; -- Begin function _ZL39rocblas_trsm_block_forward_substitutionI19rocblas_complex_numIfES1_PKS1_PS1_Lb1ELb1ELb1EEv18rocblas_operation_llT0_T1_lllT2_lllib
	.p2align	8
	.type	_ZL39rocblas_trsm_block_forward_substitutionI19rocblas_complex_numIfES1_PKS1_PS1_Lb1ELb1ELb1EEv18rocblas_operation_llT0_T1_lllT2_lllib,@function
_ZL39rocblas_trsm_block_forward_substitutionI19rocblas_complex_numIfES1_PKS1_PS1_Lb1ELb1ELb1EEv18rocblas_operation_llT0_T1_lllT2_lllib: ; @_ZL39rocblas_trsm_block_forward_substitutionI19rocblas_complex_numIfES1_PKS1_PS1_Lb1ELb1ELb1EEv18rocblas_operation_llT0_T1_lllT2_lllib
; %bb.0:
	s_load_b64 s[2:3], s[0:1], 0x60
	s_bfe_u32 s4, ttmp6, 0x40014
	s_lshr_b32 s5, ttmp7, 16
	s_add_co_i32 s4, s4, 1
	s_bfe_u32 s6, ttmp6, 0x40008
	s_mul_i32 s4, s5, s4
	s_getreg_b32 s26, hwreg(HW_REG_IB_STS2, 6, 4)
	s_add_co_i32 s6, s6, s4
	s_cmp_eq_u32 s26, 0
	s_mov_b32 s25, 0
	s_cselect_b32 s24, s5, s6
	s_wait_kmcnt 0x0
	s_cmp_ge_u32 s24, s2
	s_cbranch_scc1 .LBB188_25
; %bb.1:
	s_clause 0x3
	s_load_b512 s[4:19], s[0:1], 0x20
	s_load_b32 s27, s[0:1], 0x0
	s_load_b128 s[20:23], s[0:1], 0x8
	s_load_u16 s33, s[0:1], 0x76
	s_bitcmp1_b32 s3, 0
	v_and_b32_e32 v2, 0x3ff, v0
	s_cselect_b32 s3, -1, 0
	v_mov_b32_e32 v5, 0
	v_bfe_u32 v1, v0, 10, 10
	s_mov_b64 s[28:29], src_shared_base
	v_lshlrev_b32_e32 v0, 3, v2
	s_delay_alu instid0(VALU_DEP_2)
	v_lshl_add_u32 v15, v1, 3, 0
	s_wait_kmcnt 0x0
	s_cmp_lg_u32 s27, 0x71
	s_cselect_b32 s34, -1, 0
	s_lshl_b64 s[30:31], s[6:7], 3
	s_bfe_u32 s6, ttmp6, 0x40010
	s_and_b32 s7, ttmp7, 0xffff
	s_add_co_i32 s6, s6, 1
	s_bfe_u32 s27, ttmp6, 0x40004
	s_mul_i32 s6, s7, s6
	s_lshl_b64 s[36:37], s[14:15], 3
	s_add_co_i32 s27, s27, s6
	s_cmp_eq_u32 s26, 0
	s_add_nc_u64 s[12:13], s[12:13], s[36:37]
	s_cselect_b32 s6, s7, s27
	s_lshl_b32 s14, s33, 3
	v_mad_u32 v4, s6, s33, v1
	s_add_co_i32 s14, s14, 0
	s_delay_alu instid0(SALU_CYCLE_1)
	v_dual_mov_b32 v3, v5 :: v_dual_add_nc_u32 v16, s14, v0
	s_add_nc_u64 s[6:7], s[0:1], 0x68
	v_cmp_lt_i64_e64 s36, s[20:21], 2
	s_mov_b32 s15, s29
	v_mul_u64_e32 v[6:7], s[16:17], v[2:3]
	s_load_b64 s[16:17], s[0:1], 0x18
	s_wait_xcnt 0x0
	v_cmp_gt_i64_e64 s0, s[20:21], v[2:3]
	v_cmp_gt_i64_e64 s1, s[20:21], 0
	v_cmp_gt_i64_e32 vcc_lo, s[22:23], v[4:5]
	s_add_nc_u64 s[4:5], s[4:5], s[30:31]
	s_mov_b64 s[22:23], 1
	s_and_b32 s35, vcc_lo, s0
	s_wait_kmcnt 0x0
	s_mov_b32 s26, s17
	s_mov_b32 s27, s16
	v_lshl_add_u64 v[6:7], v[6:7], 3, s[12:13]
	s_add_nc_u64 s[12:13], s[20:21], -1
	s_delay_alu instid0(VALU_DEP_1)
	v_lshl_add_u64 v[4:5], v[4:5], 3, v[6:7]
	s_branch .LBB188_4
.LBB188_2:                              ;   in Loop: Header=BB188_4 Depth=1
	global_store_b64 v[6:7], v[8:9], off
.LBB188_3:                              ;   in Loop: Header=BB188_4 Depth=1
	s_wait_xcnt 0x0
	s_or_b32 exec_lo, exec_lo, s37
	s_add_co_i32 s24, s24, 0x10000
	s_delay_alu instid0(SALU_CYCLE_1)
	s_cmp_lt_u32 s24, s2
	s_cbranch_scc0 .LBB188_25
.LBB188_4:                              ; =>This Loop Header: Depth=1
                                        ;     Child Loop BB188_9 Depth 2
                                        ;     Child Loop BB188_18 Depth 2
	s_mul_u64 s[28:29], s[10:11], s[24:25]
	s_and_not1_b32 vcc_lo, exec_lo, s3
	s_lshl_b64 s[28:29], s[28:29], 3
	s_delay_alu instid0(SALU_CYCLE_1)
	s_add_nc_u64 s[28:29], s[4:5], s[28:29]
	s_cbranch_vccz .LBB188_6
; %bb.5:                                ;   in Loop: Header=BB188_4 Depth=1
	s_and_saveexec_b32 s37, s35
	s_cbranch_execz .LBB188_3
	s_branch .LBB188_12
.LBB188_6:                              ;   in Loop: Header=BB188_4 Depth=1
	s_and_not1_b32 vcc_lo, exec_lo, s1
	s_cbranch_vccnz .LBB188_11
; %bb.7:                                ;   in Loop: Header=BB188_4 Depth=1
	v_mul_u64_e32 v[6:7], s[8:9], v[2:3]
	s_mov_b32 s8, 0
	s_delay_alu instid0(VALU_DEP_1)
	v_lshl_add_u64 v[6:7], v[6:7], 3, s[28:29]
	s_branch .LBB188_9
.LBB188_8:                              ;   in Loop: Header=BB188_9 Depth=2
	s_wait_xcnt 0x0
	s_or_b32 exec_lo, exec_lo, s9
	s_add_co_i32 s8, s8, s33
	s_delay_alu instid0(SALU_CYCLE_1) | instskip(NEXT) | instid1(SALU_CYCLE_1)
	s_ashr_i32 s9, s8, 31
	v_cmp_le_i64_e64 s9, s[20:21], s[8:9]
	s_and_b32 vcc_lo, exec_lo, s9
	s_cbranch_vccnz .LBB188_11
.LBB188_9:                              ;   Parent Loop BB188_4 Depth=1
                                        ; =>  This Inner Loop Header: Depth=2
	v_add_nc_u32_e32 v8, s8, v1
	s_delay_alu instid0(VALU_DEP_1) | instskip(SKIP_1) | instid1(SALU_CYCLE_1)
	v_cmp_gt_i32_e32 vcc_lo, v2, v8
	s_and_b32 s28, s0, vcc_lo
	s_and_saveexec_b32 s9, s28
	s_cbranch_execz .LBB188_8
; %bb.10:                               ;   in Loop: Header=BB188_9 Depth=2
	v_ashrrev_i32_e32 v9, 31, v8
	s_load_b32 s28, s[6:7], 0xc
	s_delay_alu instid0(VALU_DEP_1) | instskip(SKIP_2) | instid1(SALU_CYCLE_1)
	v_mul_u64_e32 v[10:11], s[22:23], v[8:9]
	s_wait_kmcnt 0x0
	s_and_b32 s28, s28, 0xffff
	v_mul_lo_u32 v8, v8, s28
	s_delay_alu instid0(VALU_DEP_1) | instskip(NEXT) | instid1(VALU_DEP_3)
	v_lshl_add_u32 v8, v8, 3, v16
	v_lshl_add_u64 v[10:11], v[10:11], 3, v[6:7]
	global_load_b64 v[10:11], v[10:11], off
	s_wait_loadcnt 0x0
	ds_store_b64 v8, v[10:11]
	s_branch .LBB188_8
.LBB188_11:                             ;   in Loop: Header=BB188_4 Depth=1
	s_load_b32 s22, s[6:7], 0xc
	s_mov_b32 s23, s25
	s_mov_b64 s[8:9], 1
	s_mov_b64 s[28:29], s[14:15]
	s_wait_kmcnt 0x0
	s_and_b32 s22, s22, 0xffff
	s_and_saveexec_b32 s37, s35
	s_cbranch_execz .LBB188_3
.LBB188_12:                             ;   in Loop: Header=BB188_4 Depth=1
	s_mul_u64 s[30:31], s[18:19], s[24:25]
	v_mov_b64_e32 v[10:11], s[26:27]
	v_lshl_add_u64 v[6:7], s[30:31], 3, v[4:5]
	v_mov_b64_e32 v[12:13], s[16:17]
	s_and_not1_b32 vcc_lo, exec_lo, s36
	s_mov_b32 s30, -1
	global_load_b64 v[8:9], v[6:7], off
	s_wait_loadcnt 0x0
	v_pk_mul_f32 v[10:11], v[10:11], v[8:9] op_sel:[0,1]
	v_pk_mul_f32 v[18:19], v[12:13], v[8:9] op_sel_hi:[1,0]
	s_delay_alu instid0(VALU_DEP_2) | instskip(NEXT) | instid1(VALU_DEP_2)
	v_pk_fma_f32 v[8:9], v[12:13], v[8:9], v[10:11] op_sel_hi:[1,0,1]
	v_sub_f32_e32 v8, v18, v10
	s_cbranch_vccnz .LBB188_14
; %bb.13:                               ;   in Loop: Header=BB188_4 Depth=1
	s_mov_b32 s30, 0
.LBB188_14:                             ;   in Loop: Header=BB188_4 Depth=1
	s_delay_alu instid0(SALU_CYCLE_1)
	s_and_not1_b32 vcc_lo, exec_lo, s30
	s_cbranch_vccnz .LBB188_2
; %bb.15:                               ;   in Loop: Header=BB188_4 Depth=1
	v_mad_nc_u64_u32 v[10:11], v0, s8, s[28:29]
	s_lshl_b64 s[28:29], s[22:23], 3
	s_mov_b64 s[30:31], 0
	s_delay_alu instid0(VALU_DEP_1) | instskip(NEXT) | instid1(VALU_DEP_1)
	v_mad_u32 v11, v0, s9, v11
	v_add_nc_u64_e32 v[10:11], 4, v[10:11]
	s_branch .LBB188_18
.LBB188_16:                             ;   in Loop: Header=BB188_18 Depth=2
	ds_load_b64 v[18:19], v15
	s_wait_dscnt 0x0
	v_pk_mul_f32 v[20:21], v[14:15], v[18:19] op_sel:[0,1] op_sel_hi:[0,0]
	s_delay_alu instid0(VALU_DEP_1) | instskip(SKIP_1) | instid1(VALU_DEP_2)
	v_pk_fma_f32 v[22:23], v[18:19], v[12:13], v[20:21] op_sel_hi:[1,0,1]
	v_pk_fma_f32 v[12:13], v[18:19], v[12:13], v[20:21] neg_lo:[0,0,1] neg_hi:[0,0,1]
	v_mov_b32_e32 v13, v23
	s_delay_alu instid0(VALU_DEP_1)
	v_pk_add_f32 v[8:9], v[8:9], v[12:13] neg_lo:[0,1] neg_hi:[0,1]
.LBB188_17:                             ;   in Loop: Header=BB188_18 Depth=2
	s_wait_xcnt 0x0
	s_or_b32 exec_lo, exec_lo, s38
	v_add_nc_u64_e32 v[10:11], s[28:29], v[10:11]
	s_add_nc_u64 s[30:31], s[30:31], 1
	s_delay_alu instid0(SALU_CYCLE_1)
	s_cmp_eq_u64 s[12:13], s[30:31]
	s_cbranch_scc1 .LBB188_2
.LBB188_18:                             ;   Parent Loop BB188_4 Depth=1
                                        ; =>  This Inner Loop Header: Depth=2
	s_mov_b32 s38, exec_lo
	s_wait_dscnt 0x0
	s_barrier_signal -1
	s_barrier_wait -1
	s_wait_xcnt 0x0
	v_cmpx_eq_u64_e64 s[30:31], v[2:3]
; %bb.19:                               ;   in Loop: Header=BB188_18 Depth=2
	ds_store_b64 v15, v[8:9]
; %bb.20:                               ;   in Loop: Header=BB188_18 Depth=2
	s_or_b32 exec_lo, exec_lo, s38
	s_delay_alu instid0(SALU_CYCLE_1)
	s_mov_b32 s38, exec_lo
	s_wait_dscnt 0x0
	s_barrier_signal -1
	s_barrier_wait -1
	v_cmpx_lt_u64_e64 s[30:31], v[2:3]
	s_cbranch_execz .LBB188_17
; %bb.21:                               ;   in Loop: Header=BB188_18 Depth=2
	s_and_b32 vcc_lo, exec_lo, s34
	s_mov_b32 s39, -1
                                        ; implicit-def: $vgpr12
                                        ; implicit-def: $vgpr14
	s_cbranch_vccz .LBB188_23
; %bb.22:                               ;   in Loop: Header=BB188_18 Depth=2
	flat_load_b64 v[12:13], v[10:11] offset:-4
	s_mov_b32 s39, 0
	s_wait_loadcnt_dscnt 0x0
	v_mov_b32_e32 v14, v13
.LBB188_23:                             ;   in Loop: Header=BB188_18 Depth=2
	s_and_not1_b32 vcc_lo, exec_lo, s39
	s_cbranch_vccnz .LBB188_16
; %bb.24:                               ;   in Loop: Header=BB188_18 Depth=2
	flat_load_b64 v[12:13], v[10:11] offset:-4
	s_wait_loadcnt_dscnt 0x0
	v_xor_b32_e32 v14, 0x80000000, v13
	s_branch .LBB188_16
.LBB188_25:
	s_endpgm
	.section	.rodata,"a",@progbits
	.p2align	6, 0x0
	.amdhsa_kernel _ZL39rocblas_trsm_block_forward_substitutionI19rocblas_complex_numIfES1_PKS1_PS1_Lb1ELb1ELb1EEv18rocblas_operation_llT0_T1_lllT2_lllib
		.amdhsa_group_segment_fixed_size 0
		.amdhsa_private_segment_fixed_size 0
		.amdhsa_kernarg_size 360
		.amdhsa_user_sgpr_count 2
		.amdhsa_user_sgpr_dispatch_ptr 0
		.amdhsa_user_sgpr_queue_ptr 0
		.amdhsa_user_sgpr_kernarg_segment_ptr 1
		.amdhsa_user_sgpr_dispatch_id 0
		.amdhsa_user_sgpr_kernarg_preload_length 0
		.amdhsa_user_sgpr_kernarg_preload_offset 0
		.amdhsa_user_sgpr_private_segment_size 0
		.amdhsa_wavefront_size32 1
		.amdhsa_uses_dynamic_stack 0
		.amdhsa_enable_private_segment 0
		.amdhsa_system_sgpr_workgroup_id_x 1
		.amdhsa_system_sgpr_workgroup_id_y 1
		.amdhsa_system_sgpr_workgroup_id_z 1
		.amdhsa_system_sgpr_workgroup_info 0
		.amdhsa_system_vgpr_workitem_id 1
		.amdhsa_next_free_vgpr 24
		.amdhsa_next_free_sgpr 40
		.amdhsa_named_barrier_count 0
		.amdhsa_reserve_vcc 1
		.amdhsa_float_round_mode_32 0
		.amdhsa_float_round_mode_16_64 0
		.amdhsa_float_denorm_mode_32 3
		.amdhsa_float_denorm_mode_16_64 3
		.amdhsa_fp16_overflow 0
		.amdhsa_memory_ordered 1
		.amdhsa_forward_progress 1
		.amdhsa_inst_pref_size 8
		.amdhsa_round_robin_scheduling 0
		.amdhsa_exception_fp_ieee_invalid_op 0
		.amdhsa_exception_fp_denorm_src 0
		.amdhsa_exception_fp_ieee_div_zero 0
		.amdhsa_exception_fp_ieee_overflow 0
		.amdhsa_exception_fp_ieee_underflow 0
		.amdhsa_exception_fp_ieee_inexact 0
		.amdhsa_exception_int_div_zero 0
	.end_amdhsa_kernel
	.section	.text._ZL39rocblas_trsm_block_forward_substitutionI19rocblas_complex_numIfES1_PKS1_PS1_Lb1ELb1ELb1EEv18rocblas_operation_llT0_T1_lllT2_lllib,"axG",@progbits,_ZL39rocblas_trsm_block_forward_substitutionI19rocblas_complex_numIfES1_PKS1_PS1_Lb1ELb1ELb1EEv18rocblas_operation_llT0_T1_lllT2_lllib,comdat
.Lfunc_end188:
	.size	_ZL39rocblas_trsm_block_forward_substitutionI19rocblas_complex_numIfES1_PKS1_PS1_Lb1ELb1ELb1EEv18rocblas_operation_llT0_T1_lllT2_lllib, .Lfunc_end188-_ZL39rocblas_trsm_block_forward_substitutionI19rocblas_complex_numIfES1_PKS1_PS1_Lb1ELb1ELb1EEv18rocblas_operation_llT0_T1_lllT2_lllib
                                        ; -- End function
	.set _ZL39rocblas_trsm_block_forward_substitutionI19rocblas_complex_numIfES1_PKS1_PS1_Lb1ELb1ELb1EEv18rocblas_operation_llT0_T1_lllT2_lllib.num_vgpr, 24
	.set _ZL39rocblas_trsm_block_forward_substitutionI19rocblas_complex_numIfES1_PKS1_PS1_Lb1ELb1ELb1EEv18rocblas_operation_llT0_T1_lllT2_lllib.num_agpr, 0
	.set _ZL39rocblas_trsm_block_forward_substitutionI19rocblas_complex_numIfES1_PKS1_PS1_Lb1ELb1ELb1EEv18rocblas_operation_llT0_T1_lllT2_lllib.numbered_sgpr, 40
	.set _ZL39rocblas_trsm_block_forward_substitutionI19rocblas_complex_numIfES1_PKS1_PS1_Lb1ELb1ELb1EEv18rocblas_operation_llT0_T1_lllT2_lllib.num_named_barrier, 0
	.set _ZL39rocblas_trsm_block_forward_substitutionI19rocblas_complex_numIfES1_PKS1_PS1_Lb1ELb1ELb1EEv18rocblas_operation_llT0_T1_lllT2_lllib.private_seg_size, 0
	.set _ZL39rocblas_trsm_block_forward_substitutionI19rocblas_complex_numIfES1_PKS1_PS1_Lb1ELb1ELb1EEv18rocblas_operation_llT0_T1_lllT2_lllib.uses_vcc, 1
	.set _ZL39rocblas_trsm_block_forward_substitutionI19rocblas_complex_numIfES1_PKS1_PS1_Lb1ELb1ELb1EEv18rocblas_operation_llT0_T1_lllT2_lllib.uses_flat_scratch, 0
	.set _ZL39rocblas_trsm_block_forward_substitutionI19rocblas_complex_numIfES1_PKS1_PS1_Lb1ELb1ELb1EEv18rocblas_operation_llT0_T1_lllT2_lllib.has_dyn_sized_stack, 0
	.set _ZL39rocblas_trsm_block_forward_substitutionI19rocblas_complex_numIfES1_PKS1_PS1_Lb1ELb1ELb1EEv18rocblas_operation_llT0_T1_lllT2_lllib.has_recursion, 0
	.set _ZL39rocblas_trsm_block_forward_substitutionI19rocblas_complex_numIfES1_PKS1_PS1_Lb1ELb1ELb1EEv18rocblas_operation_llT0_T1_lllT2_lllib.has_indirect_call, 0
	.section	.AMDGPU.csdata,"",@progbits
; Kernel info:
; codeLenInByte = 1020
; TotalNumSgprs: 42
; NumVgprs: 24
; ScratchSize: 0
; MemoryBound: 0
; FloatMode: 240
; IeeeMode: 1
; LDSByteSize: 0 bytes/workgroup (compile time only)
; SGPRBlocks: 0
; VGPRBlocks: 1
; NumSGPRsForWavesPerEU: 42
; NumVGPRsForWavesPerEU: 24
; NamedBarCnt: 0
; Occupancy: 16
; WaveLimiterHint : 0
; COMPUTE_PGM_RSRC2:SCRATCH_EN: 0
; COMPUTE_PGM_RSRC2:USER_SGPR: 2
; COMPUTE_PGM_RSRC2:TRAP_HANDLER: 0
; COMPUTE_PGM_RSRC2:TGID_X_EN: 1
; COMPUTE_PGM_RSRC2:TGID_Y_EN: 1
; COMPUTE_PGM_RSRC2:TGID_Z_EN: 1
; COMPUTE_PGM_RSRC2:TIDIG_COMP_CNT: 1
	.section	.text._ZL40rocblas_trsm_block_backward_substitutionI19rocblas_complex_numIfES1_PKS1_PS1_Lb1ELb1ELb1EEv18rocblas_operation_llT0_T1_lllT2_lllib,"axG",@progbits,_ZL40rocblas_trsm_block_backward_substitutionI19rocblas_complex_numIfES1_PKS1_PS1_Lb1ELb1ELb1EEv18rocblas_operation_llT0_T1_lllT2_lllib,comdat
	.globl	_ZL40rocblas_trsm_block_backward_substitutionI19rocblas_complex_numIfES1_PKS1_PS1_Lb1ELb1ELb1EEv18rocblas_operation_llT0_T1_lllT2_lllib ; -- Begin function _ZL40rocblas_trsm_block_backward_substitutionI19rocblas_complex_numIfES1_PKS1_PS1_Lb1ELb1ELb1EEv18rocblas_operation_llT0_T1_lllT2_lllib
	.p2align	8
	.type	_ZL40rocblas_trsm_block_backward_substitutionI19rocblas_complex_numIfES1_PKS1_PS1_Lb1ELb1ELb1EEv18rocblas_operation_llT0_T1_lllT2_lllib,@function
_ZL40rocblas_trsm_block_backward_substitutionI19rocblas_complex_numIfES1_PKS1_PS1_Lb1ELb1ELb1EEv18rocblas_operation_llT0_T1_lllT2_lllib: ; @_ZL40rocblas_trsm_block_backward_substitutionI19rocblas_complex_numIfES1_PKS1_PS1_Lb1ELb1ELb1EEv18rocblas_operation_llT0_T1_lllT2_lllib
; %bb.0:
	s_load_b64 s[2:3], s[0:1], 0x60
	s_bfe_u32 s4, ttmp6, 0x40014
	s_lshr_b32 s5, ttmp7, 16
	s_add_co_i32 s4, s4, 1
	s_bfe_u32 s6, ttmp6, 0x40008
	s_mul_i32 s4, s5, s4
	s_getreg_b32 s26, hwreg(HW_REG_IB_STS2, 6, 4)
	s_add_co_i32 s6, s6, s4
	s_cmp_eq_u32 s26, 0
	s_mov_b32 s25, 0
	s_cselect_b32 s24, s5, s6
	s_wait_kmcnt 0x0
	s_cmp_ge_u32 s24, s2
	s_cbranch_scc1 .LBB189_25
; %bb.1:
	s_clause 0x2
	s_load_b32 s27, s[0:1], 0x0
	s_load_b512 s[4:19], s[0:1], 0x20
	s_load_u16 s33, s[0:1], 0x76
	s_bitcmp1_b32 s3, 0
	v_bfe_u32 v17, v0, 10, 10
	s_cselect_b32 s3, -1, 0
	v_and_b32_e32 v0, 0x3ff, v0
	v_mov_b32_e32 v3, 0
	s_load_b128 s[20:23], s[0:1], 0x8
	v_lshl_add_u32 v18, v17, 3, 0
	s_mov_b64 s[28:29], src_shared_base
	s_delay_alu instid0(VALU_DEP_2) | instskip(SKIP_1) | instid1(VALU_DEP_2)
	v_dual_mov_b32 v1, v3 :: v_dual_lshlrev_b32 v8, 3, v0
	v_dual_mov_b32 v9, v3 :: v_dual_mov_b32 v5, v3
	v_or_b32_e32 v4, 4, v8
	s_wait_kmcnt 0x0
	s_cmp_lg_u32 s27, 0x71
	s_cselect_b32 s34, -1, 0
	s_lshl_b64 s[30:31], s[6:7], 3
	s_bfe_u32 s6, ttmp6, 0x40010
	s_and_b32 s7, ttmp7, 0xffff
	s_add_co_i32 s6, s6, 1
	s_bfe_u32 s27, ttmp6, 0x40004
	s_mul_i32 s6, s7, s6
	s_lshl_b64 s[36:37], s[14:15], 3
	s_add_co_i32 s27, s27, s6
	s_cmp_eq_u32 s26, 0
	s_add_nc_u64 s[12:13], s[12:13], s[36:37]
	s_cselect_b32 s6, s7, s27
	s_add_nc_u64 s[14:15], s[0:1], 0x68
	v_mad_u32 v2, s6, s33, v17
	s_load_b64 s[6:7], s[0:1], 0x18
	s_wait_xcnt 0x0
	v_cmp_gt_i64_e64 s0, s[20:21], v[0:1]
	s_lshl_b32 s1, s33, 3
	v_cmp_gt_i64_e64 s35, s[20:21], 0
	v_cmp_lt_i64_e64 s37, s[20:21], 2
	s_add_nc_u64 s[4:5], s[4:5], s[30:31]
	v_mul_u64_e32 v[6:7], s[16:17], v[2:3]
	v_cmp_gt_i64_e32 vcc_lo, s[22:23], v[2:3]
	s_add_co_i32 s16, s1, 0
	v_lshlrev_b32_e32 v2, 3, v0
	v_add_nc_u32_e32 v19, s16, v8
	s_mov_b32 s17, s29
	s_and_b32 s36, vcc_lo, s0
	s_wait_kmcnt 0x0
	s_mov_b32 s26, s7
	s_mov_b32 s27, s6
	s_delay_alu instid0(VALU_DEP_4) | instskip(SKIP_1) | instid1(SALU_CYCLE_1)
	v_lshl_add_u64 v[6:7], v[6:7], 3, s[12:13]
	s_add_nc_u64 s[12:13], s[20:21], -1
	s_lshl_b64 s[22:23], s[12:13], 3
	s_delay_alu instid0(VALU_DEP_1)
	v_add_nc_u64_e32 v[6:7], v[6:7], v[8:9]
	s_branch .LBB189_4
.LBB189_2:                              ;   in Loop: Header=BB189_4 Depth=1
	global_store_b64 v[8:9], v[10:11], off
.LBB189_3:                              ;   in Loop: Header=BB189_4 Depth=1
	s_wait_xcnt 0x0
	s_or_b32 exec_lo, exec_lo, s1
	s_add_co_i32 s24, s24, 0x10000
	s_delay_alu instid0(SALU_CYCLE_1)
	s_cmp_lt_u32 s24, s2
	s_cbranch_scc0 .LBB189_25
.LBB189_4:                              ; =>This Loop Header: Depth=1
                                        ;     Child Loop BB189_8 Depth 2
                                        ;     Child Loop BB189_18 Depth 2
	s_mul_u64 s[28:29], s[10:11], s[24:25]
	s_and_not1_b32 vcc_lo, exec_lo, s3
	s_lshl_b64 s[28:29], s[28:29], 3
	s_delay_alu instid0(SALU_CYCLE_1)
	s_add_nc_u64 s[30:31], s[4:5], s[28:29]
	s_cbranch_vccnz .LBB189_10
; %bb.5:                                ;   in Loop: Header=BB189_4 Depth=1
	s_and_not1_b32 vcc_lo, exec_lo, s35
	s_cbranch_vccnz .LBB189_11
; %bb.6:                                ;   in Loop: Header=BB189_4 Depth=1
	v_add_nc_u64_e32 v[8:9], s[30:31], v[2:3]
	s_mov_b32 s28, 0
	s_branch .LBB189_8
.LBB189_7:                              ;   in Loop: Header=BB189_8 Depth=2
	s_wait_xcnt 0x0
	s_or_b32 exec_lo, exec_lo, s1
	s_add_co_i32 s28, s28, s33
	s_delay_alu instid0(SALU_CYCLE_1) | instskip(NEXT) | instid1(SALU_CYCLE_1)
	s_ashr_i32 s29, s28, 31
	v_cmp_le_i64_e64 s1, s[20:21], s[28:29]
	s_and_b32 vcc_lo, exec_lo, s1
	s_cbranch_vccnz .LBB189_11
.LBB189_8:                              ;   Parent Loop BB189_4 Depth=1
                                        ; =>  This Inner Loop Header: Depth=2
	v_add_nc_u32_e32 v10, s28, v17
	s_delay_alu instid0(VALU_DEP_1) | instskip(SKIP_1) | instid1(VALU_DEP_2)
	v_ashrrev_i32_e32 v11, 31, v10
	v_cmp_lt_i32_e64 s1, v0, v10
	v_cmp_gt_i64_e32 vcc_lo, s[20:21], v[10:11]
	s_and_b32 s1, s1, vcc_lo
	s_delay_alu instid0(SALU_CYCLE_1) | instskip(NEXT) | instid1(SALU_CYCLE_1)
	s_and_b32 s29, s0, s1
	s_and_saveexec_b32 s1, s29
	s_cbranch_execz .LBB189_7
; %bb.9:                                ;   in Loop: Header=BB189_8 Depth=2
	v_mul_u64_e32 v[12:13], s[8:9], v[10:11]
	s_load_b32 s29, s[14:15], 0xc
	s_wait_kmcnt 0x0
	s_and_b32 s29, s29, 0xffff
	s_delay_alu instid0(SALU_CYCLE_1) | instskip(NEXT) | instid1(VALU_DEP_2)
	v_mul_lo_u32 v10, v10, s29
	v_lshl_add_u64 v[12:13], v[12:13], 3, v[8:9]
	s_delay_alu instid0(VALU_DEP_2)
	v_lshl_add_u32 v10, v10, 3, v19
	global_load_b64 v[12:13], v[12:13], off
	s_wait_loadcnt 0x0
	ds_store_b64 v10, v[12:13]
	s_branch .LBB189_7
.LBB189_10:                             ;   in Loop: Header=BB189_4 Depth=1
	s_mov_b64 s[28:29], s[8:9]
	s_and_saveexec_b32 s1, s36
	s_cbranch_execz .LBB189_3
	s_branch .LBB189_12
.LBB189_11:                             ;   in Loop: Header=BB189_4 Depth=1
	s_load_b32 s1, s[14:15], 0xc
	s_mov_b32 s29, s25
	s_mov_b64 s[30:31], s[16:17]
	s_wait_kmcnt 0x0
	s_and_b32 s28, s1, 0xffff
	s_and_saveexec_b32 s1, s36
	s_cbranch_execz .LBB189_3
.LBB189_12:                             ;   in Loop: Header=BB189_4 Depth=1
	s_mul_u64 s[38:39], s[18:19], s[24:25]
	v_mov_b64_e32 v[12:13], s[26:27]
	v_lshl_add_u64 v[8:9], s[38:39], 3, v[6:7]
	v_mov_b64_e32 v[14:15], s[6:7]
	s_and_not1_b32 vcc_lo, exec_lo, s37
	s_mov_b32 s38, -1
	global_load_b64 v[10:11], v[8:9], off
	s_wait_loadcnt 0x0
	v_pk_mul_f32 v[12:13], v[12:13], v[10:11] op_sel:[0,1]
	v_pk_mul_f32 v[20:21], v[14:15], v[10:11] op_sel_hi:[1,0]
	s_delay_alu instid0(VALU_DEP_2) | instskip(NEXT) | instid1(VALU_DEP_2)
	v_pk_fma_f32 v[10:11], v[14:15], v[10:11], v[12:13] op_sel_hi:[1,0,1]
	v_sub_f32_e32 v10, v20, v12
	s_cbranch_vccnz .LBB189_14
; %bb.13:                               ;   in Loop: Header=BB189_4 Depth=1
	s_mov_b32 s38, 0
.LBB189_14:                             ;   in Loop: Header=BB189_4 Depth=1
	s_delay_alu instid0(SALU_CYCLE_1)
	s_and_not1_b32 vcc_lo, exec_lo, s38
	s_cbranch_vccnz .LBB189_2
; %bb.15:                               ;   in Loop: Header=BB189_4 Depth=1
	v_add_nc_u64_e32 v[12:13], s[30:31], v[4:5]
	s_mul_i32 s30, s23, s28
	s_mul_i32 s31, s22, s29
	s_delay_alu instid0(VALU_DEP_1) | instskip(SKIP_1) | instid1(SALU_CYCLE_1)
	v_mad_nc_u64_u32 v[12:13], s22, s28, v[12:13]
	s_lshl_b64 s[28:29], s[28:29], 3
	s_sub_nc_u64 s[28:29], 0, s[28:29]
	s_delay_alu instid0(VALU_DEP_1)
	v_add3_u32 v13, s31, s30, v13
	s_mov_b64 s[30:31], s[12:13]
	s_branch .LBB189_18
.LBB189_16:                             ;   in Loop: Header=BB189_18 Depth=2
	ds_load_b64 v[20:21], v18
	s_wait_dscnt 0x0
	v_pk_mul_f32 v[22:23], v[16:17], v[20:21] op_sel:[0,1] op_sel_hi:[0,0]
	s_delay_alu instid0(VALU_DEP_1) | instskip(SKIP_1) | instid1(VALU_DEP_2)
	v_pk_fma_f32 v[24:25], v[20:21], v[14:15], v[22:23] op_sel_hi:[1,0,1]
	v_pk_fma_f32 v[14:15], v[20:21], v[14:15], v[22:23] neg_lo:[0,0,1] neg_hi:[0,0,1]
	v_mov_b32_e32 v15, v25
	s_delay_alu instid0(VALU_DEP_1)
	v_pk_add_f32 v[10:11], v[10:11], v[14:15] neg_lo:[0,1] neg_hi:[0,1]
.LBB189_17:                             ;   in Loop: Header=BB189_18 Depth=2
	s_wait_xcnt 0x0
	s_or_b32 exec_lo, exec_lo, s38
	s_add_nc_u64 s[38:39], s[30:31], 1
	v_add_nc_u64_e32 v[12:13], s[28:29], v[12:13]
	v_cmp_lt_u64_e64 s38, s[38:39], 3
	s_add_nc_u64 s[30:31], s[30:31], -1
	s_and_b32 vcc_lo, exec_lo, s38
	s_cbranch_vccnz .LBB189_2
.LBB189_18:                             ;   Parent Loop BB189_4 Depth=1
                                        ; =>  This Inner Loop Header: Depth=2
	s_mov_b32 s38, exec_lo
	s_wait_dscnt 0x0
	s_barrier_signal -1
	s_barrier_wait -1
	s_wait_xcnt 0x0
	v_cmpx_eq_u64_e64 s[30:31], v[0:1]
; %bb.19:                               ;   in Loop: Header=BB189_18 Depth=2
	ds_store_b64 v18, v[10:11]
; %bb.20:                               ;   in Loop: Header=BB189_18 Depth=2
	s_or_b32 exec_lo, exec_lo, s38
	s_delay_alu instid0(SALU_CYCLE_1)
	s_mov_b32 s38, exec_lo
	s_wait_dscnt 0x0
	s_barrier_signal -1
	s_barrier_wait -1
	v_cmpx_gt_i64_e64 s[30:31], v[0:1]
	s_cbranch_execz .LBB189_17
; %bb.21:                               ;   in Loop: Header=BB189_18 Depth=2
	s_and_b32 vcc_lo, exec_lo, s34
	s_mov_b32 s39, -1
                                        ; implicit-def: $vgpr14
                                        ; implicit-def: $vgpr16
	s_cbranch_vccz .LBB189_23
; %bb.22:                               ;   in Loop: Header=BB189_18 Depth=2
	flat_load_b64 v[14:15], v[12:13] offset:-4
	s_mov_b32 s39, 0
	s_wait_loadcnt_dscnt 0x0
	v_mov_b32_e32 v16, v15
.LBB189_23:                             ;   in Loop: Header=BB189_18 Depth=2
	s_and_not1_b32 vcc_lo, exec_lo, s39
	s_cbranch_vccnz .LBB189_16
; %bb.24:                               ;   in Loop: Header=BB189_18 Depth=2
	flat_load_b64 v[14:15], v[12:13] offset:-4
	s_wait_loadcnt_dscnt 0x0
	v_xor_b32_e32 v16, 0x80000000, v15
	s_branch .LBB189_16
.LBB189_25:
	s_endpgm
	.section	.rodata,"a",@progbits
	.p2align	6, 0x0
	.amdhsa_kernel _ZL40rocblas_trsm_block_backward_substitutionI19rocblas_complex_numIfES1_PKS1_PS1_Lb1ELb1ELb1EEv18rocblas_operation_llT0_T1_lllT2_lllib
		.amdhsa_group_segment_fixed_size 0
		.amdhsa_private_segment_fixed_size 0
		.amdhsa_kernarg_size 360
		.amdhsa_user_sgpr_count 2
		.amdhsa_user_sgpr_dispatch_ptr 0
		.amdhsa_user_sgpr_queue_ptr 0
		.amdhsa_user_sgpr_kernarg_segment_ptr 1
		.amdhsa_user_sgpr_dispatch_id 0
		.amdhsa_user_sgpr_kernarg_preload_length 0
		.amdhsa_user_sgpr_kernarg_preload_offset 0
		.amdhsa_user_sgpr_private_segment_size 0
		.amdhsa_wavefront_size32 1
		.amdhsa_uses_dynamic_stack 0
		.amdhsa_enable_private_segment 0
		.amdhsa_system_sgpr_workgroup_id_x 1
		.amdhsa_system_sgpr_workgroup_id_y 1
		.amdhsa_system_sgpr_workgroup_id_z 1
		.amdhsa_system_sgpr_workgroup_info 0
		.amdhsa_system_vgpr_workitem_id 1
		.amdhsa_next_free_vgpr 26
		.amdhsa_next_free_sgpr 40
		.amdhsa_named_barrier_count 0
		.amdhsa_reserve_vcc 1
		.amdhsa_float_round_mode_32 0
		.amdhsa_float_round_mode_16_64 0
		.amdhsa_float_denorm_mode_32 3
		.amdhsa_float_denorm_mode_16_64 3
		.amdhsa_fp16_overflow 0
		.amdhsa_memory_ordered 1
		.amdhsa_forward_progress 1
		.amdhsa_inst_pref_size 9
		.amdhsa_round_robin_scheduling 0
		.amdhsa_exception_fp_ieee_invalid_op 0
		.amdhsa_exception_fp_denorm_src 0
		.amdhsa_exception_fp_ieee_div_zero 0
		.amdhsa_exception_fp_ieee_overflow 0
		.amdhsa_exception_fp_ieee_underflow 0
		.amdhsa_exception_fp_ieee_inexact 0
		.amdhsa_exception_int_div_zero 0
	.end_amdhsa_kernel
	.section	.text._ZL40rocblas_trsm_block_backward_substitutionI19rocblas_complex_numIfES1_PKS1_PS1_Lb1ELb1ELb1EEv18rocblas_operation_llT0_T1_lllT2_lllib,"axG",@progbits,_ZL40rocblas_trsm_block_backward_substitutionI19rocblas_complex_numIfES1_PKS1_PS1_Lb1ELb1ELb1EEv18rocblas_operation_llT0_T1_lllT2_lllib,comdat
.Lfunc_end189:
	.size	_ZL40rocblas_trsm_block_backward_substitutionI19rocblas_complex_numIfES1_PKS1_PS1_Lb1ELb1ELb1EEv18rocblas_operation_llT0_T1_lllT2_lllib, .Lfunc_end189-_ZL40rocblas_trsm_block_backward_substitutionI19rocblas_complex_numIfES1_PKS1_PS1_Lb1ELb1ELb1EEv18rocblas_operation_llT0_T1_lllT2_lllib
                                        ; -- End function
	.set _ZL40rocblas_trsm_block_backward_substitutionI19rocblas_complex_numIfES1_PKS1_PS1_Lb1ELb1ELb1EEv18rocblas_operation_llT0_T1_lllT2_lllib.num_vgpr, 26
	.set _ZL40rocblas_trsm_block_backward_substitutionI19rocblas_complex_numIfES1_PKS1_PS1_Lb1ELb1ELb1EEv18rocblas_operation_llT0_T1_lllT2_lllib.num_agpr, 0
	.set _ZL40rocblas_trsm_block_backward_substitutionI19rocblas_complex_numIfES1_PKS1_PS1_Lb1ELb1ELb1EEv18rocblas_operation_llT0_T1_lllT2_lllib.numbered_sgpr, 40
	.set _ZL40rocblas_trsm_block_backward_substitutionI19rocblas_complex_numIfES1_PKS1_PS1_Lb1ELb1ELb1EEv18rocblas_operation_llT0_T1_lllT2_lllib.num_named_barrier, 0
	.set _ZL40rocblas_trsm_block_backward_substitutionI19rocblas_complex_numIfES1_PKS1_PS1_Lb1ELb1ELb1EEv18rocblas_operation_llT0_T1_lllT2_lllib.private_seg_size, 0
	.set _ZL40rocblas_trsm_block_backward_substitutionI19rocblas_complex_numIfES1_PKS1_PS1_Lb1ELb1ELb1EEv18rocblas_operation_llT0_T1_lllT2_lllib.uses_vcc, 1
	.set _ZL40rocblas_trsm_block_backward_substitutionI19rocblas_complex_numIfES1_PKS1_PS1_Lb1ELb1ELb1EEv18rocblas_operation_llT0_T1_lllT2_lllib.uses_flat_scratch, 0
	.set _ZL40rocblas_trsm_block_backward_substitutionI19rocblas_complex_numIfES1_PKS1_PS1_Lb1ELb1ELb1EEv18rocblas_operation_llT0_T1_lllT2_lllib.has_dyn_sized_stack, 0
	.set _ZL40rocblas_trsm_block_backward_substitutionI19rocblas_complex_numIfES1_PKS1_PS1_Lb1ELb1ELb1EEv18rocblas_operation_llT0_T1_lllT2_lllib.has_recursion, 0
	.set _ZL40rocblas_trsm_block_backward_substitutionI19rocblas_complex_numIfES1_PKS1_PS1_Lb1ELb1ELb1EEv18rocblas_operation_llT0_T1_lllT2_lllib.has_indirect_call, 0
	.section	.AMDGPU.csdata,"",@progbits
; Kernel info:
; codeLenInByte = 1064
; TotalNumSgprs: 42
; NumVgprs: 26
; ScratchSize: 0
; MemoryBound: 0
; FloatMode: 240
; IeeeMode: 1
; LDSByteSize: 0 bytes/workgroup (compile time only)
; SGPRBlocks: 0
; VGPRBlocks: 1
; NumSGPRsForWavesPerEU: 42
; NumVGPRsForWavesPerEU: 26
; NamedBarCnt: 0
; Occupancy: 16
; WaveLimiterHint : 0
; COMPUTE_PGM_RSRC2:SCRATCH_EN: 0
; COMPUTE_PGM_RSRC2:USER_SGPR: 2
; COMPUTE_PGM_RSRC2:TRAP_HANDLER: 0
; COMPUTE_PGM_RSRC2:TGID_X_EN: 1
; COMPUTE_PGM_RSRC2:TGID_Y_EN: 1
; COMPUTE_PGM_RSRC2:TGID_Z_EN: 1
; COMPUTE_PGM_RSRC2:TIDIG_COMP_CNT: 1
	.section	.text._ZL39rocblas_trsm_block_forward_substitutionI19rocblas_complex_numIfES1_PKS1_PS1_Lb1ELb0ELb0EEv18rocblas_operation_llT0_T1_lllT2_lllib,"axG",@progbits,_ZL39rocblas_trsm_block_forward_substitutionI19rocblas_complex_numIfES1_PKS1_PS1_Lb1ELb0ELb0EEv18rocblas_operation_llT0_T1_lllT2_lllib,comdat
	.globl	_ZL39rocblas_trsm_block_forward_substitutionI19rocblas_complex_numIfES1_PKS1_PS1_Lb1ELb0ELb0EEv18rocblas_operation_llT0_T1_lllT2_lllib ; -- Begin function _ZL39rocblas_trsm_block_forward_substitutionI19rocblas_complex_numIfES1_PKS1_PS1_Lb1ELb0ELb0EEv18rocblas_operation_llT0_T1_lllT2_lllib
	.p2align	8
	.type	_ZL39rocblas_trsm_block_forward_substitutionI19rocblas_complex_numIfES1_PKS1_PS1_Lb1ELb0ELb0EEv18rocblas_operation_llT0_T1_lllT2_lllib,@function
_ZL39rocblas_trsm_block_forward_substitutionI19rocblas_complex_numIfES1_PKS1_PS1_Lb1ELb0ELb0EEv18rocblas_operation_llT0_T1_lllT2_lllib: ; @_ZL39rocblas_trsm_block_forward_substitutionI19rocblas_complex_numIfES1_PKS1_PS1_Lb1ELb0ELb0EEv18rocblas_operation_llT0_T1_lllT2_lllib
; %bb.0:
	s_load_b64 s[24:25], s[0:1], 0x60
	s_bfe_u32 s2, ttmp6, 0x40014
	s_lshr_b32 s3, ttmp7, 16
	s_add_co_i32 s2, s2, 1
	s_bfe_u32 s5, ttmp6, 0x40008
	s_mul_i32 s4, s3, s2
	s_getreg_b32 s2, hwreg(HW_REG_IB_STS2, 6, 4)
	s_add_co_i32 s5, s5, s4
	s_cmp_eq_u32 s2, 0
	s_mov_b32 s27, 0
	s_cselect_b32 s26, s3, s5
	s_wait_kmcnt 0x0
	s_cmp_ge_u32 s26, s24
	s_cbranch_scc1 .LBB190_51
; %bb.1:
	s_clause 0x1
	s_load_b32 s3, s[0:1], 0x0
	s_load_b512 s[4:19], s[0:1], 0x20
	s_bitcmp1_b32 s25, 0
	s_clause 0x1
	s_load_u16 s25, s[0:1], 0x76
	s_load_b128 s[20:23], s[0:1], 0x8
	s_mov_b64 s[28:29], src_shared_base
	s_cselect_b32 s28, -1, 0
	v_bfe_u32 v19, v0, 10, 10
	s_xor_b32 s33, s28, -1
	v_mov_b32_e32 v5, 0
	v_and_b32_e32 v0, 0x3ff, v0
	v_cndmask_b32_e64 v18, 0, 1, s28
	v_lshl_add_u32 v20, v19, 3, 0
	s_delay_alu instid0(VALU_DEP_4) | instskip(NEXT) | instid1(VALU_DEP_1)
	v_mov_b32_e32 v1, v5
	v_lshlrev_b64_e32 v[2:3], 3, v[0:1]
	s_wait_kmcnt 0x0
	s_cmp_lg_u32 s3, 0x71
	s_cselect_b32 s36, -1, 0
	s_bfe_u32 s3, ttmp6, 0x40010
	s_lshl_b64 s[34:35], s[6:7], 3
	s_and_b32 s6, ttmp7, 0xffff
	s_add_co_i32 s3, s3, 1
	s_bfe_u32 s7, ttmp6, 0x40004
	s_mul_i32 s3, s6, s3
	s_lshl_b64 s[38:39], s[14:15], 3
	s_add_co_i32 s7, s7, s3
	s_cmp_eq_u32 s2, 0
	s_add_nc_u64 s[12:13], s[12:13], s[38:39]
	s_cselect_b32 s2, s6, s7
	s_load_b64 s[6:7], s[0:1], 0x18
	v_mad_u32 v4, s2, s25, v19
	s_add_nc_u64 s[14:15], s[0:1], 0x68
	v_cmp_le_i64_e32 vcc_lo, s[20:21], v[0:1]
	s_wait_xcnt 0x0
	v_cmp_gt_i64_e64 s1, s[20:21], v[0:1]
	s_lshl_b32 s3, s25, 3
	v_cmp_gt_i64_e64 s37, s[20:21], 0
	v_cmp_lt_i64_e64 s38, s[20:21], 2
	s_add_nc_u64 s[4:5], s[4:5], s[34:35]
	s_xor_b32 s39, vcc_lo, -1
	v_mul_u64_e32 v[6:7], s[16:17], v[4:5]
	v_cmp_gt_i64_e64 s2, s[22:23], v[4:5]
	s_mov_b32 s17, s29
	s_add_nc_u64 s[28:29], s[20:21], -1
	s_add_co_i32 s16, s3, 0
	v_cmp_eq_u64_e64 s0, s[28:29], v[0:1]
	v_lshl_add_u32 v21, v0, 3, s16
	s_wait_kmcnt 0x0
	s_mov_b32 s30, s7
	s_and_b32 s1, s2, s1
	s_mov_b32 s31, s6
	s_mov_b64 s[2:3], 1
	v_lshl_add_u64 v[4:5], v[6:7], 3, s[12:13]
	s_delay_alu instid0(VALU_DEP_1)
	v_add_nc_u64_e32 v[4:5], v[4:5], v[2:3]
	s_branch .LBB190_5
.LBB190_2:                              ;   in Loop: Header=BB190_5 Depth=1
	s_wait_loadcnt_dscnt 0x0
	s_wait_xcnt 0x0
	s_delay_alu instid0(VALU_DEP_1) | instskip(NEXT) | instid1(VALU_DEP_1)
	v_pk_mul_f32 v[10:11], v[8:9], v[12:13] op_sel:[1,1] op_sel_hi:[1,0]
	v_pk_fma_f32 v[14:15], v[8:9], v[12:13], v[10:11] op_sel_hi:[0,1,1]
	v_pk_fma_f32 v[8:9], v[8:9], v[12:13], v[10:11] neg_lo:[0,0,1] neg_hi:[0,0,1]
	s_delay_alu instid0(VALU_DEP_2)
	v_mov_b32_e32 v9, v15
.LBB190_3:                              ;   in Loop: Header=BB190_5 Depth=1
	s_or_b32 exec_lo, exec_lo, s22
	global_store_b64 v[6:7], v[8:9], off
.LBB190_4:                              ;   in Loop: Header=BB190_5 Depth=1
	s_wait_xcnt 0x0
	s_or_b32 exec_lo, exec_lo, s40
	s_add_co_i32 s26, s26, 0x10000
	s_delay_alu instid0(SALU_CYCLE_1)
	s_cmp_lt_u32 s26, s24
	s_cbranch_scc0 .LBB190_51
.LBB190_5:                              ; =>This Loop Header: Depth=1
                                        ;     Child Loop BB190_12 Depth 2
                                        ;     Child Loop BB190_27 Depth 2
	v_cmp_ne_u32_e32 vcc_lo, 1, v18
	s_mul_u64 s[12:13], s[10:11], s[26:27]
	s_delay_alu instid0(SALU_CYCLE_1) | instskip(NEXT) | instid1(SALU_CYCLE_1)
	s_lshl_b64 s[12:13], s[12:13], 3
	s_add_nc_u64 s[12:13], s[4:5], s[12:13]
	s_cbranch_vccz .LBB190_7
; %bb.6:                                ;   in Loop: Header=BB190_5 Depth=1
	s_and_saveexec_b32 s40, s1
	s_cbranch_execz .LBB190_4
	s_branch .LBB190_21
.LBB190_7:                              ;   in Loop: Header=BB190_5 Depth=1
	s_and_not1_b32 vcc_lo, exec_lo, s37
	s_cbranch_vccnz .LBB190_20
; %bb.8:                                ;   in Loop: Header=BB190_5 Depth=1
	v_mul_u64_e32 v[6:7], s[8:9], v[0:1]
	v_mul_hi_u32_u24_e32 v9, s2, v0
	v_mul_u32_u24_e32 v8, s2, v0
	v_mov_b32_e32 v10, v19
	s_mov_b32 s8, s25
	s_delay_alu instid0(VALU_DEP_4) | instskip(NEXT) | instid1(VALU_DEP_1)
	v_lshl_add_u64 v[6:7], v[6:7], 3, s[12:13]
	v_lshl_add_u64 v[8:9], v[8:9], 3, v[6:7]
	s_branch .LBB190_12
.LBB190_9:                              ;   in Loop: Header=BB190_12 Depth=2
	s_or_b32 exec_lo, exec_lo, s13
	s_load_b32 s13, s[14:15], 0xc
	s_wait_kmcnt 0x0
	s_and_b32 s13, s13, 0xffff
	s_delay_alu instid0(SALU_CYCLE_1) | instskip(NEXT) | instid1(VALU_DEP_1)
	v_mul_u32_u24_e32 v3, s13, v0
	v_lshl_add_u32 v3, v3, 3, v21
	ds_store_b64 v3, v[14:15]
.LBB190_10:                             ;   in Loop: Header=BB190_12 Depth=2
	s_or_b32 exec_lo, exec_lo, s12
.LBB190_11:                             ;   in Loop: Header=BB190_12 Depth=2
	s_delay_alu instid0(SALU_CYCLE_1)
	s_or_b32 exec_lo, exec_lo, s9
	s_ashr_i32 s9, s8, 31
	v_add_nc_u32_e32 v10, s25, v10
	v_cmp_le_i64_e64 s9, s[20:21], s[8:9]
	s_add_co_i32 s8, s8, s25
	s_and_b32 vcc_lo, exec_lo, s9
	s_cbranch_vccnz .LBB190_20
.LBB190_12:                             ;   Parent Loop BB190_5 Depth=1
                                        ; =>  This Inner Loop Header: Depth=2
	v_cmp_gt_i32_e32 vcc_lo, v0, v10
	s_and_b32 s9, s39, vcc_lo
	s_delay_alu instid0(SALU_CYCLE_1) | instskip(NEXT) | instid1(SALU_CYCLE_1)
	s_and_saveexec_b32 s12, s9
	s_xor_b32 s9, exec_lo, s12
	s_cbranch_execz .LBB190_14
; %bb.13:                               ;   in Loop: Header=BB190_12 Depth=2
	v_ashrrev_i32_e32 v11, 31, v10
	s_load_b32 s12, s[14:15], 0xc
	s_delay_alu instid0(VALU_DEP_1) | instskip(SKIP_2) | instid1(SALU_CYCLE_1)
	v_mul_u64_e32 v[12:13], s[2:3], v[10:11]
	s_wait_kmcnt 0x0
	s_and_b32 s12, s12, 0xffff
	v_mul_lo_u32 v3, v10, s12
	s_delay_alu instid0(VALU_DEP_1) | instskip(NEXT) | instid1(VALU_DEP_3)
	v_lshl_add_u32 v3, v3, 3, v21
	v_lshl_add_u64 v[12:13], v[12:13], 3, v[6:7]
	global_load_b64 v[12:13], v[12:13], off
	s_wait_loadcnt 0x0
	ds_store_b64 v3, v[12:13]
.LBB190_14:                             ;   in Loop: Header=BB190_12 Depth=2
	s_wait_xcnt 0x0
	s_and_not1_saveexec_b32 s9, s9
	s_cbranch_execz .LBB190_11
; %bb.15:                               ;   in Loop: Header=BB190_12 Depth=2
	v_cmp_eq_u32_e32 vcc_lo, v0, v10
	s_and_b32 s13, s39, vcc_lo
	s_delay_alu instid0(SALU_CYCLE_1)
	s_and_saveexec_b32 s12, s13
	s_cbranch_execz .LBB190_10
; %bb.16:                               ;   in Loop: Header=BB190_12 Depth=2
	global_load_b64 v[12:13], v[8:9], off
                                        ; implicit-def: $vgpr14_vgpr15
	s_wait_loadcnt 0x0
	v_cmp_ngt_f32_e64 s13, |v12|, |v13|
	s_wait_xcnt 0x0
	s_and_saveexec_b32 s22, s13
	s_delay_alu instid0(SALU_CYCLE_1)
	s_xor_b32 s13, exec_lo, s22
	s_cbranch_execz .LBB190_18
; %bb.17:                               ;   in Loop: Header=BB190_12 Depth=2
	v_div_scale_f32 v3, null, v13, v13, v12
	v_div_scale_f32 v15, vcc_lo, v12, v13, v12
	s_delay_alu instid0(VALU_DEP_2) | instskip(SKIP_1) | instid1(TRANS32_DEP_1)
	v_rcp_f32_e32 v11, v3
	v_nop
	v_fma_f32 v14, -v3, v11, 1.0
	s_delay_alu instid0(VALU_DEP_1) | instskip(NEXT) | instid1(VALU_DEP_1)
	v_fmac_f32_e32 v11, v14, v11
	v_mul_f32_e32 v14, v15, v11
	s_delay_alu instid0(VALU_DEP_1) | instskip(NEXT) | instid1(VALU_DEP_1)
	v_fma_f32 v16, -v3, v14, v15
	v_fmac_f32_e32 v14, v16, v11
	s_delay_alu instid0(VALU_DEP_1) | instskip(NEXT) | instid1(VALU_DEP_1)
	v_fma_f32 v3, -v3, v14, v15
	v_div_fmas_f32 v3, v3, v11, v14
	s_delay_alu instid0(VALU_DEP_1) | instskip(NEXT) | instid1(VALU_DEP_1)
	v_div_fixup_f32 v3, v3, v13, v12
	v_fmac_f32_e32 v13, v12, v3
	s_delay_alu instid0(VALU_DEP_1) | instskip(SKIP_1) | instid1(VALU_DEP_2)
	v_div_scale_f32 v11, null, v13, v13, 1.0
	v_div_scale_f32 v15, vcc_lo, 1.0, v13, 1.0
	v_rcp_f32_e32 v12, v11
	v_nop
	s_delay_alu instid0(TRANS32_DEP_1) | instskip(NEXT) | instid1(VALU_DEP_1)
	v_fma_f32 v14, -v11, v12, 1.0
	v_fmac_f32_e32 v12, v14, v12
	s_delay_alu instid0(VALU_DEP_1) | instskip(NEXT) | instid1(VALU_DEP_1)
	v_mul_f32_e32 v14, v15, v12
	v_fma_f32 v16, -v11, v14, v15
	s_delay_alu instid0(VALU_DEP_1) | instskip(NEXT) | instid1(VALU_DEP_1)
	v_fmac_f32_e32 v14, v16, v12
	v_fma_f32 v11, -v11, v14, v15
	s_delay_alu instid0(VALU_DEP_1) | instskip(NEXT) | instid1(VALU_DEP_1)
	v_div_fmas_f32 v11, v11, v12, v14
	v_div_fixup_f32 v11, v11, v13, 1.0
                                        ; implicit-def: $vgpr12_vgpr13
	s_delay_alu instid0(VALU_DEP_1)
	v_mul_f32_e32 v14, v3, v11
	v_xor_b32_e32 v15, 0x80000000, v11
.LBB190_18:                             ;   in Loop: Header=BB190_12 Depth=2
	s_and_not1_saveexec_b32 s13, s13
	s_cbranch_execz .LBB190_9
; %bb.19:                               ;   in Loop: Header=BB190_12 Depth=2
	v_div_scale_f32 v3, null, v12, v12, v13
	v_div_scale_f32 v15, vcc_lo, v13, v12, v13
	s_delay_alu instid0(VALU_DEP_2) | instskip(SKIP_1) | instid1(TRANS32_DEP_1)
	v_rcp_f32_e32 v11, v3
	v_nop
	v_fma_f32 v14, -v3, v11, 1.0
	s_delay_alu instid0(VALU_DEP_1) | instskip(NEXT) | instid1(VALU_DEP_1)
	v_fmac_f32_e32 v11, v14, v11
	v_mul_f32_e32 v14, v15, v11
	s_delay_alu instid0(VALU_DEP_1) | instskip(NEXT) | instid1(VALU_DEP_1)
	v_fma_f32 v16, -v3, v14, v15
	v_fmac_f32_e32 v14, v16, v11
	s_delay_alu instid0(VALU_DEP_1) | instskip(NEXT) | instid1(VALU_DEP_1)
	v_fma_f32 v3, -v3, v14, v15
	v_div_fmas_f32 v3, v3, v11, v14
	s_delay_alu instid0(VALU_DEP_1) | instskip(NEXT) | instid1(VALU_DEP_1)
	v_div_fixup_f32 v3, v3, v12, v13
	v_fmac_f32_e32 v12, v13, v3
	s_delay_alu instid0(VALU_DEP_1) | instskip(NEXT) | instid1(VALU_DEP_1)
	v_div_scale_f32 v11, null, v12, v12, 1.0
	v_rcp_f32_e32 v13, v11
	v_nop
	s_delay_alu instid0(TRANS32_DEP_1) | instskip(NEXT) | instid1(VALU_DEP_1)
	v_fma_f32 v14, -v11, v13, 1.0
	v_fmac_f32_e32 v13, v14, v13
	v_div_scale_f32 v14, vcc_lo, 1.0, v12, 1.0
	s_delay_alu instid0(VALU_DEP_1) | instskip(NEXT) | instid1(VALU_DEP_1)
	v_mul_f32_e32 v15, v14, v13
	v_fma_f32 v16, -v11, v15, v14
	s_delay_alu instid0(VALU_DEP_1) | instskip(NEXT) | instid1(VALU_DEP_1)
	v_fmac_f32_e32 v15, v16, v13
	v_fma_f32 v11, -v11, v15, v14
	s_delay_alu instid0(VALU_DEP_1) | instskip(NEXT) | instid1(VALU_DEP_1)
	v_div_fmas_f32 v11, v11, v13, v15
	v_div_fixup_f32 v14, v11, v12, 1.0
	s_delay_alu instid0(VALU_DEP_1)
	v_mul_f32_e64 v15, v3, -v14
	s_branch .LBB190_9
.LBB190_20:                             ;   in Loop: Header=BB190_5 Depth=1
	s_load_b32 s2, s[14:15], 0xc
	s_mov_b32 s3, s27
	s_mov_b64 s[8:9], 1
	s_mov_b64 s[12:13], s[16:17]
	s_wait_kmcnt 0x0
	s_and_b32 s2, s2, 0xffff
	s_and_saveexec_b32 s40, s1
	s_cbranch_execz .LBB190_4
.LBB190_21:                             ;   in Loop: Header=BB190_5 Depth=1
	s_mul_u64 s[22:23], s[18:19], s[26:27]
	v_mov_b64_e32 v[10:11], s[30:31]
	v_lshl_add_u64 v[6:7], s[22:23], 3, v[4:5]
	v_mov_b64_e32 v[12:13], s[6:7]
	s_and_not1_b32 vcc_lo, exec_lo, s38
	s_mov_b32 s22, -1
	global_load_b64 v[8:9], v[6:7], off
	s_wait_loadcnt 0x0
	v_pk_mul_f32 v[10:11], v[10:11], v[8:9] op_sel:[0,1]
	v_pk_mul_f32 v[16:17], v[12:13], v[8:9] op_sel_hi:[1,0]
	s_delay_alu instid0(VALU_DEP_2) | instskip(NEXT) | instid1(VALU_DEP_2)
	v_pk_fma_f32 v[14:15], v[12:13], v[8:9], v[10:11] op_sel_hi:[1,0,1]
	v_sub_f32_e32 v14, v16, v10
                                        ; implicit-def: $vgpr8_vgpr9
	s_cbranch_vccnz .LBB190_23
; %bb.22:                               ;   in Loop: Header=BB190_5 Depth=1
	s_delay_alu instid0(VALU_DEP_1)
	v_mov_b64_e32 v[8:9], v[14:15]
	s_mov_b32 s22, 0
.LBB190_23:                             ;   in Loop: Header=BB190_5 Depth=1
	s_delay_alu instid0(SALU_CYCLE_1)
	s_and_not1_b32 vcc_lo, exec_lo, s22
	s_cbranch_vccnz .LBB190_42
; %bb.24:                               ;   in Loop: Header=BB190_5 Depth=1
	s_add_nc_u64 s[22:23], s[2:3], s[8:9]
	v_mad_nc_u64_u32 v[10:11], v2, s8, s[12:13]
	v_mul_u64_e32 v[8:9], s[22:23], v[0:1]
	s_lshl_b64 s[22:23], s[2:3], 3
	s_mov_b64 s[34:35], 0
	s_delay_alu instid0(VALU_DEP_2) | instskip(NEXT) | instid1(VALU_DEP_1)
	v_mad_u32 v11, v2, s9, v11
	v_add_nc_u64_e32 v[10:11], 4, v[10:11]
	s_delay_alu instid0(VALU_DEP_3)
	v_lshl_add_u64 v[12:13], v[8:9], 3, s[12:13]
	s_branch .LBB190_27
.LBB190_25:                             ;   in Loop: Header=BB190_27 Depth=2
	ds_load_b64 v[22:23], v20
	s_wait_dscnt 0x0
	v_pk_mul_f32 v[16:17], v[16:17], v[22:23] op_sel:[0,1] op_sel_hi:[0,0]
	s_delay_alu instid0(VALU_DEP_1) | instskip(SKIP_1) | instid1(VALU_DEP_2)
	v_pk_fma_f32 v[24:25], v[22:23], v[14:15], v[16:17] op_sel_hi:[1,0,1]
	v_pk_fma_f32 v[14:15], v[22:23], v[14:15], v[16:17] neg_lo:[0,0,1] neg_hi:[0,0,1]
	v_mov_b32_e32 v15, v25
	s_delay_alu instid0(VALU_DEP_1) | instskip(NEXT) | instid1(VALU_DEP_1)
	v_pk_add_f32 v[14:15], v[8:9], v[14:15] neg_lo:[0,1] neg_hi:[0,1]
	v_mov_b64_e32 v[8:9], v[14:15]
.LBB190_26:                             ;   in Loop: Header=BB190_27 Depth=2
	s_wait_xcnt 0x0
	s_or_b32 exec_lo, exec_lo, s41
	v_add_nc_u64_e32 v[10:11], s[22:23], v[10:11]
	s_add_nc_u64 s[34:35], s[34:35], 1
	s_delay_alu instid0(SALU_CYCLE_1)
	s_cmp_eq_u64 s[28:29], s[34:35]
	s_cbranch_scc1 .LBB190_42
.LBB190_27:                             ;   Parent Loop BB190_5 Depth=1
                                        ; =>  This Inner Loop Header: Depth=2
	v_mov_b64_e32 v[8:9], v[14:15]
	s_mov_b32 s41, exec_lo
	s_wait_dscnt 0x0
	s_barrier_signal -1
	s_barrier_wait -1
	s_wait_xcnt 0x0
	v_cmpx_eq_u64_e64 s[34:35], v[0:1]
	s_cbranch_execz .LBB190_37
; %bb.28:                               ;   in Loop: Header=BB190_27 Depth=2
	flat_load_b64 v[8:9], v[12:13]
	s_and_b32 vcc_lo, exec_lo, s33
	s_mov_b32 s42, -1
                                        ; implicit-def: $vgpr16_vgpr17
	s_cbranch_vccz .LBB190_34
; %bb.29:                               ;   in Loop: Header=BB190_27 Depth=2
	s_wait_loadcnt_dscnt 0x0
	v_cmp_ngt_f32_e64 s42, |v8|, |v9|
                                        ; implicit-def: $vgpr16_vgpr17
	s_wait_xcnt 0x0
	s_and_saveexec_b32 s43, s42
	s_delay_alu instid0(SALU_CYCLE_1)
	s_xor_b32 s42, exec_lo, s43
	s_cbranch_execz .LBB190_31
; %bb.30:                               ;   in Loop: Header=BB190_27 Depth=2
	v_div_scale_f32 v3, null, v9, v9, v8
	v_div_scale_f32 v22, vcc_lo, v8, v9, v8
	s_delay_alu instid0(VALU_DEP_2) | instskip(SKIP_1) | instid1(TRANS32_DEP_1)
	v_rcp_f32_e32 v16, v3
	v_nop
	v_fma_f32 v17, -v3, v16, 1.0
	s_delay_alu instid0(VALU_DEP_1) | instskip(NEXT) | instid1(VALU_DEP_1)
	v_fmac_f32_e32 v16, v17, v16
	v_mul_f32_e32 v17, v22, v16
	s_delay_alu instid0(VALU_DEP_1) | instskip(NEXT) | instid1(VALU_DEP_1)
	v_fma_f32 v23, -v3, v17, v22
	v_fmac_f32_e32 v17, v23, v16
	s_delay_alu instid0(VALU_DEP_1) | instskip(NEXT) | instid1(VALU_DEP_1)
	v_fma_f32 v3, -v3, v17, v22
	v_div_fmas_f32 v3, v3, v16, v17
	s_delay_alu instid0(VALU_DEP_1) | instskip(NEXT) | instid1(VALU_DEP_1)
	v_div_fixup_f32 v3, v3, v9, v8
	v_fma_f32 v16, v8, v3, v9
	s_delay_alu instid0(VALU_DEP_1) | instskip(SKIP_1) | instid1(VALU_DEP_2)
	v_div_scale_f32 v17, null, v16, v16, 1.0
	v_div_scale_f32 v24, vcc_lo, 1.0, v16, 1.0
	v_rcp_f32_e32 v22, v17
	v_nop
	s_delay_alu instid0(TRANS32_DEP_1) | instskip(NEXT) | instid1(VALU_DEP_1)
	v_fma_f32 v23, -v17, v22, 1.0
	v_fmac_f32_e32 v22, v23, v22
	s_delay_alu instid0(VALU_DEP_1) | instskip(NEXT) | instid1(VALU_DEP_1)
	v_mul_f32_e32 v23, v24, v22
	v_fma_f32 v25, -v17, v23, v24
	s_delay_alu instid0(VALU_DEP_1) | instskip(NEXT) | instid1(VALU_DEP_1)
	v_fmac_f32_e32 v23, v25, v22
	v_fma_f32 v17, -v17, v23, v24
	s_delay_alu instid0(VALU_DEP_1) | instskip(NEXT) | instid1(VALU_DEP_1)
	v_div_fmas_f32 v17, v17, v22, v23
	v_div_fixup_f32 v17, v17, v16, 1.0
	s_delay_alu instid0(VALU_DEP_1)
	v_mul_f32_e32 v16, v3, v17
	v_xor_b32_e32 v17, 0x80000000, v17
.LBB190_31:                             ;   in Loop: Header=BB190_27 Depth=2
	s_and_not1_saveexec_b32 s42, s42
	s_cbranch_execz .LBB190_33
; %bb.32:                               ;   in Loop: Header=BB190_27 Depth=2
	v_div_scale_f32 v3, null, v8, v8, v9
	v_div_scale_f32 v22, vcc_lo, v9, v8, v9
	s_delay_alu instid0(VALU_DEP_2) | instskip(SKIP_1) | instid1(TRANS32_DEP_1)
	v_rcp_f32_e32 v16, v3
	v_nop
	v_fma_f32 v17, -v3, v16, 1.0
	s_delay_alu instid0(VALU_DEP_1) | instskip(NEXT) | instid1(VALU_DEP_1)
	v_fmac_f32_e32 v16, v17, v16
	v_mul_f32_e32 v17, v22, v16
	s_delay_alu instid0(VALU_DEP_1) | instskip(NEXT) | instid1(VALU_DEP_1)
	v_fma_f32 v23, -v3, v17, v22
	v_fmac_f32_e32 v17, v23, v16
	s_delay_alu instid0(VALU_DEP_1) | instskip(NEXT) | instid1(VALU_DEP_1)
	v_fma_f32 v3, -v3, v17, v22
	v_div_fmas_f32 v3, v3, v16, v17
	s_delay_alu instid0(VALU_DEP_1) | instskip(NEXT) | instid1(VALU_DEP_1)
	v_div_fixup_f32 v3, v3, v8, v9
	v_fma_f32 v16, v9, v3, v8
	s_delay_alu instid0(VALU_DEP_1) | instskip(NEXT) | instid1(VALU_DEP_1)
	v_div_scale_f32 v17, null, v16, v16, 1.0
	v_rcp_f32_e32 v22, v17
	v_nop
	s_delay_alu instid0(TRANS32_DEP_1) | instskip(NEXT) | instid1(VALU_DEP_1)
	v_fma_f32 v23, -v17, v22, 1.0
	v_fmac_f32_e32 v22, v23, v22
	v_div_scale_f32 v23, vcc_lo, 1.0, v16, 1.0
	s_delay_alu instid0(VALU_DEP_1) | instskip(NEXT) | instid1(VALU_DEP_1)
	v_mul_f32_e32 v24, v23, v22
	v_fma_f32 v25, -v17, v24, v23
	s_delay_alu instid0(VALU_DEP_1) | instskip(NEXT) | instid1(VALU_DEP_1)
	v_fmac_f32_e32 v24, v25, v22
	v_fma_f32 v17, -v17, v24, v23
	s_delay_alu instid0(VALU_DEP_1) | instskip(NEXT) | instid1(VALU_DEP_1)
	v_div_fmas_f32 v17, v17, v22, v24
	v_div_fixup_f32 v16, v17, v16, 1.0
	s_delay_alu instid0(VALU_DEP_1)
	v_mul_f32_e64 v17, v3, -v16
.LBB190_33:                             ;   in Loop: Header=BB190_27 Depth=2
	s_or_b32 exec_lo, exec_lo, s42
	s_mov_b32 s42, 0
.LBB190_34:                             ;   in Loop: Header=BB190_27 Depth=2
	s_delay_alu instid0(SALU_CYCLE_1)
	s_and_not1_b32 vcc_lo, exec_lo, s42
	s_cbranch_vccnz .LBB190_36
; %bb.35:                               ;   in Loop: Header=BB190_27 Depth=2
	s_wait_loadcnt_dscnt 0x0
	v_mov_b64_e32 v[16:17], v[8:9]
.LBB190_36:                             ;   in Loop: Header=BB190_27 Depth=2
	s_delay_alu instid0(VALU_DEP_1) | instskip(SKIP_1) | instid1(VALU_DEP_1)
	v_pk_mul_f32 v[22:23], v[14:15], v[16:17] op_sel:[1,1] op_sel_hi:[0,1]
	s_wait_loadcnt_dscnt 0x0
	v_pk_fma_f32 v[8:9], v[14:15], v[16:17], v[22:23] op_sel_hi:[1,0,1] neg_lo:[0,0,1] neg_hi:[0,0,1]
	v_pk_fma_f32 v[14:15], v[14:15], v[16:17], v[22:23] op_sel_hi:[1,0,1]
	s_delay_alu instid0(VALU_DEP_1)
	v_dual_mov_b32 v14, v8 :: v_dual_mov_b32 v9, v15
	ds_store_b64 v20, v[8:9]
.LBB190_37:                             ;   in Loop: Header=BB190_27 Depth=2
	s_wait_xcnt 0x0
	s_or_b32 exec_lo, exec_lo, s41
	s_delay_alu instid0(SALU_CYCLE_1)
	s_mov_b32 s41, exec_lo
	s_wait_dscnt 0x0
	s_barrier_signal -1
	s_barrier_wait -1
	v_cmpx_lt_u64_e64 s[34:35], v[0:1]
	s_cbranch_execz .LBB190_26
; %bb.38:                               ;   in Loop: Header=BB190_27 Depth=2
	s_and_b32 vcc_lo, exec_lo, s36
	s_mov_b32 s42, -1
                                        ; implicit-def: $vgpr14
                                        ; implicit-def: $vgpr16
	s_cbranch_vccz .LBB190_40
; %bb.39:                               ;   in Loop: Header=BB190_27 Depth=2
	flat_load_b64 v[14:15], v[10:11] offset:-4
	s_mov_b32 s42, 0
	s_wait_loadcnt_dscnt 0x0
	v_mov_b32_e32 v16, v15
.LBB190_40:                             ;   in Loop: Header=BB190_27 Depth=2
	s_and_not1_b32 vcc_lo, exec_lo, s42
	s_cbranch_vccnz .LBB190_25
; %bb.41:                               ;   in Loop: Header=BB190_27 Depth=2
	flat_load_b64 v[14:15], v[10:11] offset:-4
	s_wait_loadcnt_dscnt 0x0
	v_xor_b32_e32 v16, 0x80000000, v15
	s_branch .LBB190_25
.LBB190_42:                             ;   in Loop: Header=BB190_5 Depth=1
	s_wait_xcnt 0x0
	s_and_saveexec_b32 s22, s0
	s_cbranch_execz .LBB190_3
; %bb.43:                               ;   in Loop: Header=BB190_5 Depth=1
	s_add_nc_u64 s[34:35], s[2:3], s[8:9]
	s_and_b32 vcc_lo, exec_lo, s33
	v_mul_u64_e32 v[10:11], s[34:35], v[0:1]
                                        ; implicit-def: $vgpr12_vgpr13
	s_delay_alu instid0(VALU_DEP_1)
	v_lshl_add_u64 v[10:11], v[10:11], 3, s[12:13]
	s_mov_b32 s12, -1
	flat_load_b64 v[10:11], v[10:11]
	s_cbranch_vccz .LBB190_49
; %bb.44:                               ;   in Loop: Header=BB190_5 Depth=1
	s_wait_loadcnt_dscnt 0x0
	v_cmp_ngt_f32_e64 s12, |v10|, |v11|
                                        ; implicit-def: $vgpr12_vgpr13
	s_wait_xcnt 0x0
	s_and_saveexec_b32 s13, s12
	s_delay_alu instid0(SALU_CYCLE_1)
	s_xor_b32 s12, exec_lo, s13
	s_cbranch_execz .LBB190_46
; %bb.45:                               ;   in Loop: Header=BB190_5 Depth=1
	v_div_scale_f32 v3, null, v11, v11, v10
	v_div_scale_f32 v14, vcc_lo, v10, v11, v10
	s_delay_alu instid0(VALU_DEP_2) | instskip(SKIP_1) | instid1(TRANS32_DEP_1)
	v_rcp_f32_e32 v12, v3
	v_nop
	v_fma_f32 v13, -v3, v12, 1.0
	s_delay_alu instid0(VALU_DEP_1) | instskip(NEXT) | instid1(VALU_DEP_1)
	v_fmac_f32_e32 v12, v13, v12
	v_mul_f32_e32 v13, v14, v12
	s_delay_alu instid0(VALU_DEP_1) | instskip(NEXT) | instid1(VALU_DEP_1)
	v_fma_f32 v15, -v3, v13, v14
	v_fmac_f32_e32 v13, v15, v12
	s_delay_alu instid0(VALU_DEP_1) | instskip(NEXT) | instid1(VALU_DEP_1)
	v_fma_f32 v3, -v3, v13, v14
	v_div_fmas_f32 v3, v3, v12, v13
	s_delay_alu instid0(VALU_DEP_1) | instskip(NEXT) | instid1(VALU_DEP_1)
	v_div_fixup_f32 v3, v3, v11, v10
	v_fma_f32 v12, v10, v3, v11
	s_delay_alu instid0(VALU_DEP_1) | instskip(SKIP_1) | instid1(VALU_DEP_2)
	v_div_scale_f32 v13, null, v12, v12, 1.0
	v_div_scale_f32 v16, vcc_lo, 1.0, v12, 1.0
	v_rcp_f32_e32 v14, v13
	v_nop
	s_delay_alu instid0(TRANS32_DEP_1) | instskip(NEXT) | instid1(VALU_DEP_1)
	v_fma_f32 v15, -v13, v14, 1.0
	v_fmac_f32_e32 v14, v15, v14
	s_delay_alu instid0(VALU_DEP_1) | instskip(NEXT) | instid1(VALU_DEP_1)
	v_mul_f32_e32 v15, v16, v14
	v_fma_f32 v17, -v13, v15, v16
	s_delay_alu instid0(VALU_DEP_1) | instskip(NEXT) | instid1(VALU_DEP_1)
	v_fmac_f32_e32 v15, v17, v14
	v_fma_f32 v13, -v13, v15, v16
	s_delay_alu instid0(VALU_DEP_1) | instskip(NEXT) | instid1(VALU_DEP_1)
	v_div_fmas_f32 v13, v13, v14, v15
	v_div_fixup_f32 v13, v13, v12, 1.0
	s_delay_alu instid0(VALU_DEP_1)
	v_mul_f32_e32 v12, v3, v13
	v_xor_b32_e32 v13, 0x80000000, v13
.LBB190_46:                             ;   in Loop: Header=BB190_5 Depth=1
	s_and_not1_saveexec_b32 s12, s12
	s_cbranch_execz .LBB190_48
; %bb.47:                               ;   in Loop: Header=BB190_5 Depth=1
	v_div_scale_f32 v3, null, v10, v10, v11
	v_div_scale_f32 v14, vcc_lo, v11, v10, v11
	s_delay_alu instid0(VALU_DEP_2) | instskip(SKIP_1) | instid1(TRANS32_DEP_1)
	v_rcp_f32_e32 v12, v3
	v_nop
	v_fma_f32 v13, -v3, v12, 1.0
	s_delay_alu instid0(VALU_DEP_1) | instskip(NEXT) | instid1(VALU_DEP_1)
	v_fmac_f32_e32 v12, v13, v12
	v_mul_f32_e32 v13, v14, v12
	s_delay_alu instid0(VALU_DEP_1) | instskip(NEXT) | instid1(VALU_DEP_1)
	v_fma_f32 v15, -v3, v13, v14
	v_fmac_f32_e32 v13, v15, v12
	s_delay_alu instid0(VALU_DEP_1) | instskip(NEXT) | instid1(VALU_DEP_1)
	v_fma_f32 v3, -v3, v13, v14
	v_div_fmas_f32 v3, v3, v12, v13
	s_delay_alu instid0(VALU_DEP_1) | instskip(NEXT) | instid1(VALU_DEP_1)
	v_div_fixup_f32 v3, v3, v10, v11
	v_fma_f32 v12, v11, v3, v10
	s_delay_alu instid0(VALU_DEP_1) | instskip(NEXT) | instid1(VALU_DEP_1)
	v_div_scale_f32 v13, null, v12, v12, 1.0
	v_rcp_f32_e32 v14, v13
	v_nop
	s_delay_alu instid0(TRANS32_DEP_1) | instskip(NEXT) | instid1(VALU_DEP_1)
	v_fma_f32 v15, -v13, v14, 1.0
	v_fmac_f32_e32 v14, v15, v14
	v_div_scale_f32 v15, vcc_lo, 1.0, v12, 1.0
	s_delay_alu instid0(VALU_DEP_1) | instskip(NEXT) | instid1(VALU_DEP_1)
	v_mul_f32_e32 v16, v15, v14
	v_fma_f32 v17, -v13, v16, v15
	s_delay_alu instid0(VALU_DEP_1) | instskip(NEXT) | instid1(VALU_DEP_1)
	v_fmac_f32_e32 v16, v17, v14
	v_fma_f32 v13, -v13, v16, v15
	s_delay_alu instid0(VALU_DEP_1) | instskip(NEXT) | instid1(VALU_DEP_1)
	v_div_fmas_f32 v13, v13, v14, v16
	v_div_fixup_f32 v12, v13, v12, 1.0
	s_delay_alu instid0(VALU_DEP_1)
	v_mul_f32_e64 v13, v3, -v12
.LBB190_48:                             ;   in Loop: Header=BB190_5 Depth=1
	s_or_b32 exec_lo, exec_lo, s12
	s_mov_b32 s12, 0
.LBB190_49:                             ;   in Loop: Header=BB190_5 Depth=1
	s_delay_alu instid0(SALU_CYCLE_1)
	s_and_not1_b32 vcc_lo, exec_lo, s12
	s_cbranch_vccnz .LBB190_2
; %bb.50:                               ;   in Loop: Header=BB190_5 Depth=1
	s_wait_loadcnt_dscnt 0x0
	v_mov_b64_e32 v[12:13], v[10:11]
	s_branch .LBB190_2
.LBB190_51:
	s_endpgm
	.section	.rodata,"a",@progbits
	.p2align	6, 0x0
	.amdhsa_kernel _ZL39rocblas_trsm_block_forward_substitutionI19rocblas_complex_numIfES1_PKS1_PS1_Lb1ELb0ELb0EEv18rocblas_operation_llT0_T1_lllT2_lllib
		.amdhsa_group_segment_fixed_size 0
		.amdhsa_private_segment_fixed_size 0
		.amdhsa_kernarg_size 360
		.amdhsa_user_sgpr_count 2
		.amdhsa_user_sgpr_dispatch_ptr 0
		.amdhsa_user_sgpr_queue_ptr 0
		.amdhsa_user_sgpr_kernarg_segment_ptr 1
		.amdhsa_user_sgpr_dispatch_id 0
		.amdhsa_user_sgpr_kernarg_preload_length 0
		.amdhsa_user_sgpr_kernarg_preload_offset 0
		.amdhsa_user_sgpr_private_segment_size 0
		.amdhsa_wavefront_size32 1
		.amdhsa_uses_dynamic_stack 0
		.amdhsa_enable_private_segment 0
		.amdhsa_system_sgpr_workgroup_id_x 1
		.amdhsa_system_sgpr_workgroup_id_y 1
		.amdhsa_system_sgpr_workgroup_id_z 1
		.amdhsa_system_sgpr_workgroup_info 0
		.amdhsa_system_vgpr_workitem_id 1
		.amdhsa_next_free_vgpr 26
		.amdhsa_next_free_sgpr 44
		.amdhsa_named_barrier_count 0
		.amdhsa_reserve_vcc 1
		.amdhsa_float_round_mode_32 0
		.amdhsa_float_round_mode_16_64 0
		.amdhsa_float_denorm_mode_32 3
		.amdhsa_float_denorm_mode_16_64 3
		.amdhsa_fp16_overflow 0
		.amdhsa_memory_ordered 1
		.amdhsa_forward_progress 1
		.amdhsa_inst_pref_size 23
		.amdhsa_round_robin_scheduling 0
		.amdhsa_exception_fp_ieee_invalid_op 0
		.amdhsa_exception_fp_denorm_src 0
		.amdhsa_exception_fp_ieee_div_zero 0
		.amdhsa_exception_fp_ieee_overflow 0
		.amdhsa_exception_fp_ieee_underflow 0
		.amdhsa_exception_fp_ieee_inexact 0
		.amdhsa_exception_int_div_zero 0
	.end_amdhsa_kernel
	.section	.text._ZL39rocblas_trsm_block_forward_substitutionI19rocblas_complex_numIfES1_PKS1_PS1_Lb1ELb0ELb0EEv18rocblas_operation_llT0_T1_lllT2_lllib,"axG",@progbits,_ZL39rocblas_trsm_block_forward_substitutionI19rocblas_complex_numIfES1_PKS1_PS1_Lb1ELb0ELb0EEv18rocblas_operation_llT0_T1_lllT2_lllib,comdat
.Lfunc_end190:
	.size	_ZL39rocblas_trsm_block_forward_substitutionI19rocblas_complex_numIfES1_PKS1_PS1_Lb1ELb0ELb0EEv18rocblas_operation_llT0_T1_lllT2_lllib, .Lfunc_end190-_ZL39rocblas_trsm_block_forward_substitutionI19rocblas_complex_numIfES1_PKS1_PS1_Lb1ELb0ELb0EEv18rocblas_operation_llT0_T1_lllT2_lllib
                                        ; -- End function
	.set _ZL39rocblas_trsm_block_forward_substitutionI19rocblas_complex_numIfES1_PKS1_PS1_Lb1ELb0ELb0EEv18rocblas_operation_llT0_T1_lllT2_lllib.num_vgpr, 26
	.set _ZL39rocblas_trsm_block_forward_substitutionI19rocblas_complex_numIfES1_PKS1_PS1_Lb1ELb0ELb0EEv18rocblas_operation_llT0_T1_lllT2_lllib.num_agpr, 0
	.set _ZL39rocblas_trsm_block_forward_substitutionI19rocblas_complex_numIfES1_PKS1_PS1_Lb1ELb0ELb0EEv18rocblas_operation_llT0_T1_lllT2_lllib.numbered_sgpr, 44
	.set _ZL39rocblas_trsm_block_forward_substitutionI19rocblas_complex_numIfES1_PKS1_PS1_Lb1ELb0ELb0EEv18rocblas_operation_llT0_T1_lllT2_lllib.num_named_barrier, 0
	.set _ZL39rocblas_trsm_block_forward_substitutionI19rocblas_complex_numIfES1_PKS1_PS1_Lb1ELb0ELb0EEv18rocblas_operation_llT0_T1_lllT2_lllib.private_seg_size, 0
	.set _ZL39rocblas_trsm_block_forward_substitutionI19rocblas_complex_numIfES1_PKS1_PS1_Lb1ELb0ELb0EEv18rocblas_operation_llT0_T1_lllT2_lllib.uses_vcc, 1
	.set _ZL39rocblas_trsm_block_forward_substitutionI19rocblas_complex_numIfES1_PKS1_PS1_Lb1ELb0ELb0EEv18rocblas_operation_llT0_T1_lllT2_lllib.uses_flat_scratch, 0
	.set _ZL39rocblas_trsm_block_forward_substitutionI19rocblas_complex_numIfES1_PKS1_PS1_Lb1ELb0ELb0EEv18rocblas_operation_llT0_T1_lllT2_lllib.has_dyn_sized_stack, 0
	.set _ZL39rocblas_trsm_block_forward_substitutionI19rocblas_complex_numIfES1_PKS1_PS1_Lb1ELb0ELb0EEv18rocblas_operation_llT0_T1_lllT2_lllib.has_recursion, 0
	.set _ZL39rocblas_trsm_block_forward_substitutionI19rocblas_complex_numIfES1_PKS1_PS1_Lb1ELb0ELb0EEv18rocblas_operation_llT0_T1_lllT2_lllib.has_indirect_call, 0
	.section	.AMDGPU.csdata,"",@progbits
; Kernel info:
; codeLenInByte = 2840
; TotalNumSgprs: 46
; NumVgprs: 26
; ScratchSize: 0
; MemoryBound: 0
; FloatMode: 240
; IeeeMode: 1
; LDSByteSize: 0 bytes/workgroup (compile time only)
; SGPRBlocks: 0
; VGPRBlocks: 1
; NumSGPRsForWavesPerEU: 46
; NumVGPRsForWavesPerEU: 26
; NamedBarCnt: 0
; Occupancy: 16
; WaveLimiterHint : 0
; COMPUTE_PGM_RSRC2:SCRATCH_EN: 0
; COMPUTE_PGM_RSRC2:USER_SGPR: 2
; COMPUTE_PGM_RSRC2:TRAP_HANDLER: 0
; COMPUTE_PGM_RSRC2:TGID_X_EN: 1
; COMPUTE_PGM_RSRC2:TGID_Y_EN: 1
; COMPUTE_PGM_RSRC2:TGID_Z_EN: 1
; COMPUTE_PGM_RSRC2:TIDIG_COMP_CNT: 1
	.section	.text._ZL40rocblas_trsm_block_backward_substitutionI19rocblas_complex_numIfES1_PKS1_PS1_Lb1ELb0ELb0EEv18rocblas_operation_llT0_T1_lllT2_lllib,"axG",@progbits,_ZL40rocblas_trsm_block_backward_substitutionI19rocblas_complex_numIfES1_PKS1_PS1_Lb1ELb0ELb0EEv18rocblas_operation_llT0_T1_lllT2_lllib,comdat
	.globl	_ZL40rocblas_trsm_block_backward_substitutionI19rocblas_complex_numIfES1_PKS1_PS1_Lb1ELb0ELb0EEv18rocblas_operation_llT0_T1_lllT2_lllib ; -- Begin function _ZL40rocblas_trsm_block_backward_substitutionI19rocblas_complex_numIfES1_PKS1_PS1_Lb1ELb0ELb0EEv18rocblas_operation_llT0_T1_lllT2_lllib
	.p2align	8
	.type	_ZL40rocblas_trsm_block_backward_substitutionI19rocblas_complex_numIfES1_PKS1_PS1_Lb1ELb0ELb0EEv18rocblas_operation_llT0_T1_lllT2_lllib,@function
_ZL40rocblas_trsm_block_backward_substitutionI19rocblas_complex_numIfES1_PKS1_PS1_Lb1ELb0ELb0EEv18rocblas_operation_llT0_T1_lllT2_lllib: ; @_ZL40rocblas_trsm_block_backward_substitutionI19rocblas_complex_numIfES1_PKS1_PS1_Lb1ELb0ELb0EEv18rocblas_operation_llT0_T1_lllT2_lllib
; %bb.0:
	s_load_b64 s[24:25], s[0:1], 0x60
	s_bfe_u32 s2, ttmp6, 0x40014
	s_lshr_b32 s3, ttmp7, 16
	s_add_co_i32 s2, s2, 1
	s_bfe_u32 s4, ttmp6, 0x40008
	s_mul_i32 s2, s3, s2
	s_getreg_b32 s34, hwreg(HW_REG_IB_STS2, 6, 4)
	s_add_co_i32 s4, s4, s2
	s_cmp_eq_u32 s34, 0
	s_mov_b32 s27, 0
	s_cselect_b32 s26, s3, s4
	s_wait_kmcnt 0x0
	s_cmp_ge_u32 s26, s24
	s_cbranch_scc1 .LBB191_52
; %bb.1:
	s_mov_b64 s[2:3], src_shared_base
	s_clause 0x1
	s_load_b512 s[4:19], s[0:1], 0x20
	s_load_b32 s2, s[0:1], 0x0
	v_and_b32_e32 v2, 0x3ff, v0
	v_mov_b32_e32 v1, 0
	s_clause 0x1
	s_load_b128 s[20:23], s[0:1], 0x8
	s_load_b64 s[28:29], s[0:1], 0x18
	s_bitcmp1_b32 s25, 0
	s_load_u16 s25, s[0:1], 0x76
	v_dual_mov_b32 v3, v1 :: v_dual_lshlrev_b32 v10, 3, v2
	v_mov_b32_e32 v7, v1
	s_add_nc_u64 s[30:31], s[0:1], 0x68
	s_wait_xcnt 0x0
	s_cselect_b32 s0, -1, 0
	v_bfe_u32 v22, v0, 10, 10
	s_xor_b32 s33, s0, -1
	v_cndmask_b32_e64 v23, 0, 1, s0
	s_delay_alu instid0(VALU_DEP_2)
	v_lshl_add_u32 v24, v22, 3, 0
	s_wait_kmcnt 0x0
	v_mul_u64_e32 v[8:9], s[16:17], v[2:3]
	s_cmp_lg_u32 s2, 0x71
	v_mul_u64_e32 v[4:5], s[8:9], v[2:3]
	s_cselect_b32 s38, -1, 0
	s_bfe_u32 s0, ttmp6, 0x40010
	s_and_b32 s1, ttmp7, 0xffff
	s_add_co_i32 s0, s0, 1
	s_bfe_u32 s2, ttmp6, 0x40004
	s_mul_i32 s0, s1, s0
	s_lshl_b64 s[36:37], s[6:7], 3
	s_lshl_b64 s[42:43], s[14:15], 3
	s_add_co_i32 s2, s2, s0
	s_cmp_eq_u32 s34, 0
	s_mov_b32 s7, s3
	s_cselect_b32 s0, s1, s2
	s_add_nc_u64 s[2:3], s[12:13], s[42:43]
	v_mad_u32 v0, s0, s25, v22
	v_cmp_le_i64_e64 s39, s[20:21], v[2:3]
	v_cmp_gt_i64_e64 s1, s[20:21], v[2:3]
	s_lshl_b32 s6, s25, 3
	v_cmp_gt_i64_e64 s40, s[20:21], 0
	s_add_co_i32 s6, s6, 0
	v_cmp_lt_i64_e64 s42, s[20:21], 2
	v_cmp_eq_u32_e64 s0, 0, v2
	v_dual_add_nc_u32 v25, s6, v10 :: v_dual_bitop2_b32 v6, 4, v10 bitop3:0x54
	s_add_nc_u64 s[16:17], s[20:21], -1
	v_cmp_gt_i64_e32 vcc_lo, s[22:23], v[0:1]
	s_mov_b32 s14, s29
	s_add_nc_u64 s[4:5], s[4:5], s[36:37]
	s_mov_b32 s15, s28
	s_lshl_b64 s[12:13], s[16:17], 3
	v_lshl_add_u64 v[8:9], v[8:9], 3, s[2:3]
	s_xor_b32 s43, s39, -1
	s_and_b32 s41, vcc_lo, s1
	s_delay_alu instid0(VALU_DEP_1)
	v_lshl_add_u64 v[8:9], v[0:1], 3, v[8:9]
	v_lshlrev_b32_e32 v0, 3, v2
	s_branch .LBB191_5
.LBB191_2:                              ;   in Loop: Header=BB191_5 Depth=1
	s_wait_loadcnt_dscnt 0x0
	s_wait_xcnt 0x0
	s_delay_alu instid0(VALU_DEP_1) | instskip(NEXT) | instid1(VALU_DEP_1)
	v_pk_mul_f32 v[14:15], v[12:13], v[16:17] op_sel:[1,1] op_sel_hi:[1,0]
	v_pk_fma_f32 v[18:19], v[12:13], v[16:17], v[14:15] op_sel_hi:[0,1,1]
	v_pk_fma_f32 v[12:13], v[12:13], v[16:17], v[14:15] neg_lo:[0,0,1] neg_hi:[0,0,1]
	s_delay_alu instid0(VALU_DEP_2)
	v_mov_b32_e32 v13, v19
.LBB191_3:                              ;   in Loop: Header=BB191_5 Depth=1
	s_or_b32 exec_lo, exec_lo, s34
	global_store_b64 v[10:11], v[12:13], off
.LBB191_4:                              ;   in Loop: Header=BB191_5 Depth=1
	s_wait_xcnt 0x0
	s_or_b32 exec_lo, exec_lo, s44
	s_add_co_i32 s26, s26, 0x10000
	s_delay_alu instid0(SALU_CYCLE_1)
	s_cmp_lt_u32 s26, s24
	s_cbranch_scc0 .LBB191_52
.LBB191_5:                              ; =>This Loop Header: Depth=1
                                        ;     Child Loop BB191_10 Depth 2
                                        ;     Child Loop BB191_28 Depth 2
	v_cmp_ne_u32_e32 vcc_lo, 1, v23
	s_mul_u64 s[2:3], s[10:11], s[26:27]
	s_delay_alu instid0(SALU_CYCLE_1) | instskip(NEXT) | instid1(SALU_CYCLE_1)
	s_lshl_b64 s[2:3], s[2:3], 3
	s_add_nc_u64 s[2:3], s[4:5], s[2:3]
	s_cbranch_vccnz .LBB191_20
; %bb.6:                                ;   in Loop: Header=BB191_5 Depth=1
	s_and_not1_b32 vcc_lo, exec_lo, s40
	s_cbranch_vccnz .LBB191_21
; %bb.7:                                ;   in Loop: Header=BB191_5 Depth=1
	v_add_nc_u64_e32 v[10:11], s[2:3], v[0:1]
	v_mov_b32_e32 v14, v22
	s_mov_b32 s22, s25
	s_delay_alu instid0(VALU_DEP_2)
	v_lshl_add_u64 v[12:13], v[4:5], 3, v[10:11]
	s_branch .LBB191_10
.LBB191_8:                              ;   in Loop: Header=BB191_10 Depth=2
	s_or_b32 exec_lo, exec_lo, s3
	s_load_b32 s3, s[30:31], 0xc
	s_wait_kmcnt 0x0
	s_and_b32 s3, s3, 0xffff
	s_delay_alu instid0(SALU_CYCLE_1) | instskip(NEXT) | instid1(VALU_DEP_1)
	v_mul_u32_u24_e32 v15, s3, v2
	v_lshl_add_u32 v15, v15, 3, v25
	ds_store_b64 v15, v[18:19]
.LBB191_9:                              ;   in Loop: Header=BB191_10 Depth=2
	s_or_b32 exec_lo, exec_lo, s2
	s_ashr_i32 s23, s22, 31
	v_add_nc_u32_e32 v14, s25, v14
	v_cmp_le_i64_e64 s2, s[20:21], s[22:23]
	s_add_co_i32 s22, s22, s25
	s_and_b32 vcc_lo, exec_lo, s2
	s_cbranch_vccnz .LBB191_21
.LBB191_10:                             ;   Parent Loop BB191_5 Depth=1
                                        ; =>  This Inner Loop Header: Depth=2
	s_mov_b32 s23, s39
	s_and_saveexec_b32 s3, s1
	s_cbranch_execz .LBB191_14
; %bb.11:                               ;   in Loop: Header=BB191_10 Depth=2
	v_ashrrev_i32_e32 v15, 31, v14
	v_cmp_lt_i32_e64 s2, v2, v14
	s_mov_b32 s23, -1
	v_cmp_gt_i64_e32 vcc_lo, s[20:21], v[14:15]
	s_and_b32 s34, s2, vcc_lo
	s_delay_alu instid0(SALU_CYCLE_1)
	s_and_saveexec_b32 s2, s34
	s_cbranch_execz .LBB191_13
; %bb.12:                               ;   in Loop: Header=BB191_10 Depth=2
	v_mul_u64_e32 v[16:17], s[8:9], v[14:15]
	s_load_b32 s23, s[30:31], 0xc
	s_wait_kmcnt 0x0
	s_and_b32 s23, s23, 0xffff
	s_delay_alu instid0(SALU_CYCLE_1) | instskip(SKIP_1) | instid1(VALU_DEP_2)
	v_mul_lo_u32 v15, v14, s23
	s_xor_b32 s23, exec_lo, -1
	v_lshl_add_u64 v[16:17], v[16:17], 3, v[10:11]
	s_delay_alu instid0(VALU_DEP_2)
	v_lshl_add_u32 v15, v15, 3, v25
	global_load_b64 v[16:17], v[16:17], off
	s_wait_loadcnt 0x0
	ds_store_b64 v15, v[16:17]
.LBB191_13:                             ;   in Loop: Header=BB191_10 Depth=2
	s_wait_xcnt 0x0
	s_or_b32 exec_lo, exec_lo, s2
	s_delay_alu instid0(SALU_CYCLE_1) | instskip(SKIP_1) | instid1(SALU_CYCLE_1)
	s_and_not1_b32 s2, s39, exec_lo
	s_and_b32 s23, s23, exec_lo
	s_or_b32 s23, s2, s23
.LBB191_14:                             ;   in Loop: Header=BB191_10 Depth=2
	s_or_b32 exec_lo, exec_lo, s3
	s_and_saveexec_b32 s2, s23
	s_cbranch_execz .LBB191_9
; %bb.15:                               ;   in Loop: Header=BB191_10 Depth=2
	v_cmp_eq_u32_e32 vcc_lo, v2, v14
	s_and_b32 s3, s43, vcc_lo
	s_delay_alu instid0(SALU_CYCLE_1)
	s_and_b32 exec_lo, exec_lo, s3
	s_cbranch_execz .LBB191_9
; %bb.16:                               ;   in Loop: Header=BB191_10 Depth=2
	global_load_b64 v[16:17], v[12:13], off
                                        ; implicit-def: $vgpr18_vgpr19
	s_wait_loadcnt 0x0
	v_cmp_ngt_f32_e64 s3, |v16|, |v17|
	s_wait_xcnt 0x0
	s_and_saveexec_b32 s23, s3
	s_delay_alu instid0(SALU_CYCLE_1)
	s_xor_b32 s3, exec_lo, s23
	s_cbranch_execz .LBB191_18
; %bb.17:                               ;   in Loop: Header=BB191_10 Depth=2
	v_div_scale_f32 v15, null, v17, v17, v16
	v_div_scale_f32 v20, vcc_lo, v16, v17, v16
	s_delay_alu instid0(VALU_DEP_2) | instskip(SKIP_1) | instid1(TRANS32_DEP_1)
	v_rcp_f32_e32 v18, v15
	v_nop
	v_fma_f32 v19, -v15, v18, 1.0
	s_delay_alu instid0(VALU_DEP_1) | instskip(NEXT) | instid1(VALU_DEP_1)
	v_fmac_f32_e32 v18, v19, v18
	v_mul_f32_e32 v19, v20, v18
	s_delay_alu instid0(VALU_DEP_1) | instskip(NEXT) | instid1(VALU_DEP_1)
	v_fma_f32 v21, -v15, v19, v20
	v_fmac_f32_e32 v19, v21, v18
	s_delay_alu instid0(VALU_DEP_1) | instskip(NEXT) | instid1(VALU_DEP_1)
	v_fma_f32 v15, -v15, v19, v20
	v_div_fmas_f32 v15, v15, v18, v19
	s_delay_alu instid0(VALU_DEP_1) | instskip(NEXT) | instid1(VALU_DEP_1)
	v_div_fixup_f32 v15, v15, v17, v16
	v_fmac_f32_e32 v17, v16, v15
	s_delay_alu instid0(VALU_DEP_1) | instskip(SKIP_1) | instid1(VALU_DEP_2)
	v_div_scale_f32 v16, null, v17, v17, 1.0
	v_div_scale_f32 v20, vcc_lo, 1.0, v17, 1.0
	v_rcp_f32_e32 v18, v16
	v_nop
	s_delay_alu instid0(TRANS32_DEP_1) | instskip(NEXT) | instid1(VALU_DEP_1)
	v_fma_f32 v19, -v16, v18, 1.0
	v_fmac_f32_e32 v18, v19, v18
	s_delay_alu instid0(VALU_DEP_1) | instskip(NEXT) | instid1(VALU_DEP_1)
	v_mul_f32_e32 v19, v20, v18
	v_fma_f32 v21, -v16, v19, v20
	s_delay_alu instid0(VALU_DEP_1) | instskip(NEXT) | instid1(VALU_DEP_1)
	v_fmac_f32_e32 v19, v21, v18
	v_fma_f32 v16, -v16, v19, v20
	s_delay_alu instid0(VALU_DEP_1) | instskip(NEXT) | instid1(VALU_DEP_1)
	v_div_fmas_f32 v16, v16, v18, v19
	v_div_fixup_f32 v16, v16, v17, 1.0
	s_delay_alu instid0(VALU_DEP_1)
	v_mul_f32_e32 v18, v15, v16
	v_xor_b32_e32 v19, 0x80000000, v16
                                        ; implicit-def: $vgpr16_vgpr17
.LBB191_18:                             ;   in Loop: Header=BB191_10 Depth=2
	s_and_not1_saveexec_b32 s3, s3
	s_cbranch_execz .LBB191_8
; %bb.19:                               ;   in Loop: Header=BB191_10 Depth=2
	v_div_scale_f32 v15, null, v16, v16, v17
	v_div_scale_f32 v20, vcc_lo, v17, v16, v17
	s_delay_alu instid0(VALU_DEP_2) | instskip(SKIP_1) | instid1(TRANS32_DEP_1)
	v_rcp_f32_e32 v18, v15
	v_nop
	v_fma_f32 v19, -v15, v18, 1.0
	s_delay_alu instid0(VALU_DEP_1) | instskip(NEXT) | instid1(VALU_DEP_1)
	v_fmac_f32_e32 v18, v19, v18
	v_mul_f32_e32 v19, v20, v18
	s_delay_alu instid0(VALU_DEP_1) | instskip(NEXT) | instid1(VALU_DEP_1)
	v_fma_f32 v21, -v15, v19, v20
	v_fmac_f32_e32 v19, v21, v18
	s_delay_alu instid0(VALU_DEP_1) | instskip(NEXT) | instid1(VALU_DEP_1)
	v_fma_f32 v15, -v15, v19, v20
	v_div_fmas_f32 v15, v15, v18, v19
	s_delay_alu instid0(VALU_DEP_1) | instskip(NEXT) | instid1(VALU_DEP_1)
	v_div_fixup_f32 v15, v15, v16, v17
	v_fmac_f32_e32 v16, v17, v15
	s_delay_alu instid0(VALU_DEP_1) | instskip(NEXT) | instid1(VALU_DEP_1)
	v_div_scale_f32 v17, null, v16, v16, 1.0
	v_rcp_f32_e32 v18, v17
	v_nop
	s_delay_alu instid0(TRANS32_DEP_1) | instskip(NEXT) | instid1(VALU_DEP_1)
	v_fma_f32 v19, -v17, v18, 1.0
	v_fmac_f32_e32 v18, v19, v18
	v_div_scale_f32 v19, vcc_lo, 1.0, v16, 1.0
	s_delay_alu instid0(VALU_DEP_1) | instskip(NEXT) | instid1(VALU_DEP_1)
	v_mul_f32_e32 v20, v19, v18
	v_fma_f32 v21, -v17, v20, v19
	s_delay_alu instid0(VALU_DEP_1) | instskip(NEXT) | instid1(VALU_DEP_1)
	v_fmac_f32_e32 v20, v21, v18
	v_fma_f32 v17, -v17, v20, v19
	s_delay_alu instid0(VALU_DEP_1) | instskip(NEXT) | instid1(VALU_DEP_1)
	v_div_fmas_f32 v17, v17, v18, v20
	v_div_fixup_f32 v18, v17, v16, 1.0
	s_delay_alu instid0(VALU_DEP_1)
	v_mul_f32_e64 v19, v15, -v18
	s_branch .LBB191_8
.LBB191_20:                             ;   in Loop: Header=BB191_5 Depth=1
	s_mov_b64 s[22:23], s[8:9]
	s_and_saveexec_b32 s44, s41
	s_cbranch_execz .LBB191_4
	s_branch .LBB191_22
.LBB191_21:                             ;   in Loop: Header=BB191_5 Depth=1
	s_load_b32 s2, s[30:31], 0xc
	s_mov_b32 s23, s27
	s_wait_kmcnt 0x0
	s_and_b32 s22, s2, 0xffff
	s_mov_b64 s[2:3], s[6:7]
	s_and_saveexec_b32 s44, s41
	s_cbranch_execz .LBB191_4
.LBB191_22:                             ;   in Loop: Header=BB191_5 Depth=1
	s_mul_u64 s[34:35], s[18:19], s[26:27]
	v_mov_b64_e32 v[14:15], s[14:15]
	v_lshl_add_u64 v[10:11], s[34:35], 3, v[8:9]
	v_mov_b64_e32 v[16:17], s[28:29]
	s_and_not1_b32 vcc_lo, exec_lo, s42
	s_mov_b32 s34, -1
	global_load_b64 v[12:13], v[10:11], off
	s_wait_loadcnt 0x0
	v_pk_mul_f32 v[14:15], v[14:15], v[12:13] op_sel:[0,1]
	v_pk_mul_f32 v[20:21], v[16:17], v[12:13] op_sel_hi:[1,0]
	s_delay_alu instid0(VALU_DEP_2) | instskip(NEXT) | instid1(VALU_DEP_2)
	v_pk_fma_f32 v[18:19], v[16:17], v[12:13], v[14:15] op_sel_hi:[1,0,1]
	v_sub_f32_e32 v18, v20, v14
                                        ; implicit-def: $vgpr12_vgpr13
	s_cbranch_vccnz .LBB191_24
; %bb.23:                               ;   in Loop: Header=BB191_5 Depth=1
	s_delay_alu instid0(VALU_DEP_1)
	v_mov_b64_e32 v[12:13], v[18:19]
	s_mov_b32 s34, 0
.LBB191_24:                             ;   in Loop: Header=BB191_5 Depth=1
	s_delay_alu instid0(SALU_CYCLE_1)
	s_and_not1_b32 vcc_lo, exec_lo, s34
	s_cbranch_vccnz .LBB191_43
; %bb.25:                               ;   in Loop: Header=BB191_5 Depth=1
	v_mad_nc_u64_u32 v[12:13], v2, s22, v[2:3]
	v_add_nc_u64_e32 v[14:15], s[2:3], v[6:7]
	s_mul_i32 s34, s13, s22
	s_mul_i32 s35, s12, s23
	s_mov_b64 s[36:37], s[16:17]
	s_delay_alu instid0(VALU_DEP_1) | instskip(NEXT) | instid1(VALU_DEP_3)
	v_mad_nc_u64_u32 v[14:15], s12, s22, v[14:15]
	v_mad_u32 v13, v2, s23, v13
	s_delay_alu instid0(VALU_DEP_2) | instskip(SKIP_1) | instid1(SALU_CYCLE_1)
	v_add3_u32 v15, s35, s34, v15
	s_lshl_b64 s[34:35], s[22:23], 3
	s_sub_nc_u64 s[34:35], 0, s[34:35]
	s_delay_alu instid0(VALU_DEP_2)
	v_lshl_add_u64 v[16:17], v[12:13], 3, s[2:3]
	s_branch .LBB191_28
.LBB191_26:                             ;   in Loop: Header=BB191_28 Depth=2
	ds_load_b64 v[26:27], v24
	s_wait_dscnt 0x0
	v_pk_mul_f32 v[20:21], v[20:21], v[26:27] op_sel:[0,1] op_sel_hi:[0,0]
	s_delay_alu instid0(VALU_DEP_1) | instskip(SKIP_1) | instid1(VALU_DEP_2)
	v_pk_fma_f32 v[28:29], v[26:27], v[18:19], v[20:21] op_sel_hi:[1,0,1]
	v_pk_fma_f32 v[18:19], v[26:27], v[18:19], v[20:21] neg_lo:[0,0,1] neg_hi:[0,0,1]
	v_mov_b32_e32 v19, v29
	s_delay_alu instid0(VALU_DEP_1) | instskip(NEXT) | instid1(VALU_DEP_1)
	v_pk_add_f32 v[18:19], v[12:13], v[18:19] neg_lo:[0,1] neg_hi:[0,1]
	v_mov_b64_e32 v[12:13], v[18:19]
.LBB191_27:                             ;   in Loop: Header=BB191_28 Depth=2
	s_wait_xcnt 0x0
	s_or_b32 exec_lo, exec_lo, s45
	s_add_nc_u64 s[46:47], s[36:37], 1
	v_add_nc_u64_e32 v[14:15], s[34:35], v[14:15]
	v_cmp_lt_u64_e64 s45, s[46:47], 3
	s_add_nc_u64 s[36:37], s[36:37], -1
	s_and_b32 vcc_lo, exec_lo, s45
	s_cbranch_vccnz .LBB191_43
.LBB191_28:                             ;   Parent Loop BB191_5 Depth=1
                                        ; =>  This Inner Loop Header: Depth=2
	v_mov_b64_e32 v[12:13], v[18:19]
	s_mov_b32 s45, exec_lo
	s_wait_dscnt 0x0
	s_barrier_signal -1
	s_barrier_wait -1
	s_wait_xcnt 0x0
	v_cmpx_eq_u64_e64 s[36:37], v[2:3]
	s_cbranch_execz .LBB191_38
; %bb.29:                               ;   in Loop: Header=BB191_28 Depth=2
	flat_load_b64 v[12:13], v[16:17]
	s_and_b32 vcc_lo, exec_lo, s33
	s_mov_b32 s46, -1
                                        ; implicit-def: $vgpr20_vgpr21
	s_cbranch_vccz .LBB191_35
; %bb.30:                               ;   in Loop: Header=BB191_28 Depth=2
	s_wait_loadcnt_dscnt 0x0
	v_cmp_ngt_f32_e64 s46, |v12|, |v13|
                                        ; implicit-def: $vgpr20_vgpr21
	s_wait_xcnt 0x0
	s_and_saveexec_b32 s47, s46
	s_delay_alu instid0(SALU_CYCLE_1)
	s_xor_b32 s46, exec_lo, s47
	s_cbranch_execz .LBB191_32
; %bb.31:                               ;   in Loop: Header=BB191_28 Depth=2
	v_div_scale_f32 v20, null, v13, v13, v12
	v_div_scale_f32 v27, vcc_lo, v12, v13, v12
	s_delay_alu instid0(VALU_DEP_2) | instskip(SKIP_1) | instid1(TRANS32_DEP_1)
	v_rcp_f32_e32 v21, v20
	v_nop
	v_fma_f32 v26, -v20, v21, 1.0
	s_delay_alu instid0(VALU_DEP_1) | instskip(NEXT) | instid1(VALU_DEP_1)
	v_fmac_f32_e32 v21, v26, v21
	v_mul_f32_e32 v26, v27, v21
	s_delay_alu instid0(VALU_DEP_1) | instskip(NEXT) | instid1(VALU_DEP_1)
	v_fma_f32 v28, -v20, v26, v27
	v_fmac_f32_e32 v26, v28, v21
	s_delay_alu instid0(VALU_DEP_1) | instskip(NEXT) | instid1(VALU_DEP_1)
	v_fma_f32 v20, -v20, v26, v27
	v_div_fmas_f32 v20, v20, v21, v26
	s_delay_alu instid0(VALU_DEP_1) | instskip(NEXT) | instid1(VALU_DEP_1)
	v_div_fixup_f32 v20, v20, v13, v12
	v_fma_f32 v21, v12, v20, v13
	s_delay_alu instid0(VALU_DEP_1) | instskip(SKIP_1) | instid1(VALU_DEP_2)
	v_div_scale_f32 v26, null, v21, v21, 1.0
	v_div_scale_f32 v29, vcc_lo, 1.0, v21, 1.0
	v_rcp_f32_e32 v27, v26
	v_nop
	s_delay_alu instid0(TRANS32_DEP_1) | instskip(NEXT) | instid1(VALU_DEP_1)
	v_fma_f32 v28, -v26, v27, 1.0
	v_fmac_f32_e32 v27, v28, v27
	s_delay_alu instid0(VALU_DEP_1) | instskip(NEXT) | instid1(VALU_DEP_1)
	v_mul_f32_e32 v28, v29, v27
	v_fma_f32 v30, -v26, v28, v29
	s_delay_alu instid0(VALU_DEP_1) | instskip(NEXT) | instid1(VALU_DEP_1)
	v_fmac_f32_e32 v28, v30, v27
	v_fma_f32 v26, -v26, v28, v29
	s_delay_alu instid0(VALU_DEP_1) | instskip(NEXT) | instid1(VALU_DEP_1)
	v_div_fmas_f32 v26, v26, v27, v28
	v_div_fixup_f32 v21, v26, v21, 1.0
	s_delay_alu instid0(VALU_DEP_1)
	v_mul_f32_e32 v20, v20, v21
	v_xor_b32_e32 v21, 0x80000000, v21
.LBB191_32:                             ;   in Loop: Header=BB191_28 Depth=2
	s_and_not1_saveexec_b32 s46, s46
	s_cbranch_execz .LBB191_34
; %bb.33:                               ;   in Loop: Header=BB191_28 Depth=2
	v_div_scale_f32 v20, null, v12, v12, v13
	v_div_scale_f32 v27, vcc_lo, v13, v12, v13
	s_delay_alu instid0(VALU_DEP_2) | instskip(SKIP_1) | instid1(TRANS32_DEP_1)
	v_rcp_f32_e32 v21, v20
	v_nop
	v_fma_f32 v26, -v20, v21, 1.0
	s_delay_alu instid0(VALU_DEP_1) | instskip(NEXT) | instid1(VALU_DEP_1)
	v_fmac_f32_e32 v21, v26, v21
	v_mul_f32_e32 v26, v27, v21
	s_delay_alu instid0(VALU_DEP_1) | instskip(NEXT) | instid1(VALU_DEP_1)
	v_fma_f32 v28, -v20, v26, v27
	v_fmac_f32_e32 v26, v28, v21
	s_delay_alu instid0(VALU_DEP_1) | instskip(NEXT) | instid1(VALU_DEP_1)
	v_fma_f32 v20, -v20, v26, v27
	v_div_fmas_f32 v20, v20, v21, v26
	s_delay_alu instid0(VALU_DEP_1) | instskip(NEXT) | instid1(VALU_DEP_1)
	v_div_fixup_f32 v21, v20, v12, v13
	v_fma_f32 v20, v13, v21, v12
	s_delay_alu instid0(VALU_DEP_1) | instskip(NEXT) | instid1(VALU_DEP_1)
	v_div_scale_f32 v26, null, v20, v20, 1.0
	v_rcp_f32_e32 v27, v26
	v_nop
	s_delay_alu instid0(TRANS32_DEP_1) | instskip(NEXT) | instid1(VALU_DEP_1)
	v_fma_f32 v28, -v26, v27, 1.0
	v_fmac_f32_e32 v27, v28, v27
	v_div_scale_f32 v28, vcc_lo, 1.0, v20, 1.0
	s_delay_alu instid0(VALU_DEP_1) | instskip(NEXT) | instid1(VALU_DEP_1)
	v_mul_f32_e32 v29, v28, v27
	v_fma_f32 v30, -v26, v29, v28
	s_delay_alu instid0(VALU_DEP_1) | instskip(NEXT) | instid1(VALU_DEP_1)
	v_fmac_f32_e32 v29, v30, v27
	v_fma_f32 v26, -v26, v29, v28
	s_delay_alu instid0(VALU_DEP_1) | instskip(NEXT) | instid1(VALU_DEP_1)
	v_div_fmas_f32 v26, v26, v27, v29
	v_div_fixup_f32 v20, v26, v20, 1.0
	s_delay_alu instid0(VALU_DEP_1)
	v_mul_f32_e64 v21, v21, -v20
.LBB191_34:                             ;   in Loop: Header=BB191_28 Depth=2
	s_or_b32 exec_lo, exec_lo, s46
	s_mov_b32 s46, 0
.LBB191_35:                             ;   in Loop: Header=BB191_28 Depth=2
	s_delay_alu instid0(SALU_CYCLE_1)
	s_and_not1_b32 vcc_lo, exec_lo, s46
	s_cbranch_vccnz .LBB191_37
; %bb.36:                               ;   in Loop: Header=BB191_28 Depth=2
	s_wait_loadcnt_dscnt 0x0
	v_mov_b64_e32 v[20:21], v[12:13]
.LBB191_37:                             ;   in Loop: Header=BB191_28 Depth=2
	s_delay_alu instid0(VALU_DEP_1) | instskip(SKIP_1) | instid1(VALU_DEP_1)
	v_pk_mul_f32 v[26:27], v[18:19], v[20:21] op_sel:[1,1] op_sel_hi:[0,1]
	s_wait_loadcnt_dscnt 0x0
	v_pk_fma_f32 v[12:13], v[18:19], v[20:21], v[26:27] op_sel_hi:[1,0,1] neg_lo:[0,0,1] neg_hi:[0,0,1]
	v_pk_fma_f32 v[18:19], v[18:19], v[20:21], v[26:27] op_sel_hi:[1,0,1]
	s_delay_alu instid0(VALU_DEP_1)
	v_dual_mov_b32 v18, v12 :: v_dual_mov_b32 v13, v19
	ds_store_b64 v24, v[12:13]
.LBB191_38:                             ;   in Loop: Header=BB191_28 Depth=2
	s_wait_xcnt 0x0
	s_or_b32 exec_lo, exec_lo, s45
	s_delay_alu instid0(SALU_CYCLE_1)
	s_mov_b32 s45, exec_lo
	s_wait_dscnt 0x0
	s_barrier_signal -1
	s_barrier_wait -1
	v_cmpx_gt_i64_e64 s[36:37], v[2:3]
	s_cbranch_execz .LBB191_27
; %bb.39:                               ;   in Loop: Header=BB191_28 Depth=2
	s_and_b32 vcc_lo, exec_lo, s38
	s_mov_b32 s46, -1
                                        ; implicit-def: $vgpr18
                                        ; implicit-def: $vgpr20
	s_cbranch_vccz .LBB191_41
; %bb.40:                               ;   in Loop: Header=BB191_28 Depth=2
	flat_load_b64 v[18:19], v[14:15] offset:-4
	s_mov_b32 s46, 0
	s_wait_loadcnt_dscnt 0x0
	v_mov_b32_e32 v20, v19
.LBB191_41:                             ;   in Loop: Header=BB191_28 Depth=2
	s_and_not1_b32 vcc_lo, exec_lo, s46
	s_cbranch_vccnz .LBB191_26
; %bb.42:                               ;   in Loop: Header=BB191_28 Depth=2
	flat_load_b64 v[18:19], v[14:15] offset:-4
	s_wait_loadcnt_dscnt 0x0
	v_xor_b32_e32 v20, 0x80000000, v19
	s_branch .LBB191_26
.LBB191_43:                             ;   in Loop: Header=BB191_5 Depth=1
	s_wait_xcnt 0x0
	s_and_saveexec_b32 s34, s0
	s_cbranch_execz .LBB191_3
; %bb.44:                               ;   in Loop: Header=BB191_5 Depth=1
	v_mad_nc_u64_u32 v[14:15], v2, s22, v[2:3]
	s_and_b32 vcc_lo, exec_lo, s33
                                        ; implicit-def: $vgpr16_vgpr17
	s_delay_alu instid0(VALU_DEP_1) | instskip(NEXT) | instid1(VALU_DEP_1)
	v_mad_u32 v15, v2, s23, v15
	v_lshl_add_u64 v[14:15], v[14:15], 3, s[2:3]
	s_mov_b32 s2, -1
	flat_load_b64 v[14:15], v[14:15]
	s_cbranch_vccz .LBB191_50
; %bb.45:                               ;   in Loop: Header=BB191_5 Depth=1
	s_wait_loadcnt_dscnt 0x0
	v_cmp_ngt_f32_e64 s2, |v14|, |v15|
                                        ; implicit-def: $vgpr16_vgpr17
	s_wait_xcnt 0x0
	s_and_saveexec_b32 s3, s2
	s_delay_alu instid0(SALU_CYCLE_1)
	s_xor_b32 s2, exec_lo, s3
	s_cbranch_execz .LBB191_47
; %bb.46:                               ;   in Loop: Header=BB191_5 Depth=1
	v_div_scale_f32 v16, null, v15, v15, v14
	v_div_scale_f32 v19, vcc_lo, v14, v15, v14
	s_delay_alu instid0(VALU_DEP_2) | instskip(SKIP_1) | instid1(TRANS32_DEP_1)
	v_rcp_f32_e32 v17, v16
	v_nop
	v_fma_f32 v18, -v16, v17, 1.0
	s_delay_alu instid0(VALU_DEP_1) | instskip(NEXT) | instid1(VALU_DEP_1)
	v_fmac_f32_e32 v17, v18, v17
	v_mul_f32_e32 v18, v19, v17
	s_delay_alu instid0(VALU_DEP_1) | instskip(NEXT) | instid1(VALU_DEP_1)
	v_fma_f32 v20, -v16, v18, v19
	v_fmac_f32_e32 v18, v20, v17
	s_delay_alu instid0(VALU_DEP_1) | instskip(NEXT) | instid1(VALU_DEP_1)
	v_fma_f32 v16, -v16, v18, v19
	v_div_fmas_f32 v16, v16, v17, v18
	s_delay_alu instid0(VALU_DEP_1) | instskip(NEXT) | instid1(VALU_DEP_1)
	v_div_fixup_f32 v16, v16, v15, v14
	v_fma_f32 v17, v14, v16, v15
	s_delay_alu instid0(VALU_DEP_1) | instskip(SKIP_1) | instid1(VALU_DEP_2)
	v_div_scale_f32 v18, null, v17, v17, 1.0
	v_div_scale_f32 v21, vcc_lo, 1.0, v17, 1.0
	v_rcp_f32_e32 v19, v18
	v_nop
	s_delay_alu instid0(TRANS32_DEP_1) | instskip(NEXT) | instid1(VALU_DEP_1)
	v_fma_f32 v20, -v18, v19, 1.0
	v_fmac_f32_e32 v19, v20, v19
	s_delay_alu instid0(VALU_DEP_1) | instskip(NEXT) | instid1(VALU_DEP_1)
	v_mul_f32_e32 v20, v21, v19
	v_fma_f32 v26, -v18, v20, v21
	s_delay_alu instid0(VALU_DEP_1) | instskip(NEXT) | instid1(VALU_DEP_1)
	v_fmac_f32_e32 v20, v26, v19
	v_fma_f32 v18, -v18, v20, v21
	s_delay_alu instid0(VALU_DEP_1) | instskip(NEXT) | instid1(VALU_DEP_1)
	v_div_fmas_f32 v18, v18, v19, v20
	v_div_fixup_f32 v17, v18, v17, 1.0
	s_delay_alu instid0(VALU_DEP_1)
	v_mul_f32_e32 v16, v16, v17
	v_xor_b32_e32 v17, 0x80000000, v17
.LBB191_47:                             ;   in Loop: Header=BB191_5 Depth=1
	s_and_not1_saveexec_b32 s2, s2
	s_cbranch_execz .LBB191_49
; %bb.48:                               ;   in Loop: Header=BB191_5 Depth=1
	v_div_scale_f32 v16, null, v14, v14, v15
	v_div_scale_f32 v19, vcc_lo, v15, v14, v15
	s_delay_alu instid0(VALU_DEP_2) | instskip(SKIP_1) | instid1(TRANS32_DEP_1)
	v_rcp_f32_e32 v17, v16
	v_nop
	v_fma_f32 v18, -v16, v17, 1.0
	s_delay_alu instid0(VALU_DEP_1) | instskip(NEXT) | instid1(VALU_DEP_1)
	v_fmac_f32_e32 v17, v18, v17
	v_mul_f32_e32 v18, v19, v17
	s_delay_alu instid0(VALU_DEP_1) | instskip(NEXT) | instid1(VALU_DEP_1)
	v_fma_f32 v20, -v16, v18, v19
	v_fmac_f32_e32 v18, v20, v17
	s_delay_alu instid0(VALU_DEP_1) | instskip(NEXT) | instid1(VALU_DEP_1)
	v_fma_f32 v16, -v16, v18, v19
	v_div_fmas_f32 v16, v16, v17, v18
	s_delay_alu instid0(VALU_DEP_1) | instskip(NEXT) | instid1(VALU_DEP_1)
	v_div_fixup_f32 v17, v16, v14, v15
	v_fma_f32 v16, v15, v17, v14
	s_delay_alu instid0(VALU_DEP_1) | instskip(NEXT) | instid1(VALU_DEP_1)
	v_div_scale_f32 v18, null, v16, v16, 1.0
	v_rcp_f32_e32 v19, v18
	v_nop
	s_delay_alu instid0(TRANS32_DEP_1) | instskip(NEXT) | instid1(VALU_DEP_1)
	v_fma_f32 v20, -v18, v19, 1.0
	v_fmac_f32_e32 v19, v20, v19
	v_div_scale_f32 v20, vcc_lo, 1.0, v16, 1.0
	s_delay_alu instid0(VALU_DEP_1) | instskip(NEXT) | instid1(VALU_DEP_1)
	v_mul_f32_e32 v21, v20, v19
	v_fma_f32 v26, -v18, v21, v20
	s_delay_alu instid0(VALU_DEP_1) | instskip(NEXT) | instid1(VALU_DEP_1)
	v_fmac_f32_e32 v21, v26, v19
	v_fma_f32 v18, -v18, v21, v20
	s_delay_alu instid0(VALU_DEP_1) | instskip(NEXT) | instid1(VALU_DEP_1)
	v_div_fmas_f32 v18, v18, v19, v21
	v_div_fixup_f32 v16, v18, v16, 1.0
	s_delay_alu instid0(VALU_DEP_1)
	v_mul_f32_e64 v17, v17, -v16
.LBB191_49:                             ;   in Loop: Header=BB191_5 Depth=1
	s_or_b32 exec_lo, exec_lo, s2
	s_mov_b32 s2, 0
.LBB191_50:                             ;   in Loop: Header=BB191_5 Depth=1
	s_delay_alu instid0(SALU_CYCLE_1)
	s_and_not1_b32 vcc_lo, exec_lo, s2
	s_cbranch_vccnz .LBB191_2
; %bb.51:                               ;   in Loop: Header=BB191_5 Depth=1
	s_wait_loadcnt_dscnt 0x0
	v_mov_b64_e32 v[16:17], v[14:15]
	s_branch .LBB191_2
.LBB191_52:
	s_endpgm
	.section	.rodata,"a",@progbits
	.p2align	6, 0x0
	.amdhsa_kernel _ZL40rocblas_trsm_block_backward_substitutionI19rocblas_complex_numIfES1_PKS1_PS1_Lb1ELb0ELb0EEv18rocblas_operation_llT0_T1_lllT2_lllib
		.amdhsa_group_segment_fixed_size 0
		.amdhsa_private_segment_fixed_size 0
		.amdhsa_kernarg_size 360
		.amdhsa_user_sgpr_count 2
		.amdhsa_user_sgpr_dispatch_ptr 0
		.amdhsa_user_sgpr_queue_ptr 0
		.amdhsa_user_sgpr_kernarg_segment_ptr 1
		.amdhsa_user_sgpr_dispatch_id 0
		.amdhsa_user_sgpr_kernarg_preload_length 0
		.amdhsa_user_sgpr_kernarg_preload_offset 0
		.amdhsa_user_sgpr_private_segment_size 0
		.amdhsa_wavefront_size32 1
		.amdhsa_uses_dynamic_stack 0
		.amdhsa_enable_private_segment 0
		.amdhsa_system_sgpr_workgroup_id_x 1
		.amdhsa_system_sgpr_workgroup_id_y 1
		.amdhsa_system_sgpr_workgroup_id_z 1
		.amdhsa_system_sgpr_workgroup_info 0
		.amdhsa_system_vgpr_workitem_id 1
		.amdhsa_next_free_vgpr 31
		.amdhsa_next_free_sgpr 48
		.amdhsa_named_barrier_count 0
		.amdhsa_reserve_vcc 1
		.amdhsa_float_round_mode_32 0
		.amdhsa_float_round_mode_16_64 0
		.amdhsa_float_denorm_mode_32 3
		.amdhsa_float_denorm_mode_16_64 3
		.amdhsa_fp16_overflow 0
		.amdhsa_memory_ordered 1
		.amdhsa_forward_progress 1
		.amdhsa_inst_pref_size 23
		.amdhsa_round_robin_scheduling 0
		.amdhsa_exception_fp_ieee_invalid_op 0
		.amdhsa_exception_fp_denorm_src 0
		.amdhsa_exception_fp_ieee_div_zero 0
		.amdhsa_exception_fp_ieee_overflow 0
		.amdhsa_exception_fp_ieee_underflow 0
		.amdhsa_exception_fp_ieee_inexact 0
		.amdhsa_exception_int_div_zero 0
	.end_amdhsa_kernel
	.section	.text._ZL40rocblas_trsm_block_backward_substitutionI19rocblas_complex_numIfES1_PKS1_PS1_Lb1ELb0ELb0EEv18rocblas_operation_llT0_T1_lllT2_lllib,"axG",@progbits,_ZL40rocblas_trsm_block_backward_substitutionI19rocblas_complex_numIfES1_PKS1_PS1_Lb1ELb0ELb0EEv18rocblas_operation_llT0_T1_lllT2_lllib,comdat
.Lfunc_end191:
	.size	_ZL40rocblas_trsm_block_backward_substitutionI19rocblas_complex_numIfES1_PKS1_PS1_Lb1ELb0ELb0EEv18rocblas_operation_llT0_T1_lllT2_lllib, .Lfunc_end191-_ZL40rocblas_trsm_block_backward_substitutionI19rocblas_complex_numIfES1_PKS1_PS1_Lb1ELb0ELb0EEv18rocblas_operation_llT0_T1_lllT2_lllib
                                        ; -- End function
	.set _ZL40rocblas_trsm_block_backward_substitutionI19rocblas_complex_numIfES1_PKS1_PS1_Lb1ELb0ELb0EEv18rocblas_operation_llT0_T1_lllT2_lllib.num_vgpr, 31
	.set _ZL40rocblas_trsm_block_backward_substitutionI19rocblas_complex_numIfES1_PKS1_PS1_Lb1ELb0ELb0EEv18rocblas_operation_llT0_T1_lllT2_lllib.num_agpr, 0
	.set _ZL40rocblas_trsm_block_backward_substitutionI19rocblas_complex_numIfES1_PKS1_PS1_Lb1ELb0ELb0EEv18rocblas_operation_llT0_T1_lllT2_lllib.numbered_sgpr, 48
	.set _ZL40rocblas_trsm_block_backward_substitutionI19rocblas_complex_numIfES1_PKS1_PS1_Lb1ELb0ELb0EEv18rocblas_operation_llT0_T1_lllT2_lllib.num_named_barrier, 0
	.set _ZL40rocblas_trsm_block_backward_substitutionI19rocblas_complex_numIfES1_PKS1_PS1_Lb1ELb0ELb0EEv18rocblas_operation_llT0_T1_lllT2_lllib.private_seg_size, 0
	.set _ZL40rocblas_trsm_block_backward_substitutionI19rocblas_complex_numIfES1_PKS1_PS1_Lb1ELb0ELb0EEv18rocblas_operation_llT0_T1_lllT2_lllib.uses_vcc, 1
	.set _ZL40rocblas_trsm_block_backward_substitutionI19rocblas_complex_numIfES1_PKS1_PS1_Lb1ELb0ELb0EEv18rocblas_operation_llT0_T1_lllT2_lllib.uses_flat_scratch, 0
	.set _ZL40rocblas_trsm_block_backward_substitutionI19rocblas_complex_numIfES1_PKS1_PS1_Lb1ELb0ELb0EEv18rocblas_operation_llT0_T1_lllT2_lllib.has_dyn_sized_stack, 0
	.set _ZL40rocblas_trsm_block_backward_substitutionI19rocblas_complex_numIfES1_PKS1_PS1_Lb1ELb0ELb0EEv18rocblas_operation_llT0_T1_lllT2_lllib.has_recursion, 0
	.set _ZL40rocblas_trsm_block_backward_substitutionI19rocblas_complex_numIfES1_PKS1_PS1_Lb1ELb0ELb0EEv18rocblas_operation_llT0_T1_lllT2_lllib.has_indirect_call, 0
	.section	.AMDGPU.csdata,"",@progbits
; Kernel info:
; codeLenInByte = 2920
; TotalNumSgprs: 50
; NumVgprs: 31
; ScratchSize: 0
; MemoryBound: 0
; FloatMode: 240
; IeeeMode: 1
; LDSByteSize: 0 bytes/workgroup (compile time only)
; SGPRBlocks: 0
; VGPRBlocks: 1
; NumSGPRsForWavesPerEU: 50
; NumVGPRsForWavesPerEU: 31
; NamedBarCnt: 0
; Occupancy: 16
; WaveLimiterHint : 0
; COMPUTE_PGM_RSRC2:SCRATCH_EN: 0
; COMPUTE_PGM_RSRC2:USER_SGPR: 2
; COMPUTE_PGM_RSRC2:TRAP_HANDLER: 0
; COMPUTE_PGM_RSRC2:TGID_X_EN: 1
; COMPUTE_PGM_RSRC2:TGID_Y_EN: 1
; COMPUTE_PGM_RSRC2:TGID_Z_EN: 1
; COMPUTE_PGM_RSRC2:TIDIG_COMP_CNT: 1
	.section	.text._ZL39rocblas_trsm_block_forward_substitutionI19rocblas_complex_numIfES1_PKS1_PS1_Lb1ELb0ELb1EEv18rocblas_operation_llT0_T1_lllT2_lllib,"axG",@progbits,_ZL39rocblas_trsm_block_forward_substitutionI19rocblas_complex_numIfES1_PKS1_PS1_Lb1ELb0ELb1EEv18rocblas_operation_llT0_T1_lllT2_lllib,comdat
	.globl	_ZL39rocblas_trsm_block_forward_substitutionI19rocblas_complex_numIfES1_PKS1_PS1_Lb1ELb0ELb1EEv18rocblas_operation_llT0_T1_lllT2_lllib ; -- Begin function _ZL39rocblas_trsm_block_forward_substitutionI19rocblas_complex_numIfES1_PKS1_PS1_Lb1ELb0ELb1EEv18rocblas_operation_llT0_T1_lllT2_lllib
	.p2align	8
	.type	_ZL39rocblas_trsm_block_forward_substitutionI19rocblas_complex_numIfES1_PKS1_PS1_Lb1ELb0ELb1EEv18rocblas_operation_llT0_T1_lllT2_lllib,@function
_ZL39rocblas_trsm_block_forward_substitutionI19rocblas_complex_numIfES1_PKS1_PS1_Lb1ELb0ELb1EEv18rocblas_operation_llT0_T1_lllT2_lllib: ; @_ZL39rocblas_trsm_block_forward_substitutionI19rocblas_complex_numIfES1_PKS1_PS1_Lb1ELb0ELb1EEv18rocblas_operation_llT0_T1_lllT2_lllib
; %bb.0:
	s_load_b64 s[2:3], s[0:1], 0x60
	s_bfe_u32 s4, ttmp6, 0x40014
	s_lshr_b32 s5, ttmp7, 16
	s_add_co_i32 s4, s4, 1
	s_bfe_u32 s6, ttmp6, 0x40008
	s_mul_i32 s4, s5, s4
	s_getreg_b32 s26, hwreg(HW_REG_IB_STS2, 6, 4)
	s_add_co_i32 s6, s6, s4
	s_cmp_eq_u32 s26, 0
	s_mov_b32 s25, 0
	s_cselect_b32 s24, s5, s6
	s_wait_kmcnt 0x0
	s_cmp_ge_u32 s24, s2
	s_cbranch_scc1 .LBB192_25
; %bb.1:
	s_clause 0x2
	s_load_b32 s27, s[0:1], 0x0
	s_load_b512 s[4:19], s[0:1], 0x20
	s_load_u16 s33, s[0:1], 0x76
	s_bitcmp1_b32 s3, 0
	v_bfe_u32 v15, v0, 10, 10
	s_cselect_b32 s3, -1, 0
	v_mov_b32_e32 v5, 0
	s_load_b128 s[20:23], s[0:1], 0x8
	v_and_b32_e32 v0, 0x3ff, v0
	v_lshl_add_u32 v16, v15, 3, 0
	s_mov_b64 s[28:29], src_shared_base
	v_mov_b32_e32 v1, v5
	s_delay_alu instid0(VALU_DEP_1)
	v_lshlrev_b64_e32 v[2:3], 3, v[0:1]
	s_wait_kmcnt 0x0
	s_cmp_lg_u32 s27, 0x71
	s_cselect_b32 s34, -1, 0
	s_lshl_b64 s[30:31], s[6:7], 3
	s_bfe_u32 s6, ttmp6, 0x40010
	s_and_b32 s7, ttmp7, 0xffff
	s_add_co_i32 s6, s6, 1
	s_bfe_u32 s27, ttmp6, 0x40004
	s_mul_i32 s6, s7, s6
	s_lshl_b64 s[36:37], s[14:15], 3
	s_add_co_i32 s27, s27, s6
	s_cmp_eq_u32 s26, 0
	s_add_nc_u64 s[12:13], s[12:13], s[36:37]
	s_cselect_b32 s6, s7, s27
	s_add_nc_u64 s[14:15], s[0:1], 0x68
	v_mad_u32 v4, s6, s33, v15
	s_load_b64 s[6:7], s[0:1], 0x18
	s_wait_xcnt 0x0
	v_cmp_gt_i64_e64 s0, s[20:21], v[0:1]
	s_lshl_b32 s1, s33, 3
	v_cmp_gt_i64_e64 s35, s[20:21], 0
	v_cmp_lt_i64_e64 s36, s[20:21], 2
	s_add_nc_u64 s[4:5], s[4:5], s[30:31]
	v_mul_u64_e32 v[6:7], s[16:17], v[4:5]
	v_cmp_gt_i64_e32 vcc_lo, s[22:23], v[4:5]
	s_add_co_i32 s16, s1, 0
	s_mov_b32 s17, s29
	v_lshl_add_u32 v17, v0, 3, s16
	s_mov_b64 s[22:23], 1
	s_and_b32 s1, vcc_lo, s0
	s_wait_kmcnt 0x0
	s_mov_b32 s26, s7
	s_mov_b32 s27, s6
	s_delay_alu instid0(VALU_DEP_3) | instskip(SKIP_1) | instid1(VALU_DEP_1)
	v_lshl_add_u64 v[4:5], v[6:7], 3, s[12:13]
	s_add_nc_u64 s[12:13], s[20:21], -1
	v_add_nc_u64_e32 v[4:5], v[4:5], v[2:3]
	s_branch .LBB192_4
.LBB192_2:                              ;   in Loop: Header=BB192_4 Depth=1
	global_store_b64 v[6:7], v[8:9], off
.LBB192_3:                              ;   in Loop: Header=BB192_4 Depth=1
	s_wait_xcnt 0x0
	s_or_b32 exec_lo, exec_lo, s37
	s_add_co_i32 s24, s24, 0x10000
	s_delay_alu instid0(SALU_CYCLE_1)
	s_cmp_lt_u32 s24, s2
	s_cbranch_scc0 .LBB192_25
.LBB192_4:                              ; =>This Loop Header: Depth=1
                                        ;     Child Loop BB192_9 Depth 2
                                        ;     Child Loop BB192_18 Depth 2
	s_mul_u64 s[28:29], s[10:11], s[24:25]
	s_and_not1_b32 vcc_lo, exec_lo, s3
	s_lshl_b64 s[28:29], s[28:29], 3
	s_delay_alu instid0(SALU_CYCLE_1)
	s_add_nc_u64 s[28:29], s[4:5], s[28:29]
	s_cbranch_vccz .LBB192_6
; %bb.5:                                ;   in Loop: Header=BB192_4 Depth=1
	s_and_saveexec_b32 s37, s1
	s_cbranch_execz .LBB192_3
	s_branch .LBB192_12
.LBB192_6:                              ;   in Loop: Header=BB192_4 Depth=1
	s_and_not1_b32 vcc_lo, exec_lo, s35
	s_cbranch_vccnz .LBB192_11
; %bb.7:                                ;   in Loop: Header=BB192_4 Depth=1
	v_mul_u64_e32 v[6:7], s[8:9], v[0:1]
	s_mov_b32 s8, 0
	s_delay_alu instid0(VALU_DEP_1)
	v_lshl_add_u64 v[6:7], v[6:7], 3, s[28:29]
	s_branch .LBB192_9
.LBB192_8:                              ;   in Loop: Header=BB192_9 Depth=2
	s_wait_xcnt 0x0
	s_or_b32 exec_lo, exec_lo, s9
	s_add_co_i32 s8, s8, s33
	s_delay_alu instid0(SALU_CYCLE_1) | instskip(NEXT) | instid1(SALU_CYCLE_1)
	s_ashr_i32 s9, s8, 31
	v_cmp_le_i64_e64 s9, s[20:21], s[8:9]
	s_and_b32 vcc_lo, exec_lo, s9
	s_cbranch_vccnz .LBB192_11
.LBB192_9:                              ;   Parent Loop BB192_4 Depth=1
                                        ; =>  This Inner Loop Header: Depth=2
	v_add_nc_u32_e32 v8, s8, v15
	s_delay_alu instid0(VALU_DEP_1) | instskip(SKIP_1) | instid1(SALU_CYCLE_1)
	v_cmp_gt_i32_e32 vcc_lo, v0, v8
	s_and_b32 s28, s0, vcc_lo
	s_and_saveexec_b32 s9, s28
	s_cbranch_execz .LBB192_8
; %bb.10:                               ;   in Loop: Header=BB192_9 Depth=2
	v_ashrrev_i32_e32 v9, 31, v8
	s_load_b32 s28, s[14:15], 0xc
	s_delay_alu instid0(VALU_DEP_1) | instskip(SKIP_2) | instid1(SALU_CYCLE_1)
	v_mul_u64_e32 v[10:11], s[22:23], v[8:9]
	s_wait_kmcnt 0x0
	s_and_b32 s28, s28, 0xffff
	v_mul_lo_u32 v3, v8, s28
	s_delay_alu instid0(VALU_DEP_1) | instskip(NEXT) | instid1(VALU_DEP_3)
	v_lshl_add_u32 v3, v3, 3, v17
	v_lshl_add_u64 v[10:11], v[10:11], 3, v[6:7]
	global_load_b64 v[10:11], v[10:11], off
	s_wait_loadcnt 0x0
	ds_store_b64 v3, v[10:11]
	s_branch .LBB192_8
.LBB192_11:                             ;   in Loop: Header=BB192_4 Depth=1
	s_load_b32 s22, s[14:15], 0xc
	s_mov_b32 s23, s25
	s_mov_b64 s[8:9], 1
	s_mov_b64 s[28:29], s[16:17]
	s_wait_kmcnt 0x0
	s_and_b32 s22, s22, 0xffff
	s_and_saveexec_b32 s37, s1
	s_cbranch_execz .LBB192_3
.LBB192_12:                             ;   in Loop: Header=BB192_4 Depth=1
	s_mul_u64 s[30:31], s[18:19], s[24:25]
	v_mov_b64_e32 v[10:11], s[26:27]
	v_lshl_add_u64 v[6:7], s[30:31], 3, v[4:5]
	v_mov_b64_e32 v[12:13], s[6:7]
	s_and_not1_b32 vcc_lo, exec_lo, s36
	s_mov_b32 s30, -1
	global_load_b64 v[8:9], v[6:7], off
	s_wait_loadcnt 0x0
	v_pk_mul_f32 v[10:11], v[10:11], v[8:9] op_sel:[0,1]
	v_pk_mul_f32 v[18:19], v[12:13], v[8:9] op_sel_hi:[1,0]
	s_delay_alu instid0(VALU_DEP_2) | instskip(NEXT) | instid1(VALU_DEP_2)
	v_pk_fma_f32 v[8:9], v[12:13], v[8:9], v[10:11] op_sel_hi:[1,0,1]
	v_sub_f32_e32 v8, v18, v10
	s_cbranch_vccnz .LBB192_14
; %bb.13:                               ;   in Loop: Header=BB192_4 Depth=1
	s_mov_b32 s30, 0
.LBB192_14:                             ;   in Loop: Header=BB192_4 Depth=1
	s_delay_alu instid0(SALU_CYCLE_1)
	s_and_not1_b32 vcc_lo, exec_lo, s30
	s_cbranch_vccnz .LBB192_2
; %bb.15:                               ;   in Loop: Header=BB192_4 Depth=1
	v_mad_nc_u64_u32 v[10:11], v2, s8, s[28:29]
	s_lshl_b64 s[28:29], s[22:23], 3
	s_mov_b64 s[30:31], 0
	s_delay_alu instid0(VALU_DEP_1) | instskip(NEXT) | instid1(VALU_DEP_1)
	v_mad_u32 v11, v2, s9, v11
	v_add_nc_u64_e32 v[10:11], 4, v[10:11]
	s_branch .LBB192_18
.LBB192_16:                             ;   in Loop: Header=BB192_18 Depth=2
	ds_load_b64 v[18:19], v16
	s_wait_dscnt 0x0
	v_pk_mul_f32 v[20:21], v[14:15], v[18:19] op_sel:[0,1] op_sel_hi:[0,0]
	s_delay_alu instid0(VALU_DEP_1) | instskip(SKIP_1) | instid1(VALU_DEP_2)
	v_pk_fma_f32 v[22:23], v[18:19], v[12:13], v[20:21] op_sel_hi:[1,0,1]
	v_pk_fma_f32 v[12:13], v[18:19], v[12:13], v[20:21] neg_lo:[0,0,1] neg_hi:[0,0,1]
	v_mov_b32_e32 v13, v23
	s_delay_alu instid0(VALU_DEP_1)
	v_pk_add_f32 v[8:9], v[8:9], v[12:13] neg_lo:[0,1] neg_hi:[0,1]
.LBB192_17:                             ;   in Loop: Header=BB192_18 Depth=2
	s_wait_xcnt 0x0
	s_or_b32 exec_lo, exec_lo, s38
	v_add_nc_u64_e32 v[10:11], s[28:29], v[10:11]
	s_add_nc_u64 s[30:31], s[30:31], 1
	s_delay_alu instid0(SALU_CYCLE_1)
	s_cmp_eq_u64 s[12:13], s[30:31]
	s_cbranch_scc1 .LBB192_2
.LBB192_18:                             ;   Parent Loop BB192_4 Depth=1
                                        ; =>  This Inner Loop Header: Depth=2
	s_mov_b32 s38, exec_lo
	s_wait_dscnt 0x0
	s_barrier_signal -1
	s_barrier_wait -1
	s_wait_xcnt 0x0
	v_cmpx_eq_u64_e64 s[30:31], v[0:1]
; %bb.19:                               ;   in Loop: Header=BB192_18 Depth=2
	ds_store_b64 v16, v[8:9]
; %bb.20:                               ;   in Loop: Header=BB192_18 Depth=2
	s_or_b32 exec_lo, exec_lo, s38
	s_delay_alu instid0(SALU_CYCLE_1)
	s_mov_b32 s38, exec_lo
	s_wait_dscnt 0x0
	s_barrier_signal -1
	s_barrier_wait -1
	v_cmpx_lt_u64_e64 s[30:31], v[0:1]
	s_cbranch_execz .LBB192_17
; %bb.21:                               ;   in Loop: Header=BB192_18 Depth=2
	s_and_b32 vcc_lo, exec_lo, s34
	s_mov_b32 s39, -1
                                        ; implicit-def: $vgpr12
                                        ; implicit-def: $vgpr14
	s_cbranch_vccz .LBB192_23
; %bb.22:                               ;   in Loop: Header=BB192_18 Depth=2
	flat_load_b64 v[12:13], v[10:11] offset:-4
	s_mov_b32 s39, 0
	s_wait_loadcnt_dscnt 0x0
	v_mov_b32_e32 v14, v13
.LBB192_23:                             ;   in Loop: Header=BB192_18 Depth=2
	s_and_not1_b32 vcc_lo, exec_lo, s39
	s_cbranch_vccnz .LBB192_16
; %bb.24:                               ;   in Loop: Header=BB192_18 Depth=2
	flat_load_b64 v[12:13], v[10:11] offset:-4
	s_wait_loadcnt_dscnt 0x0
	v_xor_b32_e32 v14, 0x80000000, v13
	s_branch .LBB192_16
.LBB192_25:
	s_endpgm
	.section	.rodata,"a",@progbits
	.p2align	6, 0x0
	.amdhsa_kernel _ZL39rocblas_trsm_block_forward_substitutionI19rocblas_complex_numIfES1_PKS1_PS1_Lb1ELb0ELb1EEv18rocblas_operation_llT0_T1_lllT2_lllib
		.amdhsa_group_segment_fixed_size 0
		.amdhsa_private_segment_fixed_size 0
		.amdhsa_kernarg_size 360
		.amdhsa_user_sgpr_count 2
		.amdhsa_user_sgpr_dispatch_ptr 0
		.amdhsa_user_sgpr_queue_ptr 0
		.amdhsa_user_sgpr_kernarg_segment_ptr 1
		.amdhsa_user_sgpr_dispatch_id 0
		.amdhsa_user_sgpr_kernarg_preload_length 0
		.amdhsa_user_sgpr_kernarg_preload_offset 0
		.amdhsa_user_sgpr_private_segment_size 0
		.amdhsa_wavefront_size32 1
		.amdhsa_uses_dynamic_stack 0
		.amdhsa_enable_private_segment 0
		.amdhsa_system_sgpr_workgroup_id_x 1
		.amdhsa_system_sgpr_workgroup_id_y 1
		.amdhsa_system_sgpr_workgroup_id_z 1
		.amdhsa_system_sgpr_workgroup_info 0
		.amdhsa_system_vgpr_workitem_id 1
		.amdhsa_next_free_vgpr 24
		.amdhsa_next_free_sgpr 40
		.amdhsa_named_barrier_count 0
		.amdhsa_reserve_vcc 1
		.amdhsa_float_round_mode_32 0
		.amdhsa_float_round_mode_16_64 0
		.amdhsa_float_denorm_mode_32 3
		.amdhsa_float_denorm_mode_16_64 3
		.amdhsa_fp16_overflow 0
		.amdhsa_memory_ordered 1
		.amdhsa_forward_progress 1
		.amdhsa_inst_pref_size 8
		.amdhsa_round_robin_scheduling 0
		.amdhsa_exception_fp_ieee_invalid_op 0
		.amdhsa_exception_fp_denorm_src 0
		.amdhsa_exception_fp_ieee_div_zero 0
		.amdhsa_exception_fp_ieee_overflow 0
		.amdhsa_exception_fp_ieee_underflow 0
		.amdhsa_exception_fp_ieee_inexact 0
		.amdhsa_exception_int_div_zero 0
	.end_amdhsa_kernel
	.section	.text._ZL39rocblas_trsm_block_forward_substitutionI19rocblas_complex_numIfES1_PKS1_PS1_Lb1ELb0ELb1EEv18rocblas_operation_llT0_T1_lllT2_lllib,"axG",@progbits,_ZL39rocblas_trsm_block_forward_substitutionI19rocblas_complex_numIfES1_PKS1_PS1_Lb1ELb0ELb1EEv18rocblas_operation_llT0_T1_lllT2_lllib,comdat
.Lfunc_end192:
	.size	_ZL39rocblas_trsm_block_forward_substitutionI19rocblas_complex_numIfES1_PKS1_PS1_Lb1ELb0ELb1EEv18rocblas_operation_llT0_T1_lllT2_lllib, .Lfunc_end192-_ZL39rocblas_trsm_block_forward_substitutionI19rocblas_complex_numIfES1_PKS1_PS1_Lb1ELb0ELb1EEv18rocblas_operation_llT0_T1_lllT2_lllib
                                        ; -- End function
	.set _ZL39rocblas_trsm_block_forward_substitutionI19rocblas_complex_numIfES1_PKS1_PS1_Lb1ELb0ELb1EEv18rocblas_operation_llT0_T1_lllT2_lllib.num_vgpr, 24
	.set _ZL39rocblas_trsm_block_forward_substitutionI19rocblas_complex_numIfES1_PKS1_PS1_Lb1ELb0ELb1EEv18rocblas_operation_llT0_T1_lllT2_lllib.num_agpr, 0
	.set _ZL39rocblas_trsm_block_forward_substitutionI19rocblas_complex_numIfES1_PKS1_PS1_Lb1ELb0ELb1EEv18rocblas_operation_llT0_T1_lllT2_lllib.numbered_sgpr, 40
	.set _ZL39rocblas_trsm_block_forward_substitutionI19rocblas_complex_numIfES1_PKS1_PS1_Lb1ELb0ELb1EEv18rocblas_operation_llT0_T1_lllT2_lllib.num_named_barrier, 0
	.set _ZL39rocblas_trsm_block_forward_substitutionI19rocblas_complex_numIfES1_PKS1_PS1_Lb1ELb0ELb1EEv18rocblas_operation_llT0_T1_lllT2_lllib.private_seg_size, 0
	.set _ZL39rocblas_trsm_block_forward_substitutionI19rocblas_complex_numIfES1_PKS1_PS1_Lb1ELb0ELb1EEv18rocblas_operation_llT0_T1_lllT2_lllib.uses_vcc, 1
	.set _ZL39rocblas_trsm_block_forward_substitutionI19rocblas_complex_numIfES1_PKS1_PS1_Lb1ELb0ELb1EEv18rocblas_operation_llT0_T1_lllT2_lllib.uses_flat_scratch, 0
	.set _ZL39rocblas_trsm_block_forward_substitutionI19rocblas_complex_numIfES1_PKS1_PS1_Lb1ELb0ELb1EEv18rocblas_operation_llT0_T1_lllT2_lllib.has_dyn_sized_stack, 0
	.set _ZL39rocblas_trsm_block_forward_substitutionI19rocblas_complex_numIfES1_PKS1_PS1_Lb1ELb0ELb1EEv18rocblas_operation_llT0_T1_lllT2_lllib.has_recursion, 0
	.set _ZL39rocblas_trsm_block_forward_substitutionI19rocblas_complex_numIfES1_PKS1_PS1_Lb1ELb0ELb1EEv18rocblas_operation_llT0_T1_lllT2_lllib.has_indirect_call, 0
	.section	.AMDGPU.csdata,"",@progbits
; Kernel info:
; codeLenInByte = 1016
; TotalNumSgprs: 42
; NumVgprs: 24
; ScratchSize: 0
; MemoryBound: 0
; FloatMode: 240
; IeeeMode: 1
; LDSByteSize: 0 bytes/workgroup (compile time only)
; SGPRBlocks: 0
; VGPRBlocks: 1
; NumSGPRsForWavesPerEU: 42
; NumVGPRsForWavesPerEU: 24
; NamedBarCnt: 0
; Occupancy: 16
; WaveLimiterHint : 0
; COMPUTE_PGM_RSRC2:SCRATCH_EN: 0
; COMPUTE_PGM_RSRC2:USER_SGPR: 2
; COMPUTE_PGM_RSRC2:TRAP_HANDLER: 0
; COMPUTE_PGM_RSRC2:TGID_X_EN: 1
; COMPUTE_PGM_RSRC2:TGID_Y_EN: 1
; COMPUTE_PGM_RSRC2:TGID_Z_EN: 1
; COMPUTE_PGM_RSRC2:TIDIG_COMP_CNT: 1
	.section	.text._ZL40rocblas_trsm_block_backward_substitutionI19rocblas_complex_numIfES1_PKS1_PS1_Lb1ELb0ELb1EEv18rocblas_operation_llT0_T1_lllT2_lllib,"axG",@progbits,_ZL40rocblas_trsm_block_backward_substitutionI19rocblas_complex_numIfES1_PKS1_PS1_Lb1ELb0ELb1EEv18rocblas_operation_llT0_T1_lllT2_lllib,comdat
	.globl	_ZL40rocblas_trsm_block_backward_substitutionI19rocblas_complex_numIfES1_PKS1_PS1_Lb1ELb0ELb1EEv18rocblas_operation_llT0_T1_lllT2_lllib ; -- Begin function _ZL40rocblas_trsm_block_backward_substitutionI19rocblas_complex_numIfES1_PKS1_PS1_Lb1ELb0ELb1EEv18rocblas_operation_llT0_T1_lllT2_lllib
	.p2align	8
	.type	_ZL40rocblas_trsm_block_backward_substitutionI19rocblas_complex_numIfES1_PKS1_PS1_Lb1ELb0ELb1EEv18rocblas_operation_llT0_T1_lllT2_lllib,@function
_ZL40rocblas_trsm_block_backward_substitutionI19rocblas_complex_numIfES1_PKS1_PS1_Lb1ELb0ELb1EEv18rocblas_operation_llT0_T1_lllT2_lllib: ; @_ZL40rocblas_trsm_block_backward_substitutionI19rocblas_complex_numIfES1_PKS1_PS1_Lb1ELb0ELb1EEv18rocblas_operation_llT0_T1_lllT2_lllib
; %bb.0:
	s_load_b64 s[2:3], s[0:1], 0x60
	s_bfe_u32 s4, ttmp6, 0x40014
	s_lshr_b32 s5, ttmp7, 16
	s_add_co_i32 s4, s4, 1
	s_bfe_u32 s6, ttmp6, 0x40008
	s_mul_i32 s4, s5, s4
	s_getreg_b32 s28, hwreg(HW_REG_IB_STS2, 6, 4)
	s_add_co_i32 s6, s6, s4
	s_cmp_eq_u32 s28, 0
	s_mov_b32 s25, 0
	s_cselect_b32 s24, s5, s6
	s_wait_kmcnt 0x0
	s_cmp_ge_u32 s24, s2
	s_cbranch_scc1 .LBB193_25
; %bb.1:
	s_clause 0x1
	s_load_b512 s[4:19], s[0:1], 0x20
	s_load_b32 s29, s[0:1], 0x0
	v_and_b32_e32 v2, 0x3ff, v0
	v_mov_b32_e32 v1, 0
	s_clause 0x2
	s_load_b128 s[20:23], s[0:1], 0x8
	s_load_b64 s[26:27], s[0:1], 0x18
	s_load_u16 s33, s[0:1], 0x76
	s_bitcmp1_b32 s3, 0
	v_bfe_u32 v17, v0, 10, 10
	v_dual_mov_b32 v3, v1 :: v_dual_lshlrev_b32 v8, 3, v2
	v_mov_b32_e32 v5, v1
	s_cselect_b32 s3, -1, 0
	s_delay_alu instid0(VALU_DEP_3)
	v_lshl_add_u32 v18, v17, 3, 0
	s_mov_b64 s[30:31], src_shared_base
	s_wait_kmcnt 0x0
	v_mul_u64_e32 v[6:7], s[16:17], v[2:3]
	s_cmp_lg_u32 s29, 0x71
	s_add_nc_u64 s[16:17], s[0:1], 0x68
	s_cselect_b32 s34, -1, 0
	s_bfe_u32 s0, ttmp6, 0x40010
	s_and_b32 s1, ttmp7, 0xffff
	s_add_co_i32 s0, s0, 1
	s_lshl_b64 s[38:39], s[6:7], 3
	s_bfe_u32 s6, ttmp6, 0x40004
	s_mul_i32 s0, s1, s0
	s_lshl_b64 s[40:41], s[14:15], 3
	s_add_co_i32 s6, s6, s0
	s_cmp_eq_u32 s28, 0
	s_add_nc_u64 s[12:13], s[12:13], s[40:41]
	s_cselect_b32 s0, s1, s6
	s_lshl_b32 s1, s33, 3
	v_mad_u32 v0, s0, s33, v17
	v_cmp_gt_i64_e64 s0, s[20:21], v[2:3]
	v_cmp_gt_i64_e64 s35, s[20:21], 0
	v_cmp_lt_i64_e64 s36, s[20:21], 2
	s_add_co_i32 s6, s1, 0
	s_delay_alu instid0(SALU_CYCLE_1)
	v_dual_add_nc_u32 v19, s6, v8 :: v_dual_bitop2_b32 v4, 4, v8 bitop3:0x54
	s_mov_b32 s7, s31
	s_mov_b32 s14, s27
	s_add_nc_u64 s[4:5], s[4:5], s[38:39]
	s_mov_b32 s15, s26
	v_cmp_gt_i64_e32 vcc_lo, s[22:23], v[0:1]
	v_lshl_add_u64 v[6:7], v[6:7], 3, s[12:13]
	s_add_nc_u64 s[12:13], s[20:21], -1
	s_and_b32 s37, vcc_lo, s0
	s_lshl_b64 s[22:23], s[12:13], 3
	s_delay_alu instid0(VALU_DEP_1)
	v_lshl_add_u64 v[6:7], v[0:1], 3, v[6:7]
	v_lshlrev_b32_e32 v0, 3, v2
	s_branch .LBB193_4
.LBB193_2:                              ;   in Loop: Header=BB193_4 Depth=1
	global_store_b64 v[8:9], v[10:11], off
.LBB193_3:                              ;   in Loop: Header=BB193_4 Depth=1
	s_wait_xcnt 0x0
	s_or_b32 exec_lo, exec_lo, s1
	s_add_co_i32 s24, s24, 0x10000
	s_delay_alu instid0(SALU_CYCLE_1)
	s_cmp_lt_u32 s24, s2
	s_cbranch_scc0 .LBB193_25
.LBB193_4:                              ; =>This Loop Header: Depth=1
                                        ;     Child Loop BB193_8 Depth 2
                                        ;     Child Loop BB193_18 Depth 2
	s_mul_u64 s[28:29], s[10:11], s[24:25]
	s_and_not1_b32 vcc_lo, exec_lo, s3
	s_lshl_b64 s[28:29], s[28:29], 3
	s_delay_alu instid0(SALU_CYCLE_1)
	s_add_nc_u64 s[30:31], s[4:5], s[28:29]
	s_cbranch_vccnz .LBB193_10
; %bb.5:                                ;   in Loop: Header=BB193_4 Depth=1
	s_and_not1_b32 vcc_lo, exec_lo, s35
	s_cbranch_vccnz .LBB193_11
; %bb.6:                                ;   in Loop: Header=BB193_4 Depth=1
	v_add_nc_u64_e32 v[8:9], s[30:31], v[0:1]
	s_mov_b32 s28, 0
	s_branch .LBB193_8
.LBB193_7:                              ;   in Loop: Header=BB193_8 Depth=2
	s_wait_xcnt 0x0
	s_or_b32 exec_lo, exec_lo, s1
	s_add_co_i32 s28, s28, s33
	s_delay_alu instid0(SALU_CYCLE_1) | instskip(NEXT) | instid1(SALU_CYCLE_1)
	s_ashr_i32 s29, s28, 31
	v_cmp_le_i64_e64 s1, s[20:21], s[28:29]
	s_and_b32 vcc_lo, exec_lo, s1
	s_cbranch_vccnz .LBB193_11
.LBB193_8:                              ;   Parent Loop BB193_4 Depth=1
                                        ; =>  This Inner Loop Header: Depth=2
	v_add_nc_u32_e32 v10, s28, v17
	s_delay_alu instid0(VALU_DEP_1) | instskip(SKIP_1) | instid1(VALU_DEP_2)
	v_ashrrev_i32_e32 v11, 31, v10
	v_cmp_lt_i32_e64 s1, v2, v10
	v_cmp_gt_i64_e32 vcc_lo, s[20:21], v[10:11]
	s_and_b32 s1, s1, vcc_lo
	s_delay_alu instid0(SALU_CYCLE_1) | instskip(NEXT) | instid1(SALU_CYCLE_1)
	s_and_b32 s29, s0, s1
	s_and_saveexec_b32 s1, s29
	s_cbranch_execz .LBB193_7
; %bb.9:                                ;   in Loop: Header=BB193_8 Depth=2
	v_mul_u64_e32 v[12:13], s[8:9], v[10:11]
	s_load_b32 s29, s[16:17], 0xc
	s_wait_kmcnt 0x0
	s_and_b32 s29, s29, 0xffff
	s_delay_alu instid0(SALU_CYCLE_1) | instskip(NEXT) | instid1(VALU_DEP_2)
	v_mul_lo_u32 v10, v10, s29
	v_lshl_add_u64 v[12:13], v[12:13], 3, v[8:9]
	s_delay_alu instid0(VALU_DEP_2)
	v_lshl_add_u32 v10, v10, 3, v19
	global_load_b64 v[12:13], v[12:13], off
	s_wait_loadcnt 0x0
	ds_store_b64 v10, v[12:13]
	s_branch .LBB193_7
.LBB193_10:                             ;   in Loop: Header=BB193_4 Depth=1
	s_mov_b64 s[28:29], s[8:9]
	s_and_saveexec_b32 s1, s37
	s_cbranch_execz .LBB193_3
	s_branch .LBB193_12
.LBB193_11:                             ;   in Loop: Header=BB193_4 Depth=1
	s_load_b32 s1, s[16:17], 0xc
	s_mov_b32 s29, s25
	s_mov_b64 s[30:31], s[6:7]
	s_wait_kmcnt 0x0
	s_and_b32 s28, s1, 0xffff
	s_and_saveexec_b32 s1, s37
	s_cbranch_execz .LBB193_3
.LBB193_12:                             ;   in Loop: Header=BB193_4 Depth=1
	s_mul_u64 s[38:39], s[18:19], s[24:25]
	v_mov_b64_e32 v[12:13], s[14:15]
	v_lshl_add_u64 v[8:9], s[38:39], 3, v[6:7]
	v_mov_b64_e32 v[14:15], s[26:27]
	s_and_not1_b32 vcc_lo, exec_lo, s36
	s_mov_b32 s38, -1
	global_load_b64 v[10:11], v[8:9], off
	s_wait_loadcnt 0x0
	v_pk_mul_f32 v[12:13], v[12:13], v[10:11] op_sel:[0,1]
	v_pk_mul_f32 v[20:21], v[14:15], v[10:11] op_sel_hi:[1,0]
	s_delay_alu instid0(VALU_DEP_2) | instskip(NEXT) | instid1(VALU_DEP_2)
	v_pk_fma_f32 v[10:11], v[14:15], v[10:11], v[12:13] op_sel_hi:[1,0,1]
	v_sub_f32_e32 v10, v20, v12
	s_cbranch_vccnz .LBB193_14
; %bb.13:                               ;   in Loop: Header=BB193_4 Depth=1
	s_mov_b32 s38, 0
.LBB193_14:                             ;   in Loop: Header=BB193_4 Depth=1
	s_delay_alu instid0(SALU_CYCLE_1)
	s_and_not1_b32 vcc_lo, exec_lo, s38
	s_cbranch_vccnz .LBB193_2
; %bb.15:                               ;   in Loop: Header=BB193_4 Depth=1
	v_add_nc_u64_e32 v[12:13], s[30:31], v[4:5]
	s_mul_i32 s30, s23, s28
	s_mul_i32 s31, s22, s29
	s_delay_alu instid0(VALU_DEP_1) | instskip(SKIP_1) | instid1(SALU_CYCLE_1)
	v_mad_nc_u64_u32 v[12:13], s22, s28, v[12:13]
	s_lshl_b64 s[28:29], s[28:29], 3
	s_sub_nc_u64 s[28:29], 0, s[28:29]
	s_delay_alu instid0(VALU_DEP_1)
	v_add3_u32 v13, s31, s30, v13
	s_mov_b64 s[30:31], s[12:13]
	s_branch .LBB193_18
.LBB193_16:                             ;   in Loop: Header=BB193_18 Depth=2
	ds_load_b64 v[20:21], v18
	s_wait_dscnt 0x0
	v_pk_mul_f32 v[22:23], v[16:17], v[20:21] op_sel:[0,1] op_sel_hi:[0,0]
	s_delay_alu instid0(VALU_DEP_1) | instskip(SKIP_1) | instid1(VALU_DEP_2)
	v_pk_fma_f32 v[24:25], v[20:21], v[14:15], v[22:23] op_sel_hi:[1,0,1]
	v_pk_fma_f32 v[14:15], v[20:21], v[14:15], v[22:23] neg_lo:[0,0,1] neg_hi:[0,0,1]
	v_mov_b32_e32 v15, v25
	s_delay_alu instid0(VALU_DEP_1)
	v_pk_add_f32 v[10:11], v[10:11], v[14:15] neg_lo:[0,1] neg_hi:[0,1]
.LBB193_17:                             ;   in Loop: Header=BB193_18 Depth=2
	s_wait_xcnt 0x0
	s_or_b32 exec_lo, exec_lo, s38
	s_add_nc_u64 s[38:39], s[30:31], 1
	v_add_nc_u64_e32 v[12:13], s[28:29], v[12:13]
	v_cmp_lt_u64_e64 s38, s[38:39], 3
	s_add_nc_u64 s[30:31], s[30:31], -1
	s_and_b32 vcc_lo, exec_lo, s38
	s_cbranch_vccnz .LBB193_2
.LBB193_18:                             ;   Parent Loop BB193_4 Depth=1
                                        ; =>  This Inner Loop Header: Depth=2
	s_mov_b32 s38, exec_lo
	s_wait_dscnt 0x0
	s_barrier_signal -1
	s_barrier_wait -1
	s_wait_xcnt 0x0
	v_cmpx_eq_u64_e64 s[30:31], v[2:3]
; %bb.19:                               ;   in Loop: Header=BB193_18 Depth=2
	ds_store_b64 v18, v[10:11]
; %bb.20:                               ;   in Loop: Header=BB193_18 Depth=2
	s_or_b32 exec_lo, exec_lo, s38
	s_delay_alu instid0(SALU_CYCLE_1)
	s_mov_b32 s38, exec_lo
	s_wait_dscnt 0x0
	s_barrier_signal -1
	s_barrier_wait -1
	v_cmpx_gt_i64_e64 s[30:31], v[2:3]
	s_cbranch_execz .LBB193_17
; %bb.21:                               ;   in Loop: Header=BB193_18 Depth=2
	s_and_b32 vcc_lo, exec_lo, s34
	s_mov_b32 s39, -1
                                        ; implicit-def: $vgpr14
                                        ; implicit-def: $vgpr16
	s_cbranch_vccz .LBB193_23
; %bb.22:                               ;   in Loop: Header=BB193_18 Depth=2
	flat_load_b64 v[14:15], v[12:13] offset:-4
	s_mov_b32 s39, 0
	s_wait_loadcnt_dscnt 0x0
	v_mov_b32_e32 v16, v15
.LBB193_23:                             ;   in Loop: Header=BB193_18 Depth=2
	s_and_not1_b32 vcc_lo, exec_lo, s39
	s_cbranch_vccnz .LBB193_16
; %bb.24:                               ;   in Loop: Header=BB193_18 Depth=2
	flat_load_b64 v[14:15], v[12:13] offset:-4
	s_wait_loadcnt_dscnt 0x0
	v_xor_b32_e32 v16, 0x80000000, v15
	s_branch .LBB193_16
.LBB193_25:
	s_endpgm
	.section	.rodata,"a",@progbits
	.p2align	6, 0x0
	.amdhsa_kernel _ZL40rocblas_trsm_block_backward_substitutionI19rocblas_complex_numIfES1_PKS1_PS1_Lb1ELb0ELb1EEv18rocblas_operation_llT0_T1_lllT2_lllib
		.amdhsa_group_segment_fixed_size 0
		.amdhsa_private_segment_fixed_size 0
		.amdhsa_kernarg_size 360
		.amdhsa_user_sgpr_count 2
		.amdhsa_user_sgpr_dispatch_ptr 0
		.amdhsa_user_sgpr_queue_ptr 0
		.amdhsa_user_sgpr_kernarg_segment_ptr 1
		.amdhsa_user_sgpr_dispatch_id 0
		.amdhsa_user_sgpr_kernarg_preload_length 0
		.amdhsa_user_sgpr_kernarg_preload_offset 0
		.amdhsa_user_sgpr_private_segment_size 0
		.amdhsa_wavefront_size32 1
		.amdhsa_uses_dynamic_stack 0
		.amdhsa_enable_private_segment 0
		.amdhsa_system_sgpr_workgroup_id_x 1
		.amdhsa_system_sgpr_workgroup_id_y 1
		.amdhsa_system_sgpr_workgroup_id_z 1
		.amdhsa_system_sgpr_workgroup_info 0
		.amdhsa_system_vgpr_workitem_id 1
		.amdhsa_next_free_vgpr 26
		.amdhsa_next_free_sgpr 42
		.amdhsa_named_barrier_count 0
		.amdhsa_reserve_vcc 1
		.amdhsa_float_round_mode_32 0
		.amdhsa_float_round_mode_16_64 0
		.amdhsa_float_denorm_mode_32 3
		.amdhsa_float_denorm_mode_16_64 3
		.amdhsa_fp16_overflow 0
		.amdhsa_memory_ordered 1
		.amdhsa_forward_progress 1
		.amdhsa_inst_pref_size 9
		.amdhsa_round_robin_scheduling 0
		.amdhsa_exception_fp_ieee_invalid_op 0
		.amdhsa_exception_fp_denorm_src 0
		.amdhsa_exception_fp_ieee_div_zero 0
		.amdhsa_exception_fp_ieee_overflow 0
		.amdhsa_exception_fp_ieee_underflow 0
		.amdhsa_exception_fp_ieee_inexact 0
		.amdhsa_exception_int_div_zero 0
	.end_amdhsa_kernel
	.section	.text._ZL40rocblas_trsm_block_backward_substitutionI19rocblas_complex_numIfES1_PKS1_PS1_Lb1ELb0ELb1EEv18rocblas_operation_llT0_T1_lllT2_lllib,"axG",@progbits,_ZL40rocblas_trsm_block_backward_substitutionI19rocblas_complex_numIfES1_PKS1_PS1_Lb1ELb0ELb1EEv18rocblas_operation_llT0_T1_lllT2_lllib,comdat
.Lfunc_end193:
	.size	_ZL40rocblas_trsm_block_backward_substitutionI19rocblas_complex_numIfES1_PKS1_PS1_Lb1ELb0ELb1EEv18rocblas_operation_llT0_T1_lllT2_lllib, .Lfunc_end193-_ZL40rocblas_trsm_block_backward_substitutionI19rocblas_complex_numIfES1_PKS1_PS1_Lb1ELb0ELb1EEv18rocblas_operation_llT0_T1_lllT2_lllib
                                        ; -- End function
	.set _ZL40rocblas_trsm_block_backward_substitutionI19rocblas_complex_numIfES1_PKS1_PS1_Lb1ELb0ELb1EEv18rocblas_operation_llT0_T1_lllT2_lllib.num_vgpr, 26
	.set _ZL40rocblas_trsm_block_backward_substitutionI19rocblas_complex_numIfES1_PKS1_PS1_Lb1ELb0ELb1EEv18rocblas_operation_llT0_T1_lllT2_lllib.num_agpr, 0
	.set _ZL40rocblas_trsm_block_backward_substitutionI19rocblas_complex_numIfES1_PKS1_PS1_Lb1ELb0ELb1EEv18rocblas_operation_llT0_T1_lllT2_lllib.numbered_sgpr, 42
	.set _ZL40rocblas_trsm_block_backward_substitutionI19rocblas_complex_numIfES1_PKS1_PS1_Lb1ELb0ELb1EEv18rocblas_operation_llT0_T1_lllT2_lllib.num_named_barrier, 0
	.set _ZL40rocblas_trsm_block_backward_substitutionI19rocblas_complex_numIfES1_PKS1_PS1_Lb1ELb0ELb1EEv18rocblas_operation_llT0_T1_lllT2_lllib.private_seg_size, 0
	.set _ZL40rocblas_trsm_block_backward_substitutionI19rocblas_complex_numIfES1_PKS1_PS1_Lb1ELb0ELb1EEv18rocblas_operation_llT0_T1_lllT2_lllib.uses_vcc, 1
	.set _ZL40rocblas_trsm_block_backward_substitutionI19rocblas_complex_numIfES1_PKS1_PS1_Lb1ELb0ELb1EEv18rocblas_operation_llT0_T1_lllT2_lllib.uses_flat_scratch, 0
	.set _ZL40rocblas_trsm_block_backward_substitutionI19rocblas_complex_numIfES1_PKS1_PS1_Lb1ELb0ELb1EEv18rocblas_operation_llT0_T1_lllT2_lllib.has_dyn_sized_stack, 0
	.set _ZL40rocblas_trsm_block_backward_substitutionI19rocblas_complex_numIfES1_PKS1_PS1_Lb1ELb0ELb1EEv18rocblas_operation_llT0_T1_lllT2_lllib.has_recursion, 0
	.set _ZL40rocblas_trsm_block_backward_substitutionI19rocblas_complex_numIfES1_PKS1_PS1_Lb1ELb0ELb1EEv18rocblas_operation_llT0_T1_lllT2_lllib.has_indirect_call, 0
	.section	.AMDGPU.csdata,"",@progbits
; Kernel info:
; codeLenInByte = 1060
; TotalNumSgprs: 44
; NumVgprs: 26
; ScratchSize: 0
; MemoryBound: 0
; FloatMode: 240
; IeeeMode: 1
; LDSByteSize: 0 bytes/workgroup (compile time only)
; SGPRBlocks: 0
; VGPRBlocks: 1
; NumSGPRsForWavesPerEU: 44
; NumVGPRsForWavesPerEU: 26
; NamedBarCnt: 0
; Occupancy: 16
; WaveLimiterHint : 0
; COMPUTE_PGM_RSRC2:SCRATCH_EN: 0
; COMPUTE_PGM_RSRC2:USER_SGPR: 2
; COMPUTE_PGM_RSRC2:TRAP_HANDLER: 0
; COMPUTE_PGM_RSRC2:TGID_X_EN: 1
; COMPUTE_PGM_RSRC2:TGID_Y_EN: 1
; COMPUTE_PGM_RSRC2:TGID_Z_EN: 1
; COMPUTE_PGM_RSRC2:TIDIG_COMP_CNT: 1
	.section	.text._ZL26setup_batched_array_kernelILi128E19rocblas_complex_numIfEEvPT0_lPS3_,"axG",@progbits,_ZL26setup_batched_array_kernelILi128E19rocblas_complex_numIfEEvPT0_lPS3_,comdat
	.globl	_ZL26setup_batched_array_kernelILi128E19rocblas_complex_numIfEEvPT0_lPS3_ ; -- Begin function _ZL26setup_batched_array_kernelILi128E19rocblas_complex_numIfEEvPT0_lPS3_
	.p2align	8
	.type	_ZL26setup_batched_array_kernelILi128E19rocblas_complex_numIfEEvPT0_lPS3_,@function
_ZL26setup_batched_array_kernelILi128E19rocblas_complex_numIfEEvPT0_lPS3_: ; @_ZL26setup_batched_array_kernelILi128E19rocblas_complex_numIfEEvPT0_lPS3_
; %bb.0:
	s_load_b128 s[4:7], s[0:1], 0x0
	s_bfe_u32 s2, ttmp6, 0x4000c
	s_wait_xcnt 0x0
	s_load_b64 s[0:1], s[0:1], 0x10
	s_add_co_i32 s2, s2, 1
	s_and_b32 s3, ttmp6, 15
	s_mul_i32 s2, ttmp9, s2
	s_getreg_b32 s8, hwreg(HW_REG_IB_STS2, 6, 4)
	s_add_co_i32 s2, s3, s2
	s_cmp_eq_u32 s8, 0
	s_mov_b32 s3, 0
	s_cselect_b32 s2, ttmp9, s2
	s_delay_alu instid0(SALU_CYCLE_1) | instskip(SKIP_2) | instid1(SALU_CYCLE_1)
	v_mov_b32_e32 v2, s2
	s_wait_kmcnt 0x0
	s_mul_u64 s[6:7], s[6:7], s[2:3]
	s_lshl_b64 s[6:7], s[6:7], 3
	s_delay_alu instid0(SALU_CYCLE_1) | instskip(NEXT) | instid1(SALU_CYCLE_1)
	s_add_nc_u64 s[4:5], s[4:5], s[6:7]
	v_mov_b64_e32 v[0:1], s[4:5]
	global_store_b64 v2, v[0:1], s[0:1] scale_offset
	s_endpgm
	.section	.rodata,"a",@progbits
	.p2align	6, 0x0
	.amdhsa_kernel _ZL26setup_batched_array_kernelILi128E19rocblas_complex_numIfEEvPT0_lPS3_
		.amdhsa_group_segment_fixed_size 0
		.amdhsa_private_segment_fixed_size 0
		.amdhsa_kernarg_size 24
		.amdhsa_user_sgpr_count 2
		.amdhsa_user_sgpr_dispatch_ptr 0
		.amdhsa_user_sgpr_queue_ptr 0
		.amdhsa_user_sgpr_kernarg_segment_ptr 1
		.amdhsa_user_sgpr_dispatch_id 0
		.amdhsa_user_sgpr_kernarg_preload_length 0
		.amdhsa_user_sgpr_kernarg_preload_offset 0
		.amdhsa_user_sgpr_private_segment_size 0
		.amdhsa_wavefront_size32 1
		.amdhsa_uses_dynamic_stack 0
		.amdhsa_enable_private_segment 0
		.amdhsa_system_sgpr_workgroup_id_x 1
		.amdhsa_system_sgpr_workgroup_id_y 0
		.amdhsa_system_sgpr_workgroup_id_z 0
		.amdhsa_system_sgpr_workgroup_info 0
		.amdhsa_system_vgpr_workitem_id 0
		.amdhsa_next_free_vgpr 3
		.amdhsa_next_free_sgpr 9
		.amdhsa_named_barrier_count 0
		.amdhsa_reserve_vcc 0
		.amdhsa_float_round_mode_32 0
		.amdhsa_float_round_mode_16_64 0
		.amdhsa_float_denorm_mode_32 3
		.amdhsa_float_denorm_mode_16_64 3
		.amdhsa_fp16_overflow 0
		.amdhsa_memory_ordered 1
		.amdhsa_forward_progress 1
		.amdhsa_inst_pref_size 1
		.amdhsa_round_robin_scheduling 0
		.amdhsa_exception_fp_ieee_invalid_op 0
		.amdhsa_exception_fp_denorm_src 0
		.amdhsa_exception_fp_ieee_div_zero 0
		.amdhsa_exception_fp_ieee_overflow 0
		.amdhsa_exception_fp_ieee_underflow 0
		.amdhsa_exception_fp_ieee_inexact 0
		.amdhsa_exception_int_div_zero 0
	.end_amdhsa_kernel
	.section	.text._ZL26setup_batched_array_kernelILi128E19rocblas_complex_numIfEEvPT0_lPS3_,"axG",@progbits,_ZL26setup_batched_array_kernelILi128E19rocblas_complex_numIfEEvPT0_lPS3_,comdat
.Lfunc_end194:
	.size	_ZL26setup_batched_array_kernelILi128E19rocblas_complex_numIfEEvPT0_lPS3_, .Lfunc_end194-_ZL26setup_batched_array_kernelILi128E19rocblas_complex_numIfEEvPT0_lPS3_
                                        ; -- End function
	.set _ZL26setup_batched_array_kernelILi128E19rocblas_complex_numIfEEvPT0_lPS3_.num_vgpr, 3
	.set _ZL26setup_batched_array_kernelILi128E19rocblas_complex_numIfEEvPT0_lPS3_.num_agpr, 0
	.set _ZL26setup_batched_array_kernelILi128E19rocblas_complex_numIfEEvPT0_lPS3_.numbered_sgpr, 9
	.set _ZL26setup_batched_array_kernelILi128E19rocblas_complex_numIfEEvPT0_lPS3_.num_named_barrier, 0
	.set _ZL26setup_batched_array_kernelILi128E19rocblas_complex_numIfEEvPT0_lPS3_.private_seg_size, 0
	.set _ZL26setup_batched_array_kernelILi128E19rocblas_complex_numIfEEvPT0_lPS3_.uses_vcc, 0
	.set _ZL26setup_batched_array_kernelILi128E19rocblas_complex_numIfEEvPT0_lPS3_.uses_flat_scratch, 0
	.set _ZL26setup_batched_array_kernelILi128E19rocblas_complex_numIfEEvPT0_lPS3_.has_dyn_sized_stack, 0
	.set _ZL26setup_batched_array_kernelILi128E19rocblas_complex_numIfEEvPT0_lPS3_.has_recursion, 0
	.set _ZL26setup_batched_array_kernelILi128E19rocblas_complex_numIfEEvPT0_lPS3_.has_indirect_call, 0
	.section	.AMDGPU.csdata,"",@progbits
; Kernel info:
; codeLenInByte = 108
; TotalNumSgprs: 9
; NumVgprs: 3
; ScratchSize: 0
; MemoryBound: 0
; FloatMode: 240
; IeeeMode: 1
; LDSByteSize: 0 bytes/workgroup (compile time only)
; SGPRBlocks: 0
; VGPRBlocks: 0
; NumSGPRsForWavesPerEU: 9
; NumVGPRsForWavesPerEU: 3
; NamedBarCnt: 0
; Occupancy: 16
; WaveLimiterHint : 0
; COMPUTE_PGM_RSRC2:SCRATCH_EN: 0
; COMPUTE_PGM_RSRC2:USER_SGPR: 2
; COMPUTE_PGM_RSRC2:TRAP_HANDLER: 0
; COMPUTE_PGM_RSRC2:TGID_X_EN: 1
; COMPUTE_PGM_RSRC2:TGID_Y_EN: 0
; COMPUTE_PGM_RSRC2:TGID_Z_EN: 0
; COMPUTE_PGM_RSRC2:TIDIG_COMP_CNT: 0
	.section	.text._ZL25rocblas_trtri_trsm_kernelILi128ELi16ELi8E19rocblas_complex_numIfEPKS1_PS1_Ev13rocblas_fill_17rocblas_diagonal_T3_lilT4_lli,"axG",@progbits,_ZL25rocblas_trtri_trsm_kernelILi128ELi16ELi8E19rocblas_complex_numIfEPKS1_PS1_Ev13rocblas_fill_17rocblas_diagonal_T3_lilT4_lli,comdat
	.globl	_ZL25rocblas_trtri_trsm_kernelILi128ELi16ELi8E19rocblas_complex_numIfEPKS1_PS1_Ev13rocblas_fill_17rocblas_diagonal_T3_lilT4_lli ; -- Begin function _ZL25rocblas_trtri_trsm_kernelILi128ELi16ELi8E19rocblas_complex_numIfEPKS1_PS1_Ev13rocblas_fill_17rocblas_diagonal_T3_lilT4_lli
	.p2align	8
	.type	_ZL25rocblas_trtri_trsm_kernelILi128ELi16ELi8E19rocblas_complex_numIfEPKS1_PS1_Ev13rocblas_fill_17rocblas_diagonal_T3_lilT4_lli,@function
_ZL25rocblas_trtri_trsm_kernelILi128ELi16ELi8E19rocblas_complex_numIfEPKS1_PS1_Ev13rocblas_fill_17rocblas_diagonal_T3_lilT4_lli: ; @_ZL25rocblas_trtri_trsm_kernelILi128ELi16ELi8E19rocblas_complex_numIfEPKS1_PS1_Ev13rocblas_fill_17rocblas_diagonal_T3_lilT4_lli
; %bb.0:
	s_load_b32 s94, s[0:1], 0x40
	s_bfe_u32 s2, ttmp6, 0x40014
	s_lshr_b32 s3, ttmp7, 16
	s_add_co_i32 s2, s2, 1
	s_bfe_u32 s4, ttmp6, 0x40008
	s_mul_i32 s2, s3, s2
	s_getreg_b32 s8, hwreg(HW_REG_IB_STS2, 6, 4)
	s_add_co_i32 s4, s4, s2
	s_cmp_eq_u32 s8, 0
	s_mov_b32 s39, 0
	s_cselect_b32 s48, s3, s4
	s_wait_kmcnt 0x0
	s_cmp_ge_u32 s48, s94
	s_cbranch_scc1 .LBB195_141
; %bb.1:
	s_clause 0x3
	s_load_b32 s50, s[0:1], 0x18
	s_load_b128 s[4:7], s[0:1], 0x8
	s_load_b64 s[2:3], s[0:1], 0x0
	s_load_b256 s[40:47], s[0:1], 0x20
	s_wait_xcnt 0x0
	v_cmp_gt_u32_e64 s1, 32, v0
	v_cmp_gt_u32_e32 vcc_lo, 16, v0
	s_bfe_u32 s10, ttmp6, 0x4000c
	s_and_b32 s9, ttmp6, 15
	s_add_co_i32 s10, s10, 1
	v_cndmask_b32_e64 v1, 0, 0x1800, s1
	s_mul_i32 s10, ttmp9, s10
	v_dual_lshrrev_b32 v9, 4, v0 :: v_dual_bitop2_b32 v8, 15, v0 bitop3:0x40
	s_add_co_i32 s9, s9, s10
	s_delay_alu instid0(VALU_DEP_2) | instskip(SKIP_4) | instid1(VALU_DEP_4)
	v_cndmask_b32_e64 v20, v1, 0x1000, vcc_lo
	v_cndmask_b32_e64 v1, 0xffffffe0, -16, s1
	v_cmp_lt_u32_e64 s0, 31, v0
	v_dual_lshlrev_b32 v21, 3, v8 :: v_dual_lshlrev_b32 v11, 7, v9
	v_bitop3_b32 v6, v0, 0xf0, v0 bitop3:0xc
	v_cndmask_b32_e64 v1, v1, 0, vcc_lo
	s_wait_kmcnt 0x0
	s_ashr_i32 s51, s50, 31
	s_cmp_eq_u32 s8, 0
	v_lshl_or_b32 v22, v0, 3, 0x800
	s_cselect_b32 s49, ttmp9, s9
	v_dual_mov_b32 v1, 0 :: v_dual_add_nc_u32 v4, v0, v1
	s_lshl_b64 s[52:53], s[50:51], 4
	s_lshl_b32 s38, s49, 1
	s_add_nc_u64 s[8:9], s[52:53], 16
	s_delay_alu instid0(VALU_DEP_1)
	v_sub_nc_u32_e32 v7, 0xffffff10, v4
	v_sub_nc_u32_e32 v13, 0xffffff20, v4
	s_mul_u64 s[10:11], s[8:9], s[38:39]
	s_and_b32 s12, s38, 6
	s_bfe_u32 s38, s49, 0x1d0002
	v_lshl_add_u32 v24, v7, 3, v20
	v_sub_nc_u32_e32 v7, 0xffffff30, v4
	v_lshl_add_u32 v25, v13, 3, v20
	v_sub_nc_u32_e32 v13, 0xffffff40, v4
	s_lshl_b64 s[6:7], s[6:7], 3
	s_lshl_b64 s[84:85], s[44:45], 3
	v_lshl_add_u32 v26, v7, 3, v20
	v_sub_nc_u32_e32 v7, 0xffffff50, v4
	v_lshl_add_u32 v27, v13, 3, v20
	v_sub_nc_u32_e32 v13, 0xffffff60, v4
	s_lshl_b64 s[10:11], s[10:11], 3
	s_lshl_b64 s[86:87], s[38:39], 17
	v_lshl_add_u32 v28, v7, 3, v20
	v_sub_nc_u32_e32 v7, 0xffffff70, v4
	v_lshl_add_u32 v29, v13, 3, v20
	v_sub_nc_u32_e32 v13, 0xffffff80, v4
	s_cmp_lg_u32 s2, 0x7a
	s_mul_i32 s38, s12, 0x4080
	v_lshl_add_u32 v30, v7, 3, v20
	v_sub_nc_u32_e32 v7, 0xffffff90, v4
	v_lshl_add_u32 v31, v13, 3, v20
	v_sub_nc_u32_e32 v13, 0xffffffa0, v4
	s_cselect_b32 s95, -1, 0
	s_lshl_b64 s[56:57], s[50:51], 7
	v_lshl_add_u32 v32, v7, 3, v20
	v_sub_nc_u32_e32 v7, 0xffffffb0, v4
	v_lshl_add_u32 v33, v13, 3, v20
	v_sub_nc_u32_e32 v13, 0xffffffc0, v4
	s_lshl_b64 s[72:73], s[50:51], 6
	s_lshl_b64 s[80:81], s[50:51], 5
	v_lshl_add_u32 v34, v7, 3, v20
	v_sub_nc_u32_e32 v7, 0xffffffd0, v4
	v_lshl_add_u32 v35, v13, 3, v20
	v_sub_nc_u32_e32 v13, 0xffffffe0, v4
	s_add_nc_u64 s[12:13], s[42:43], s[86:87]
	v_cmp_gt_u32_e64 s2, 48, v0
	v_lshl_add_u32 v36, v7, 3, v20
	v_mul_i32_i24_e32 v7, 0x88, v4
	v_lshl_add_u32 v37, v13, 3, v20
	v_dual_lshlrev_b32 v13, 7, v4 :: v_dual_add_nc_u32 v45, 1, v9
	s_cmp_lg_u32 s3, 0x84
	v_cmp_gt_u32_e64 s3, 0x100, v0
	v_bitop3_b32 v0, v0, 15, v0 bitop3:0xc
	v_cndmask_b32_e64 v12, 0x810, 0, vcc_lo
	v_mad_i32_i24 v41, 0x88, v4, v20
	v_sub_nc_u32_e32 v7, v7, v13
	s_add_nc_u64 s[4:5], s[4:5], s[10:11]
	s_add_nc_u64 s[10:11], s[12:13], s[38:39]
	s_cselect_b32 s96, -1, 0
	s_and_b32 s38, s49, 3
	v_dual_lshlrev_b32 v23, 3, v4 :: v_dual_sub_nc_u32 v14, -16, v4
	s_mul_u64 s[88:89], s[38:39], 0x8100
	v_sub_nc_u32_e32 v42, v41, v13
	v_add3_u32 v43, v7, v20, 0x80
	v_lshl_or_b32 v46, v6, 3, 0x1878
	v_dual_lshlrev_b32 v6, 3, v0 :: v_dual_bitop2_b32 v47, v11, v21 bitop3:0x54
	v_dual_lshlrev_b32 v7, 7, v8 :: v_dual_add_nc_u32 v48, -1, v9
	v_lshlrev_b32_e32 v0, 3, v12
	s_or_b64 s[86:87], s[86:87], s[88:89]
	s_add_nc_u64 s[54:55], s[10:11], s[84:85]
	s_add_nc_u64 s[84:85], s[84:85], s[86:87]
	v_lshl_add_u32 v38, v14, 3, v20
	v_sub_nc_u32_e32 v14, v6, v7
	v_add_nc_u64_e32 v[6:7], s[84:85], v[0:1]
	v_dual_mov_b32 v5, v1 :: v_dual_bitop2_b32 v10, v11, v8 bitop3:0x54
	v_dual_sub_nc_u32 v39, v20, v23 :: v_dual_add_nc_u32 v40, v20, v23
	v_dual_lshlrev_b32 v13, 3, v9 :: v_dual_bitop2_b32 v44, 8, v20 bitop3:0x54
	s_delay_alu instid0(VALU_DEP_3) | instskip(SKIP_3) | instid1(VALU_DEP_3)
	v_lshl_add_u64 v[6:7], v[4:5], 3, v[6:7]
	v_dual_add_nc_u32 v50, -1, v8 :: v_dual_add_nc_u32 v53, 1, v8
	v_mov_b64_e32 v[8:9], 0x3f800000
	s_add_nc_u64 s[44:45], s[4:5], s[6:7]
	v_add_nc_u64_e32 v[6:7], s[42:43], v[6:7]
	v_cndmask_b32_e64 v3, s9, 0, vcc_lo
	v_cndmask_b32_e64 v2, s8, 0, vcc_lo
	v_cmp_gt_u32_e64 s4, 16, v4
	v_cmp_gt_u32_e64 s5, 15, v4
	v_cmp_gt_u32_e64 s6, 14, v4
	v_cmp_gt_u32_e64 s7, 13, v4
	v_cmp_gt_u32_e64 s8, 12, v4
	v_cmp_gt_u32_e64 s9, 11, v4
	v_cmp_gt_u32_e64 s10, 10, v4
	v_cmp_gt_u32_e64 s11, 9, v4
	v_cmp_gt_u32_e64 s12, 8, v4
	v_cmp_gt_u32_e64 s13, 7, v4
	v_cmp_gt_u32_e64 s14, 6, v4
	v_cmp_gt_u32_e64 s15, 5, v4
	v_cmp_gt_u32_e64 s16, 4, v4
	v_cmp_gt_u32_e64 s17, 3, v4
	v_cmp_gt_u32_e64 s18, 2, v4
	v_cmp_eq_u32_e64 s19, 0, v4
	v_cmp_ne_u32_e64 s20, 0, v4
	v_cmp_lt_u32_e64 s21, 1, v4
	v_cmp_lt_u32_e64 s22, 2, v4
	;; [unrolled: 1-line block ×14, first 2 shown]
	v_cmp_gt_i32_e64 s36, 16, v4
	v_cmp_lt_i32_e64 s37, -1, v4
	v_or3_b32 v49, v11, v13, 0x1000
	v_or_b32_e32 v51, 0x800, v47
	v_add_nc_u32_e32 v52, 0x1780, v14
	v_or_b32_e32 v54, 0x800, v11
	v_or_b32_e32 v55, 0x1800, v21
	v_add_nc_u32_e32 v56, 0x78, v39
	v_dual_add_nc_u32 v57, 1, v4 :: v_dual_lshlrev_b32 v0, 3, v10
	v_lshlrev_b32_e32 v10, 3, v12
	s_lshl_b64 s[82:83], s[50:51], 3
	s_mul_u64 s[58:59], s[50:51], 0x78
	s_mul_u64 s[60:61], s[50:51], 0x70
	;; [unrolled: 1-line block ×11, first 2 shown]
	s_sub_nc_u64 s[84:85], 0, s[82:83]
	s_lshl_b64 s[86:87], s[46:47], 3
	s_branch .LBB195_3
.LBB195_2:                              ;   in Loop: Header=BB195_3 Depth=1
	s_or_b32 exec_lo, exec_lo, s49
	s_add_co_i32 s48, s48, 0x10000
	s_delay_alu instid0(SALU_CYCLE_1)
	s_cmp_lt_u32 s48, s94
	s_cbranch_scc0 .LBB195_141
.LBB195_3:                              ; =>This Loop Header: Depth=1
                                        ;     Child Loop BB195_93 Depth 2
                                        ;       Child Loop BB195_98 Depth 3
                                        ;     Child Loop BB195_105 Depth 2
                                        ;     Child Loop BB195_111 Depth 2
	;; [unrolled: 1-line block ×6, first 2 shown]
	s_mov_b32 s49, s39
	s_delay_alu instid0(SALU_CYCLE_1) | instskip(NEXT) | instid1(SALU_CYCLE_1)
	s_mul_u64 s[88:89], s[40:41], s[48:49]
	s_lshl_b64 s[88:89], s[88:89], 3
	s_delay_alu instid0(SALU_CYCLE_1) | instskip(SKIP_1) | instid1(SALU_CYCLE_1)
	s_add_nc_u64 s[88:89], s[44:45], s[88:89]
	s_and_saveexec_b32 s38, s0
	s_xor_b32 s38, exec_lo, s38
	s_cbranch_execz .LBB195_10
; %bb.4:                                ;   in Loop: Header=BB195_3 Depth=1
	s_and_saveexec_b32 s90, s2
	s_cbranch_execz .LBB195_9
; %bb.5:                                ;   in Loop: Header=BB195_3 Depth=1
	s_and_not1_b32 vcc_lo, exec_lo, s95
	s_mov_b32 s91, -1
	s_cbranch_vccnz .LBB195_7
; %bb.6:                                ;   in Loop: Header=BB195_3 Depth=1
	s_add_nc_u64 s[92:93], s[88:89], s[56:57]
	s_mov_b32 s91, 0
	v_lshl_add_u64 v[12:13], v[4:5], 3, s[92:93]
	s_delay_alu instid0(VALU_DEP_1)
	v_add_nc_u64_e32 v[14:15], s[58:59], v[12:13]
	global_load_b64 v[16:17], v[14:15], off
	s_wait_xcnt 0x0
	v_add_nc_u64_e32 v[14:15], s[84:85], v[14:15]
	global_load_b64 v[18:19], v[14:15], off
	s_wait_xcnt 0x0
	v_add_nc_u64_e32 v[14:15], s[84:85], v[14:15]
	s_wait_loadcnt 0x0
	ds_store_2addr_b64 v23, v[18:19], v[16:17] offset0:224 offset1:240
	global_load_b64 v[16:17], v[14:15], off
	s_wait_xcnt 0x0
	v_add_nc_u64_e32 v[14:15], s[84:85], v[14:15]
	global_load_b64 v[18:19], v[14:15], off
	s_wait_xcnt 0x0
	v_add_nc_u64_e32 v[14:15], s[84:85], v[14:15]
	s_wait_loadcnt 0x0
	ds_store_2addr_b64 v23, v[18:19], v[16:17] offset0:192 offset1:208
	global_load_b64 v[16:17], v[14:15], off
	s_wait_xcnt 0x0
	v_add_nc_u64_e32 v[14:15], s[84:85], v[14:15]
	global_load_b64 v[18:19], v[14:15], off
	s_wait_xcnt 0x0
	v_add_nc_u64_e32 v[14:15], s[84:85], v[14:15]
	s_wait_loadcnt 0x0
	ds_store_2addr_b64 v23, v[18:19], v[16:17] offset0:160 offset1:176
	global_load_b64 v[16:17], v[14:15], off
	s_wait_xcnt 0x0
	v_add_nc_u64_e32 v[14:15], s[84:85], v[14:15]
	global_load_b64 v[18:19], v[14:15], off
	s_wait_xcnt 0x0
	v_add_nc_u64_e32 v[14:15], s[84:85], v[14:15]
	s_wait_loadcnt 0x0
	ds_store_2addr_b64 v23, v[18:19], v[16:17] offset0:128 offset1:144
	global_load_b64 v[16:17], v[14:15], off
	s_wait_xcnt 0x0
	v_add_nc_u64_e32 v[14:15], s[84:85], v[14:15]
	global_load_b64 v[18:19], v[14:15], off
	s_wait_xcnt 0x0
	v_add_nc_u64_e32 v[14:15], s[84:85], v[14:15]
	s_wait_loadcnt 0x0
	ds_store_2addr_b64 v23, v[18:19], v[16:17] offset0:96 offset1:112
	global_load_b64 v[16:17], v[14:15], off
	s_wait_xcnt 0x0
	v_add_nc_u64_e32 v[14:15], s[84:85], v[14:15]
	global_load_b64 v[18:19], v[14:15], off
	s_wait_xcnt 0x0
	v_add_nc_u64_e32 v[14:15], s[84:85], v[14:15]
	s_wait_loadcnt 0x0
	ds_store_2addr_b64 v23, v[18:19], v[16:17] offset0:64 offset1:80
	global_load_b64 v[16:17], v[14:15], off
	s_wait_xcnt 0x0
	v_add_nc_u64_e32 v[14:15], s[84:85], v[14:15]
	global_load_b64 v[18:19], v[14:15], off
	s_wait_xcnt 0x0
	v_add_nc_u64_e32 v[14:15], s[84:85], v[14:15]
	s_wait_loadcnt 0x0
	ds_store_2addr_b64 v23, v[18:19], v[16:17] offset0:32 offset1:48
	global_load_b64 v[14:15], v[14:15], off
	global_load_b64 v[12:13], v[12:13], off
	s_wait_loadcnt 0x0
	ds_store_2addr_b64 v23, v[12:13], v[14:15] offset1:16
.LBB195_7:                              ;   in Loop: Header=BB195_3 Depth=1
	s_and_not1_b32 vcc_lo, exec_lo, s91
	s_cbranch_vccnz .LBB195_9
; %bb.8:                                ;   in Loop: Header=BB195_3 Depth=1
	s_wait_xcnt 0x0
	v_lshl_add_u64 v[12:13], v[4:5], 3, s[88:89]
	global_load_b64 v[14:15], v[12:13], off offset:128
	s_wait_xcnt 0x0
	v_lshl_add_u64 v[12:13], s[50:51], 3, v[12:13]
	global_load_b64 v[16:17], v[12:13], off offset:128
	s_wait_xcnt 0x0
	v_add_nc_u64_e32 v[12:13], s[82:83], v[12:13]
	s_wait_loadcnt 0x0
	ds_store_2addr_b64 v23, v[14:15], v[16:17] offset1:16
	global_load_b64 v[14:15], v[12:13], off offset:128
	s_wait_xcnt 0x0
	v_add_nc_u64_e32 v[12:13], s[82:83], v[12:13]
	global_load_b64 v[16:17], v[12:13], off offset:128
	s_wait_xcnt 0x0
	v_add_nc_u64_e32 v[12:13], s[82:83], v[12:13]
	s_wait_loadcnt 0x0
	ds_store_2addr_b64 v23, v[14:15], v[16:17] offset0:32 offset1:48
	global_load_b64 v[14:15], v[12:13], off offset:128
	s_wait_xcnt 0x0
	v_add_nc_u64_e32 v[12:13], s[82:83], v[12:13]
	global_load_b64 v[16:17], v[12:13], off offset:128
	s_wait_xcnt 0x0
	v_add_nc_u64_e32 v[12:13], s[82:83], v[12:13]
	s_wait_loadcnt 0x0
	ds_store_2addr_b64 v23, v[14:15], v[16:17] offset0:64 offset1:80
	;; [unrolled: 8-line block ×6, first 2 shown]
	global_load_b64 v[14:15], v[12:13], off offset:128
	s_wait_xcnt 0x0
	v_add_nc_u64_e32 v[12:13], s[82:83], v[12:13]
	global_load_b64 v[12:13], v[12:13], off offset:128
	s_wait_loadcnt 0x0
	ds_store_2addr_b64 v23, v[14:15], v[12:13] offset0:224 offset1:240
.LBB195_9:                              ;   in Loop: Header=BB195_3 Depth=1
	s_wait_xcnt 0x0
	s_or_b32 exec_lo, exec_lo, s90
.LBB195_10:                             ;   in Loop: Header=BB195_3 Depth=1
	s_and_not1_saveexec_b32 s38, s38
	s_cbranch_execz .LBB195_77
; %bb.11:                               ;   in Loop: Header=BB195_3 Depth=1
	v_lshl_add_u64 v[12:13], v[2:3], 3, s[88:89]
	s_and_not1_b32 vcc_lo, exec_lo, s95
	s_mov_b32 s88, -1
	s_delay_alu instid0(VALU_DEP_1)
	v_lshl_add_u64 v[12:13], v[4:5], 3, v[12:13]
	s_cbranch_vccnz .LBB195_45
; %bb.12:                               ;   in Loop: Header=BB195_3 Depth=1
	v_dual_mov_b32 v14, 0 :: v_dual_mov_b32 v16, 0
	v_mov_b32_e32 v17, 0
	s_and_saveexec_b32 s88, s4
	s_cbranch_execz .LBB195_14
; %bb.13:                               ;   in Loop: Header=BB195_3 Depth=1
	v_add_nc_u64_e32 v[16:17], s[58:59], v[12:13]
	global_load_b64 v[16:17], v[16:17], off
.LBB195_14:                             ;   in Loop: Header=BB195_3 Depth=1
	s_wait_xcnt 0x0
	s_or_b32 exec_lo, exec_lo, s88
	v_mov_b32_e32 v15, 0
	s_wait_loadcnt 0x0
	ds_store_b64 v24, v[16:17] offset:2040
	s_and_saveexec_b32 s88, s5
	s_cbranch_execz .LBB195_16
; %bb.15:                               ;   in Loop: Header=BB195_3 Depth=1
	v_add_nc_u64_e32 v[14:15], s[60:61], v[12:13]
	global_load_b64 v[14:15], v[14:15], off
.LBB195_16:                             ;   in Loop: Header=BB195_3 Depth=1
	s_wait_xcnt 0x0
	s_or_b32 exec_lo, exec_lo, s88
	v_dual_mov_b32 v16, 0 :: v_dual_mov_b32 v18, 0
	v_mov_b32_e32 v19, 0
	s_wait_loadcnt 0x0
	ds_store_b64 v25, v[14:15] offset:2040
	s_and_saveexec_b32 s88, s6
	s_cbranch_execz .LBB195_18
; %bb.17:                               ;   in Loop: Header=BB195_3 Depth=1
	v_add_nc_u64_e32 v[14:15], s[62:63], v[12:13]
	global_load_b64 v[18:19], v[14:15], off
.LBB195_18:                             ;   in Loop: Header=BB195_3 Depth=1
	s_wait_xcnt 0x0
	s_or_b32 exec_lo, exec_lo, s88
	v_mov_b32_e32 v17, 0
	s_wait_loadcnt 0x0
	ds_store_b64 v26, v[18:19] offset:2040
	s_and_saveexec_b32 s88, s7
	s_cbranch_execz .LBB195_20
; %bb.19:                               ;   in Loop: Header=BB195_3 Depth=1
	v_add_nc_u64_e32 v[14:15], s[64:65], v[12:13]
	global_load_b64 v[16:17], v[14:15], off
.LBB195_20:                             ;   in Loop: Header=BB195_3 Depth=1
	s_wait_xcnt 0x0
	s_or_b32 exec_lo, exec_lo, s88
	v_dual_mov_b32 v14, 0 :: v_dual_mov_b32 v18, 0
	v_mov_b32_e32 v19, 0
	s_wait_loadcnt 0x0
	ds_store_b64 v27, v[16:17] offset:2040
	s_and_saveexec_b32 s88, s8
	s_cbranch_execz .LBB195_22
; %bb.21:                               ;   in Loop: Header=BB195_3 Depth=1
	v_add_nc_u64_e32 v[16:17], s[66:67], v[12:13]
	global_load_b64 v[18:19], v[16:17], off
.LBB195_22:                             ;   in Loop: Header=BB195_3 Depth=1
	s_wait_xcnt 0x0
	s_or_b32 exec_lo, exec_lo, s88
	v_mov_b32_e32 v15, 0
	s_wait_loadcnt 0x0
	ds_store_b64 v28, v[18:19] offset:2040
	s_and_saveexec_b32 s88, s9
	s_cbranch_execz .LBB195_24
; %bb.23:                               ;   in Loop: Header=BB195_3 Depth=1
	v_add_nc_u64_e32 v[14:15], s[68:69], v[12:13]
	global_load_b64 v[14:15], v[14:15], off
.LBB195_24:                             ;   in Loop: Header=BB195_3 Depth=1
	s_wait_xcnt 0x0
	s_or_b32 exec_lo, exec_lo, s88
	v_dual_mov_b32 v16, 0 :: v_dual_mov_b32 v18, 0
	v_mov_b32_e32 v19, 0
	s_wait_loadcnt 0x0
	ds_store_b64 v29, v[14:15] offset:2040
	s_and_saveexec_b32 s88, s10
	s_cbranch_execz .LBB195_26
; %bb.25:                               ;   in Loop: Header=BB195_3 Depth=1
	v_add_nc_u64_e32 v[14:15], s[70:71], v[12:13]
	global_load_b64 v[18:19], v[14:15], off
.LBB195_26:                             ;   in Loop: Header=BB195_3 Depth=1
	s_wait_xcnt 0x0
	s_or_b32 exec_lo, exec_lo, s88
	v_mov_b32_e32 v17, 0
	s_wait_loadcnt 0x0
	ds_store_b64 v30, v[18:19] offset:2040
	s_and_saveexec_b32 s88, s11
	s_cbranch_execz .LBB195_28
; %bb.27:                               ;   in Loop: Header=BB195_3 Depth=1
	v_add_nc_u64_e32 v[14:15], s[72:73], v[12:13]
	global_load_b64 v[16:17], v[14:15], off
.LBB195_28:                             ;   in Loop: Header=BB195_3 Depth=1
	s_wait_xcnt 0x0
	s_or_b32 exec_lo, exec_lo, s88
	v_dual_mov_b32 v14, 0 :: v_dual_mov_b32 v18, 0
	v_mov_b32_e32 v19, 0
	s_wait_loadcnt 0x0
	ds_store_b64 v31, v[16:17] offset:2040
	s_and_saveexec_b32 s88, s12
	s_cbranch_execz .LBB195_30
; %bb.29:                               ;   in Loop: Header=BB195_3 Depth=1
	v_add_nc_u64_e32 v[16:17], s[74:75], v[12:13]
	global_load_b64 v[18:19], v[16:17], off
.LBB195_30:                             ;   in Loop: Header=BB195_3 Depth=1
	s_wait_xcnt 0x0
	s_or_b32 exec_lo, exec_lo, s88
	v_mov_b32_e32 v15, 0
	s_wait_loadcnt 0x0
	ds_store_b64 v32, v[18:19] offset:2040
	s_and_saveexec_b32 s88, s13
	s_cbranch_execz .LBB195_32
; %bb.31:                               ;   in Loop: Header=BB195_3 Depth=1
	v_add_nc_u64_e32 v[14:15], s[76:77], v[12:13]
	global_load_b64 v[14:15], v[14:15], off
.LBB195_32:                             ;   in Loop: Header=BB195_3 Depth=1
	s_wait_xcnt 0x0
	s_or_b32 exec_lo, exec_lo, s88
	v_dual_mov_b32 v16, 0 :: v_dual_mov_b32 v18, 0
	v_mov_b32_e32 v19, 0
	s_wait_loadcnt 0x0
	ds_store_b64 v33, v[14:15] offset:2040
	s_and_saveexec_b32 s88, s14
	s_cbranch_execz .LBB195_34
; %bb.33:                               ;   in Loop: Header=BB195_3 Depth=1
	v_add_nc_u64_e32 v[14:15], s[78:79], v[12:13]
	global_load_b64 v[18:19], v[14:15], off
.LBB195_34:                             ;   in Loop: Header=BB195_3 Depth=1
	s_wait_xcnt 0x0
	s_or_b32 exec_lo, exec_lo, s88
	v_mov_b32_e32 v17, 0
	s_wait_loadcnt 0x0
	ds_store_b64 v34, v[18:19] offset:2040
	s_and_saveexec_b32 s88, s15
	s_cbranch_execz .LBB195_36
; %bb.35:                               ;   in Loop: Header=BB195_3 Depth=1
	v_add_nc_u64_e32 v[14:15], s[80:81], v[12:13]
	global_load_b64 v[16:17], v[14:15], off
.LBB195_36:                             ;   in Loop: Header=BB195_3 Depth=1
	s_wait_xcnt 0x0
	s_or_b32 exec_lo, exec_lo, s88
	v_dual_mov_b32 v14, 0 :: v_dual_mov_b32 v18, 0
	v_mov_b32_e32 v19, 0
	s_wait_loadcnt 0x0
	ds_store_b64 v35, v[16:17] offset:2040
	s_and_saveexec_b32 s88, s16
	s_cbranch_execz .LBB195_38
; %bb.37:                               ;   in Loop: Header=BB195_3 Depth=1
	v_add_nc_u64_e32 v[16:17], s[42:43], v[12:13]
	global_load_b64 v[18:19], v[16:17], off
.LBB195_38:                             ;   in Loop: Header=BB195_3 Depth=1
	s_wait_xcnt 0x0
	s_or_b32 exec_lo, exec_lo, s88
	v_mov_b32_e32 v15, 0
	s_wait_loadcnt 0x0
	ds_store_b64 v36, v[18:19] offset:2040
	s_and_saveexec_b32 s88, s17
	s_cbranch_execz .LBB195_40
; %bb.39:                               ;   in Loop: Header=BB195_3 Depth=1
	v_add_nc_u64_e32 v[14:15], s[52:53], v[12:13]
	global_load_b64 v[14:15], v[14:15], off
.LBB195_40:                             ;   in Loop: Header=BB195_3 Depth=1
	s_wait_xcnt 0x0
	s_or_b32 exec_lo, exec_lo, s88
	v_dual_mov_b32 v16, 0 :: v_dual_mov_b32 v18, 0
	v_mov_b32_e32 v19, 0
	s_wait_loadcnt 0x0
	ds_store_b64 v37, v[14:15] offset:2040
	s_and_saveexec_b32 s88, s18
	s_cbranch_execz .LBB195_42
; %bb.41:                               ;   in Loop: Header=BB195_3 Depth=1
	v_lshl_add_u64 v[14:15], s[50:51], 3, v[12:13]
	global_load_b64 v[18:19], v[14:15], off
.LBB195_42:                             ;   in Loop: Header=BB195_3 Depth=1
	s_wait_xcnt 0x0
	s_or_b32 exec_lo, exec_lo, s88
	v_mov_b32_e32 v17, 0
	s_wait_loadcnt 0x0
	ds_store_b64 v38, v[18:19] offset:2040
	s_and_saveexec_b32 s88, s19
	s_cbranch_execz .LBB195_44
; %bb.43:                               ;   in Loop: Header=BB195_3 Depth=1
	global_load_b64 v[16:17], v[12:13], off
.LBB195_44:                             ;   in Loop: Header=BB195_3 Depth=1
	s_wait_xcnt 0x0
	s_or_b32 exec_lo, exec_lo, s88
	s_mov_b32 s88, 0
	s_wait_loadcnt 0x0
	ds_store_b64 v39, v[16:17] offset:2040
.LBB195_45:                             ;   in Loop: Header=BB195_3 Depth=1
	s_and_b32 vcc_lo, exec_lo, s88
	s_cbranch_vccz .LBB195_77
; %bb.46:                               ;   in Loop: Header=BB195_3 Depth=1
	global_load_b64 v[18:19], v[12:13], off
	v_dual_mov_b32 v14, 0 :: v_dual_mov_b32 v16, 0
	v_mov_b32_e32 v17, 0
	s_wait_loadcnt 0x0
	ds_store_b64 v40, v[18:19]
	s_wait_xcnt 0x0
	s_and_saveexec_b32 s88, s20
	s_cbranch_execz .LBB195_48
; %bb.47:                               ;   in Loop: Header=BB195_3 Depth=1
	v_lshl_add_u64 v[16:17], s[50:51], 3, v[12:13]
	global_load_b64 v[16:17], v[16:17], off
.LBB195_48:                             ;   in Loop: Header=BB195_3 Depth=1
	s_wait_xcnt 0x0
	s_or_b32 exec_lo, exec_lo, s88
	v_mov_b32_e32 v15, 0
	s_wait_loadcnt 0x0
	ds_store_b64 v40, v[16:17] offset:128
	s_and_saveexec_b32 s88, s21
	s_cbranch_execz .LBB195_50
; %bb.49:                               ;   in Loop: Header=BB195_3 Depth=1
	v_add_nc_u64_e32 v[14:15], s[52:53], v[12:13]
	global_load_b64 v[14:15], v[14:15], off
.LBB195_50:                             ;   in Loop: Header=BB195_3 Depth=1
	s_wait_xcnt 0x0
	s_or_b32 exec_lo, exec_lo, s88
	v_dual_mov_b32 v16, 0 :: v_dual_mov_b32 v18, 0
	v_mov_b32_e32 v19, 0
	s_wait_loadcnt 0x0
	ds_store_b64 v40, v[14:15] offset:256
	s_and_saveexec_b32 s88, s22
	s_cbranch_execz .LBB195_52
; %bb.51:                               ;   in Loop: Header=BB195_3 Depth=1
	v_add_nc_u64_e32 v[14:15], s[42:43], v[12:13]
	global_load_b64 v[18:19], v[14:15], off
.LBB195_52:                             ;   in Loop: Header=BB195_3 Depth=1
	s_wait_xcnt 0x0
	s_or_b32 exec_lo, exec_lo, s88
	v_mov_b32_e32 v17, 0
	s_wait_loadcnt 0x0
	ds_store_b64 v40, v[18:19] offset:384
	s_and_saveexec_b32 s88, s23
	s_cbranch_execz .LBB195_54
; %bb.53:                               ;   in Loop: Header=BB195_3 Depth=1
	v_add_nc_u64_e32 v[14:15], s[80:81], v[12:13]
	global_load_b64 v[16:17], v[14:15], off
.LBB195_54:                             ;   in Loop: Header=BB195_3 Depth=1
	s_wait_xcnt 0x0
	s_or_b32 exec_lo, exec_lo, s88
	v_dual_mov_b32 v14, 0 :: v_dual_mov_b32 v18, 0
	v_mov_b32_e32 v19, 0
	s_wait_loadcnt 0x0
	ds_store_b64 v40, v[16:17] offset:512
	s_and_saveexec_b32 s88, s24
	s_cbranch_execz .LBB195_56
; %bb.55:                               ;   in Loop: Header=BB195_3 Depth=1
	v_add_nc_u64_e32 v[16:17], s[78:79], v[12:13]
	global_load_b64 v[18:19], v[16:17], off
.LBB195_56:                             ;   in Loop: Header=BB195_3 Depth=1
	;; [unrolled: 23-line block ×6, first 2 shown]
	s_wait_xcnt 0x0
	s_or_b32 exec_lo, exec_lo, s88
	v_mov_b32_e32 v15, 0
	s_wait_loadcnt 0x0
	ds_store_b64 v40, v[18:19] offset:1664
	s_and_saveexec_b32 s88, s34
	s_cbranch_execz .LBB195_74
; %bb.73:                               ;   in Loop: Header=BB195_3 Depth=1
	v_add_nc_u64_e32 v[14:15], s[60:61], v[12:13]
	global_load_b64 v[14:15], v[14:15], off
.LBB195_74:                             ;   in Loop: Header=BB195_3 Depth=1
	s_wait_xcnt 0x0
	s_or_b32 exec_lo, exec_lo, s88
	v_dual_mov_b32 v16, 0 :: v_dual_mov_b32 v17, 0
	s_wait_loadcnt 0x0
	ds_store_b64 v40, v[14:15] offset:1792
	s_and_saveexec_b32 s88, s35
	s_cbranch_execz .LBB195_76
; %bb.75:                               ;   in Loop: Header=BB195_3 Depth=1
	v_add_nc_u64_e32 v[12:13], s[58:59], v[12:13]
	global_load_b64 v[16:17], v[12:13], off
.LBB195_76:                             ;   in Loop: Header=BB195_3 Depth=1
	s_wait_xcnt 0x0
	s_or_b32 exec_lo, exec_lo, s88
	s_wait_loadcnt 0x0
	ds_store_b64 v40, v[16:17] offset:1920
.LBB195_77:                             ;   in Loop: Header=BB195_3 Depth=1
	s_or_b32 exec_lo, exec_lo, s38
	s_wait_dscnt 0x0
	s_barrier_signal -1
	s_barrier_wait -1
	s_and_saveexec_b32 s88, s1
	s_cbranch_execz .LBB195_90
; %bb.78:                               ;   in Loop: Header=BB195_3 Depth=1
	s_and_b32 vcc_lo, exec_lo, s96
	s_mov_b32 s38, -1
	s_cbranch_vccz .LBB195_88
; %bb.79:                               ;   in Loop: Header=BB195_3 Depth=1
	ds_load_b64 v[12:13], v41
	s_wait_dscnt 0x0
	v_cmp_neq_f32_e32 vcc_lo, 0, v12
	v_cmp_neq_f32_e64 s38, 0, v13
	s_or_b32 s38, vcc_lo, s38
	s_delay_alu instid0(SALU_CYCLE_1) | instskip(NEXT) | instid1(SALU_CYCLE_1)
	s_and_saveexec_b32 s89, s38
	s_xor_b32 s38, exec_lo, s89
	s_cbranch_execz .LBB195_85
; %bb.80:                               ;   in Loop: Header=BB195_3 Depth=1
	v_cmp_ngt_f32_e64 s89, |v12|, |v13|
                                        ; implicit-def: $vgpr14_vgpr15
	s_and_saveexec_b32 s90, s89
	s_delay_alu instid0(SALU_CYCLE_1)
	s_xor_b32 s89, exec_lo, s90
	s_cbranch_execz .LBB195_82
; %bb.81:                               ;   in Loop: Header=BB195_3 Depth=1
	v_div_scale_f32 v11, null, v13, v13, v12
	v_div_scale_f32 v16, vcc_lo, v12, v13, v12
	s_delay_alu instid0(VALU_DEP_2) | instskip(SKIP_1) | instid1(TRANS32_DEP_1)
	v_rcp_f32_e32 v14, v11
	v_nop
	v_fma_f32 v15, -v11, v14, 1.0
	s_delay_alu instid0(VALU_DEP_1) | instskip(NEXT) | instid1(VALU_DEP_1)
	v_fmac_f32_e32 v14, v15, v14
	v_mul_f32_e32 v15, v16, v14
	s_delay_alu instid0(VALU_DEP_1) | instskip(NEXT) | instid1(VALU_DEP_1)
	v_fma_f32 v17, -v11, v15, v16
	v_fmac_f32_e32 v15, v17, v14
	s_delay_alu instid0(VALU_DEP_1) | instskip(NEXT) | instid1(VALU_DEP_1)
	v_fma_f32 v11, -v11, v15, v16
	v_div_fmas_f32 v11, v11, v14, v15
	s_delay_alu instid0(VALU_DEP_1) | instskip(NEXT) | instid1(VALU_DEP_1)
	v_div_fixup_f32 v11, v11, v13, v12
	v_fmac_f32_e32 v13, v12, v11
	s_delay_alu instid0(VALU_DEP_1) | instskip(SKIP_1) | instid1(VALU_DEP_2)
	v_div_scale_f32 v12, null, v13, v13, 1.0
	v_div_scale_f32 v16, vcc_lo, 1.0, v13, 1.0
	v_rcp_f32_e32 v14, v12
	v_nop
	s_delay_alu instid0(TRANS32_DEP_1) | instskip(NEXT) | instid1(VALU_DEP_1)
	v_fma_f32 v15, -v12, v14, 1.0
	v_fmac_f32_e32 v14, v15, v14
	s_delay_alu instid0(VALU_DEP_1) | instskip(NEXT) | instid1(VALU_DEP_1)
	v_mul_f32_e32 v15, v16, v14
	v_fma_f32 v17, -v12, v15, v16
	s_delay_alu instid0(VALU_DEP_1) | instskip(NEXT) | instid1(VALU_DEP_1)
	v_fmac_f32_e32 v15, v17, v14
	v_fma_f32 v12, -v12, v15, v16
	s_delay_alu instid0(VALU_DEP_1) | instskip(NEXT) | instid1(VALU_DEP_1)
	v_div_fmas_f32 v12, v12, v14, v15
	v_div_fixup_f32 v12, v12, v13, 1.0
	s_delay_alu instid0(VALU_DEP_1)
	v_mul_f32_e32 v14, v11, v12
	v_xor_b32_e32 v15, 0x80000000, v12
                                        ; implicit-def: $vgpr12_vgpr13
.LBB195_82:                             ;   in Loop: Header=BB195_3 Depth=1
	s_and_not1_saveexec_b32 s89, s89
	s_cbranch_execz .LBB195_84
; %bb.83:                               ;   in Loop: Header=BB195_3 Depth=1
	v_div_scale_f32 v11, null, v12, v12, v13
	v_div_scale_f32 v16, vcc_lo, v13, v12, v13
	s_delay_alu instid0(VALU_DEP_2) | instskip(SKIP_1) | instid1(TRANS32_DEP_1)
	v_rcp_f32_e32 v14, v11
	v_nop
	v_fma_f32 v15, -v11, v14, 1.0
	s_delay_alu instid0(VALU_DEP_1) | instskip(NEXT) | instid1(VALU_DEP_1)
	v_fmac_f32_e32 v14, v15, v14
	v_mul_f32_e32 v15, v16, v14
	s_delay_alu instid0(VALU_DEP_1) | instskip(NEXT) | instid1(VALU_DEP_1)
	v_fma_f32 v17, -v11, v15, v16
	v_fmac_f32_e32 v15, v17, v14
	s_delay_alu instid0(VALU_DEP_1) | instskip(NEXT) | instid1(VALU_DEP_1)
	v_fma_f32 v11, -v11, v15, v16
	v_div_fmas_f32 v11, v11, v14, v15
	s_delay_alu instid0(VALU_DEP_1) | instskip(NEXT) | instid1(VALU_DEP_1)
	v_div_fixup_f32 v11, v11, v12, v13
	v_fmac_f32_e32 v12, v13, v11
	s_delay_alu instid0(VALU_DEP_1) | instskip(NEXT) | instid1(VALU_DEP_1)
	v_div_scale_f32 v13, null, v12, v12, 1.0
	v_rcp_f32_e32 v14, v13
	v_nop
	s_delay_alu instid0(TRANS32_DEP_1) | instskip(NEXT) | instid1(VALU_DEP_1)
	v_fma_f32 v15, -v13, v14, 1.0
	v_fmac_f32_e32 v14, v15, v14
	v_div_scale_f32 v15, vcc_lo, 1.0, v12, 1.0
	s_delay_alu instid0(VALU_DEP_1) | instskip(NEXT) | instid1(VALU_DEP_1)
	v_mul_f32_e32 v16, v15, v14
	v_fma_f32 v17, -v13, v16, v15
	s_delay_alu instid0(VALU_DEP_1) | instskip(NEXT) | instid1(VALU_DEP_1)
	v_fmac_f32_e32 v16, v17, v14
	v_fma_f32 v13, -v13, v16, v15
	s_delay_alu instid0(VALU_DEP_1) | instskip(NEXT) | instid1(VALU_DEP_1)
	v_div_fmas_f32 v13, v13, v14, v16
	v_div_fixup_f32 v14, v13, v12, 1.0
	s_delay_alu instid0(VALU_DEP_1)
	v_mul_f32_e64 v15, v11, -v14
.LBB195_84:                             ;   in Loop: Header=BB195_3 Depth=1
	s_or_b32 exec_lo, exec_lo, s89
	ds_store_b64 v41, v[14:15]
.LBB195_85:                             ;   in Loop: Header=BB195_3 Depth=1
	s_and_not1_saveexec_b32 s38, s38
; %bb.86:                               ;   in Loop: Header=BB195_3 Depth=1
	ds_store_b64 v41, v[8:9]
; %bb.87:                               ;   in Loop: Header=BB195_3 Depth=1
	s_or_b32 exec_lo, exec_lo, s38
	s_mov_b32 s38, 0
.LBB195_88:                             ;   in Loop: Header=BB195_3 Depth=1
	s_delay_alu instid0(SALU_CYCLE_1)
	s_and_not1_b32 vcc_lo, exec_lo, s38
	s_cbranch_vccnz .LBB195_90
; %bb.89:                               ;   in Loop: Header=BB195_3 Depth=1
	ds_store_b64 v41, v[8:9]
.LBB195_90:                             ;   in Loop: Header=BB195_3 Depth=1
	s_or_b32 exec_lo, exec_lo, s88
	s_wait_dscnt 0x0
	s_barrier_signal -1
	s_barrier_wait -1
	s_and_saveexec_b32 s38, s1
	s_cbranch_execz .LBB195_102
; %bb.91:                               ;   in Loop: Header=BB195_3 Depth=1
	v_dual_mov_b32 v11, v44 :: v_dual_mov_b32 v13, v43
	s_mov_b32 s88, 0
	s_branch .LBB195_93
.LBB195_92:                             ;   in Loop: Header=BB195_93 Depth=2
	v_add_nc_u32_e32 v13, 0x80, v13
	v_add_nc_u32_e32 v11, 0x88, v11
	s_cmp_eq_u32 s88, 16
	s_cbranch_scc1 .LBB195_102
.LBB195_93:                             ;   Parent Loop BB195_3 Depth=1
                                        ; =>  This Loop Header: Depth=2
                                        ;       Child Loop BB195_98 Depth 3
	v_dual_mov_b32 v14, 0 :: v_dual_mov_b32 v12, 0
	s_mov_b32 s89, s88
	s_mov_b32 s88, exec_lo
	v_cmpx_lt_i32_e64 s89, v4
	s_cbranch_execz .LBB195_95
; %bb.94:                               ;   in Loop: Header=BB195_93 Depth=2
	v_mad_u32 v12, 0x88, s89, v20
	v_lshl_add_u32 v14, s89, 7, v42
	ds_load_b64 v[14:15], v14
	ds_load_b64 v[16:17], v12
	s_wait_dscnt 0x0
	v_dual_mul_f32 v12, v17, v15 :: v_dual_mul_f32 v15, v16, v15
	s_delay_alu instid0(VALU_DEP_1) | instskip(NEXT) | instid1(VALU_DEP_1)
	v_dual_fma_f32 v12, v16, v14, -v12 :: v_dual_fmac_f32 v15, v17, v14
	v_dual_add_f32 v14, 0, v12 :: v_dual_add_f32 v12, 0, v15
.LBB195_95:                             ;   in Loop: Header=BB195_93 Depth=2
	s_or_b32 exec_lo, exec_lo, s88
	s_add_co_i32 s88, s89, 1
	s_cmp_gt_u32 s89, 14
	s_cbranch_scc1 .LBB195_92
; %bb.96:                               ;   in Loop: Header=BB195_93 Depth=2
	v_dual_mov_b32 v15, v11 :: v_dual_mov_b32 v16, v13
	s_lshl_b32 s89, s89, 7
	s_mov_b32 s90, s88
	s_branch .LBB195_98
.LBB195_97:                             ;   in Loop: Header=BB195_98 Depth=3
	s_or_b32 exec_lo, exec_lo, s91
	v_add_nc_u32_e32 v16, 0x80, v16
	v_add_nc_u32_e32 v15, 8, v15
	s_add_co_i32 s90, s90, 1
	s_delay_alu instid0(SALU_CYCLE_1)
	s_cmp_eq_u32 s90, 16
	s_cbranch_scc1 .LBB195_92
.LBB195_98:                             ;   Parent Loop BB195_3 Depth=1
                                        ;     Parent Loop BB195_93 Depth=2
                                        ; =>    This Inner Loop Header: Depth=3
	s_mov_b32 s91, exec_lo
	v_cmpx_eq_u32_e64 s90, v4
	s_cbranch_execz .LBB195_100
; %bb.99:                               ;   in Loop: Header=BB195_98 Depth=3
	ds_load_b64 v[18:19], v41
	v_sub_f32_e32 v58, 0, v14
	v_add_nc_u32_e32 v17, s89, v42
	s_wait_dscnt 0x0
	v_pk_mul_f32 v[60:61], v[12:13], v[18:19] op_sel:[0,1] op_sel_hi:[0,0]
	s_delay_alu instid0(VALU_DEP_1) | instskip(SKIP_1) | instid1(VALU_DEP_2)
	v_pk_fma_f32 v[62:63], v[58:59], v[18:19], v[60:61] op_sel_hi:[0,1,1] neg_lo:[0,0,1] neg_hi:[0,0,1]
	v_pk_fma_f32 v[18:19], v[58:59], v[18:19], v[60:61]
	v_mov_b32_e32 v19, v63
	ds_store_b64 v17, v[18:19]
.LBB195_100:                            ;   in Loop: Header=BB195_98 Depth=3
	s_or_b32 exec_lo, exec_lo, s91
	s_delay_alu instid0(SALU_CYCLE_1)
	s_mov_b32 s91, exec_lo
	v_cmpx_lt_i32_e64 s90, v4
	s_cbranch_execz .LBB195_97
; %bb.101:                              ;   in Loop: Header=BB195_98 Depth=3
	ds_load_b64 v[18:19], v16
	ds_load_b64 v[58:59], v15
	s_wait_dscnt 0x0
	v_dual_mul_f32 v17, v59, v19 :: v_dual_mul_f32 v19, v58, v19
	s_delay_alu instid0(VALU_DEP_1) | instskip(NEXT) | instid1(VALU_DEP_1)
	v_dual_fma_f32 v17, v58, v18, -v17 :: v_dual_fmac_f32 v19, v59, v18
	v_dual_add_f32 v14, v14, v17 :: v_dual_add_f32 v12, v12, v19
	s_branch .LBB195_97
.LBB195_102:                            ;   in Loop: Header=BB195_3 Depth=1
	s_or_b32 exec_lo, exec_lo, s38
	s_delay_alu instid0(SALU_CYCLE_1)
	s_and_b32 vcc_lo, exec_lo, s95
	s_wait_dscnt 0x0
	s_barrier_signal -1
	s_barrier_wait -1
	s_cbranch_vccz .LBB195_107
; %bb.103:                              ;   in Loop: Header=BB195_3 Depth=1
	s_mov_b32 s88, 0
	s_mov_b32 s38, 0
                                        ; implicit-def: $vgpr12_vgpr13
	s_and_saveexec_b32 s89, s3
	s_cbranch_execz .LBB195_108
; %bb.104:                              ;   in Loop: Header=BB195_3 Depth=1
	v_dual_mov_b32 v12, 0 :: v_dual_mov_b32 v11, v21
	v_dual_mov_b32 v14, v46 :: v_dual_mov_b32 v15, v45
	s_delay_alu instid0(VALU_DEP_2)
	v_mov_b32_e32 v13, v12
.LBB195_105:                            ;   Parent Loop BB195_3 Depth=1
                                        ; =>  This Inner Loop Header: Depth=2
	ds_load_b64 v[16:17], v11
	ds_load_b64 v[18:19], v14
	v_add_nc_u32_e32 v14, -8, v14
	v_add_nc_u32_e32 v11, 0x80, v11
	s_wait_dscnt 0x0
	v_pk_mul_f32 v[58:59], v[18:19], v[16:17] op_sel:[1,1] op_sel_hi:[0,1]
	s_delay_alu instid0(VALU_DEP_1) | instskip(SKIP_2) | instid1(VALU_DEP_3)
	v_pk_fma_f32 v[60:61], v[18:19], v[16:17], v[58:59] op_sel_hi:[1,0,1]
	v_add_nc_u32_e32 v15, -1, v15
	v_pk_fma_f32 v[16:17], v[18:19], v[16:17], v[58:59] neg_lo:[0,0,1] neg_hi:[0,0,1]
	v_mov_b32_e32 v17, v61
	s_delay_alu instid0(VALU_DEP_3) | instskip(NEXT) | instid1(VALU_DEP_2)
	v_cmp_eq_u32_e32 vcc_lo, 0, v15
	v_pk_add_f32 v[12:13], v[12:13], v[16:17]
	s_or_b32 s38, vcc_lo, s38
	s_delay_alu instid0(SALU_CYCLE_1)
	s_and_not1_b32 exec_lo, exec_lo, s38
	s_cbranch_execnz .LBB195_105
; %bb.106:                              ;   in Loop: Header=BB195_3 Depth=1
	s_or_b32 exec_lo, exec_lo, s38
	s_delay_alu instid0(SALU_CYCLE_1) | instskip(SKIP_1) | instid1(SALU_CYCLE_1)
	s_mov_b32 s38, exec_lo
	s_or_b32 exec_lo, exec_lo, s89
	s_and_b32 vcc_lo, exec_lo, s88
	s_cbranch_vccnz .LBB195_109
	s_branch .LBB195_114
.LBB195_107:                            ;   in Loop: Header=BB195_3 Depth=1
	s_mov_b32 s38, 0
                                        ; implicit-def: $vgpr12_vgpr13
	s_cbranch_execnz .LBB195_109
	s_branch .LBB195_114
.LBB195_108:                            ;   in Loop: Header=BB195_3 Depth=1
	s_or_b32 exec_lo, exec_lo, s89
	s_delay_alu instid0(SALU_CYCLE_1)
	s_and_b32 vcc_lo, exec_lo, s88
	s_cbranch_vccz .LBB195_114
.LBB195_109:                            ;   in Loop: Header=BB195_3 Depth=1
                                        ; implicit-def: $vgpr12_vgpr13
	s_and_saveexec_b32 s88, s3
	s_cbranch_execz .LBB195_113
; %bb.110:                              ;   in Loop: Header=BB195_3 Depth=1
	v_dual_mov_b32 v12, 0 :: v_dual_mov_b32 v11, v47
	v_dual_mov_b32 v14, v49 :: v_dual_mov_b32 v15, v48
	s_mov_b32 s89, 0
	s_delay_alu instid0(VALU_DEP_2)
	v_mov_b32_e32 v13, v12
.LBB195_111:                            ;   Parent Loop BB195_3 Depth=1
                                        ; =>  This Inner Loop Header: Depth=2
	ds_load_b64 v[16:17], v11
	ds_load_b64 v[18:19], v14
	v_add_nc_u32_e32 v14, 8, v14
	v_add_nc_u32_e32 v11, 0x80, v11
	s_wait_dscnt 0x0
	v_pk_mul_f32 v[58:59], v[18:19], v[16:17] op_sel:[1,1] op_sel_hi:[0,1]
	s_delay_alu instid0(VALU_DEP_1) | instskip(SKIP_2) | instid1(VALU_DEP_3)
	v_pk_fma_f32 v[60:61], v[18:19], v[16:17], v[58:59] op_sel_hi:[1,0,1]
	v_add_nc_u32_e32 v15, 1, v15
	v_pk_fma_f32 v[16:17], v[18:19], v[16:17], v[58:59] neg_lo:[0,0,1] neg_hi:[0,0,1]
	v_mov_b32_e32 v17, v61
	s_delay_alu instid0(VALU_DEP_3) | instskip(NEXT) | instid1(VALU_DEP_2)
	v_cmp_lt_u32_e32 vcc_lo, 14, v15
	v_pk_add_f32 v[12:13], v[12:13], v[16:17]
	s_or_b32 s89, vcc_lo, s89
	s_delay_alu instid0(SALU_CYCLE_1)
	s_and_not1_b32 exec_lo, exec_lo, s89
	s_cbranch_execnz .LBB195_111
; %bb.112:                              ;   in Loop: Header=BB195_3 Depth=1
	s_or_b32 exec_lo, exec_lo, s89
	s_delay_alu instid0(SALU_CYCLE_1)
	s_or_b32 s38, s38, exec_lo
.LBB195_113:                            ;   in Loop: Header=BB195_3 Depth=1
	s_or_b32 exec_lo, exec_lo, s88
.LBB195_114:                            ;   in Loop: Header=BB195_3 Depth=1
	s_and_saveexec_b32 s88, s38
; %bb.115:                              ;   in Loop: Header=BB195_3 Depth=1
	ds_store_b64 v22, v[12:13]
; %bb.116:                              ;   in Loop: Header=BB195_3 Depth=1
	s_or_b32 exec_lo, exec_lo, s88
	s_delay_alu instid0(SALU_CYCLE_1)
	s_and_b32 vcc_lo, exec_lo, s95
	s_wait_dscnt 0x0
	s_barrier_signal -1
	s_barrier_wait -1
	s_cbranch_vccz .LBB195_121
; %bb.117:                              ;   in Loop: Header=BB195_3 Depth=1
	s_mov_b32 s88, 0
	s_mov_b32 s38, 0
                                        ; implicit-def: $vgpr12
	s_and_saveexec_b32 s89, s3
	s_cbranch_execz .LBB195_127
; %bb.118:                              ;   in Loop: Header=BB195_3 Depth=1
	v_dual_mov_b32 v12, 0 :: v_dual_mov_b32 v11, v52
	v_dual_mov_b32 v14, v51 :: v_dual_mov_b32 v15, v50
	s_delay_alu instid0(VALU_DEP_2)
	v_mov_b32_e32 v13, v12
.LBB195_119:                            ;   Parent Loop BB195_3 Depth=1
                                        ; =>  This Inner Loop Header: Depth=2
	ds_load_b64 v[16:17], v11
	ds_load_b64 v[18:19], v14
	v_dual_add_nc_u32 v15, 1, v15 :: v_dual_add_nc_u32 v14, 8, v14
	v_add_nc_u32_e32 v11, 0xffffff80, v11
	s_delay_alu instid0(VALU_DEP_2) | instskip(SKIP_3) | instid1(VALU_DEP_1)
	v_cmp_lt_u32_e32 vcc_lo, 14, v15
	s_or_b32 s38, vcc_lo, s38
	s_wait_dscnt 0x0
	v_pk_mul_f32 v[58:59], v[18:19], v[16:17] op_sel:[0,1] neg_lo:[0,1]
	v_pk_fma_f32 v[16:17], v[16:17], v[18:19], v[58:59] op_sel:[0,0,1] op_sel_hi:[0,1,0] neg_lo:[1,0,0] neg_hi:[1,0,0]
	s_delay_alu instid0(VALU_DEP_1)
	v_pk_add_f32 v[12:13], v[12:13], v[16:17]
	s_and_not1_b32 exec_lo, exec_lo, s38
	s_cbranch_execnz .LBB195_119
; %bb.120:                              ;   in Loop: Header=BB195_3 Depth=1
	s_or_b32 exec_lo, exec_lo, s38
	s_delay_alu instid0(SALU_CYCLE_1) | instskip(SKIP_1) | instid1(SALU_CYCLE_1)
	s_mov_b32 s38, exec_lo
	s_or_b32 exec_lo, exec_lo, s89
	s_and_b32 vcc_lo, exec_lo, s88
	s_cbranch_vccnz .LBB195_122
	s_branch .LBB195_128
.LBB195_121:                            ;   in Loop: Header=BB195_3 Depth=1
	s_mov_b32 s38, 0
                                        ; implicit-def: $vgpr12
	s_cbranch_execz .LBB195_128
.LBB195_122:                            ;   in Loop: Header=BB195_3 Depth=1
                                        ; implicit-def: $vgpr12
	s_and_saveexec_b32 s88, s3
	s_cbranch_execz .LBB195_126
; %bb.123:                              ;   in Loop: Header=BB195_3 Depth=1
	v_dual_mov_b32 v12, 0 :: v_dual_mov_b32 v11, v55
	v_dual_mov_b32 v14, v54 :: v_dual_mov_b32 v15, v53
	s_mov_b32 s89, 0
	s_delay_alu instid0(VALU_DEP_2)
	v_mov_b32_e32 v13, v12
.LBB195_124:                            ;   Parent Loop BB195_3 Depth=1
                                        ; =>  This Inner Loop Header: Depth=2
	ds_load_b64 v[16:17], v11
	ds_load_b64 v[18:19], v14
	v_dual_add_nc_u32 v15, -1, v15 :: v_dual_add_nc_u32 v14, 8, v14
	v_add_nc_u32_e32 v11, 0x80, v11
	s_delay_alu instid0(VALU_DEP_2) | instskip(SKIP_3) | instid1(VALU_DEP_1)
	v_cmp_eq_u32_e32 vcc_lo, 0, v15
	s_or_b32 s89, vcc_lo, s89
	s_wait_dscnt 0x0
	v_pk_mul_f32 v[58:59], v[18:19], v[16:17] op_sel:[0,1] neg_lo:[0,1]
	v_pk_fma_f32 v[16:17], v[16:17], v[18:19], v[58:59] op_sel:[0,0,1] op_sel_hi:[0,1,0] neg_lo:[1,0,0] neg_hi:[1,0,0]
	s_delay_alu instid0(VALU_DEP_1)
	v_pk_add_f32 v[12:13], v[12:13], v[16:17]
	s_and_not1_b32 exec_lo, exec_lo, s89
	s_cbranch_execnz .LBB195_124
; %bb.125:                              ;   in Loop: Header=BB195_3 Depth=1
	s_or_b32 exec_lo, exec_lo, s89
	s_delay_alu instid0(SALU_CYCLE_1)
	s_or_b32 s38, s38, exec_lo
.LBB195_126:                            ;   in Loop: Header=BB195_3 Depth=1
	s_or_b32 exec_lo, exec_lo, s88
	s_mov_b64 s[92:93], 0x80
	s_mov_b64 s[90:91], 0x84
	s_branch .LBB195_129
.LBB195_127:                            ;   in Loop: Header=BB195_3 Depth=1
	s_or_b32 exec_lo, exec_lo, s89
	s_delay_alu instid0(SALU_CYCLE_1)
	s_and_b32 vcc_lo, exec_lo, s88
	s_cbranch_vccnz .LBB195_122
.LBB195_128:                            ;   in Loop: Header=BB195_3 Depth=1
	s_mov_b64 s[92:93], 0x4000
	s_mov_b64 s[90:91], 0x4004
.LBB195_129:                            ;   in Loop: Header=BB195_3 Depth=1
	s_mul_u64 s[88:89], s[46:47], s[48:49]
	s_delay_alu instid0(SALU_CYCLE_1) | instskip(NEXT) | instid1(SALU_CYCLE_1)
	s_lshl_b64 s[88:89], s[88:89], 3
	s_add_nc_u64 s[88:89], s[54:55], s[88:89]
	s_and_saveexec_b32 s49, s38
	s_cbranch_execz .LBB195_131
; %bb.130:                              ;   in Loop: Header=BB195_3 Depth=1
	v_add_nc_u64_e32 v[14:15], s[88:89], v[0:1]
	s_delay_alu instid0(VALU_DEP_1)
	v_add_nc_u64_e32 v[16:17], s[92:93], v[14:15]
	v_add_nc_u64_e32 v[14:15], s[90:91], v[14:15]
	s_clause 0x1
	global_store_b32 v[16:17], v12, off
	global_store_b32 v[14:15], v13, off
.LBB195_131:                            ;   in Loop: Header=BB195_3 Depth=1
	s_wait_xcnt 0x0
	s_or_b32 exec_lo, exec_lo, s49
	s_and_saveexec_b32 s49, s1
	s_cbranch_execz .LBB195_2
; %bb.132:                              ;   in Loop: Header=BB195_3 Depth=1
	s_and_not1_b32 vcc_lo, exec_lo, s95
	s_mov_b32 s38, -1
	s_cbranch_vccnz .LBB195_137
; %bb.133:                              ;   in Loop: Header=BB195_3 Depth=1
	s_and_saveexec_b32 s90, s36
	s_cbranch_execz .LBB195_136
; %bb.134:                              ;   in Loop: Header=BB195_3 Depth=1
	v_mov_b32_e32 v11, v1
	s_mov_b32 s38, 16
	s_delay_alu instid0(VALU_DEP_1) | instskip(SKIP_2) | instid1(VALU_DEP_2)
	v_add_nc_u64_e32 v[12:13], s[88:89], v[10:11]
	v_mov_b32_e32 v11, v56
	s_mov_b32 s88, 0
	v_lshl_add_u64 v[12:13], v[4:5], 3, v[12:13]
.LBB195_135:                            ;   Parent Loop BB195_3 Depth=1
                                        ; =>  This Inner Loop Header: Depth=2
	ds_load_b64 v[14:15], v11
	s_add_co_i32 s38, s38, -1
	v_add_nc_u32_e32 v11, 0x80, v11
	s_lshl_b64 s[92:93], s[38:39], 10
	v_cmp_le_i32_e32 vcc_lo, s38, v4
	v_add_nc_u64_e32 v[16:17], s[92:93], v[12:13]
	s_or_b32 s88, vcc_lo, s88
	s_wait_dscnt 0x0
	global_store_b64 v[16:17], v[14:15], off
	s_wait_xcnt 0x0
	s_and_not1_b32 exec_lo, exec_lo, s88
	s_cbranch_execnz .LBB195_135
.LBB195_136:                            ;   in Loop: Header=BB195_3 Depth=1
	s_or_b32 exec_lo, exec_lo, s90
	s_mov_b32 s38, 0
.LBB195_137:                            ;   in Loop: Header=BB195_3 Depth=1
	s_delay_alu instid0(SALU_CYCLE_1)
	s_and_not1_b32 vcc_lo, exec_lo, s38
	s_cbranch_vccnz .LBB195_2
; %bb.138:                              ;   in Loop: Header=BB195_3 Depth=1
	s_and_b32 exec_lo, exec_lo, s37
	s_cbranch_execz .LBB195_2
; %bb.139:                              ;   in Loop: Header=BB195_3 Depth=1
	v_mad_nc_u64_u32 v[12:13], s86, s48, v[6:7]
	v_dual_mov_b32 v11, v42 :: v_dual_mov_b32 v14, v57
	s_mov_b32 s38, 0
	s_delay_alu instid0(VALU_DEP_2)
	v_mad_u32 v13, s87, s48, v13
.LBB195_140:                            ;   Parent Loop BB195_3 Depth=1
                                        ; =>  This Inner Loop Header: Depth=2
	ds_load_b64 v[16:17], v11
	v_add_nc_u32_e32 v14, -1, v14
	v_add_nc_u32_e32 v11, 0x80, v11
	s_delay_alu instid0(VALU_DEP_2)
	v_cmp_eq_u32_e32 vcc_lo, 0, v14
	s_or_b32 s38, vcc_lo, s38
	s_wait_dscnt 0x0
	global_store_b64 v[12:13], v[16:17], off
	s_wait_xcnt 0x0
	v_add_nc_u64_e32 v[12:13], 0x400, v[12:13]
	s_and_not1_b32 exec_lo, exec_lo, s38
	s_cbranch_execnz .LBB195_140
	s_branch .LBB195_2
.LBB195_141:
	s_endpgm
	.section	.rodata,"a",@progbits
	.p2align	6, 0x0
	.amdhsa_kernel _ZL25rocblas_trtri_trsm_kernelILi128ELi16ELi8E19rocblas_complex_numIfEPKS1_PS1_Ev13rocblas_fill_17rocblas_diagonal_T3_lilT4_lli
		.amdhsa_group_segment_fixed_size 8192
		.amdhsa_private_segment_fixed_size 0
		.amdhsa_kernarg_size 68
		.amdhsa_user_sgpr_count 2
		.amdhsa_user_sgpr_dispatch_ptr 0
		.amdhsa_user_sgpr_queue_ptr 0
		.amdhsa_user_sgpr_kernarg_segment_ptr 1
		.amdhsa_user_sgpr_dispatch_id 0
		.amdhsa_user_sgpr_kernarg_preload_length 0
		.amdhsa_user_sgpr_kernarg_preload_offset 0
		.amdhsa_user_sgpr_private_segment_size 0
		.amdhsa_wavefront_size32 1
		.amdhsa_uses_dynamic_stack 0
		.amdhsa_enable_private_segment 0
		.amdhsa_system_sgpr_workgroup_id_x 1
		.amdhsa_system_sgpr_workgroup_id_y 0
		.amdhsa_system_sgpr_workgroup_id_z 1
		.amdhsa_system_sgpr_workgroup_info 0
		.amdhsa_system_vgpr_workitem_id 0
		.amdhsa_next_free_vgpr 64
		.amdhsa_next_free_sgpr 97
		.amdhsa_named_barrier_count 0
		.amdhsa_reserve_vcc 1
		.amdhsa_float_round_mode_32 0
		.amdhsa_float_round_mode_16_64 0
		.amdhsa_float_denorm_mode_32 3
		.amdhsa_float_denorm_mode_16_64 3
		.amdhsa_fp16_overflow 0
		.amdhsa_memory_ordered 1
		.amdhsa_forward_progress 1
		.amdhsa_inst_pref_size 48
		.amdhsa_round_robin_scheduling 0
		.amdhsa_exception_fp_ieee_invalid_op 0
		.amdhsa_exception_fp_denorm_src 0
		.amdhsa_exception_fp_ieee_div_zero 0
		.amdhsa_exception_fp_ieee_overflow 0
		.amdhsa_exception_fp_ieee_underflow 0
		.amdhsa_exception_fp_ieee_inexact 0
		.amdhsa_exception_int_div_zero 0
	.end_amdhsa_kernel
	.section	.text._ZL25rocblas_trtri_trsm_kernelILi128ELi16ELi8E19rocblas_complex_numIfEPKS1_PS1_Ev13rocblas_fill_17rocblas_diagonal_T3_lilT4_lli,"axG",@progbits,_ZL25rocblas_trtri_trsm_kernelILi128ELi16ELi8E19rocblas_complex_numIfEPKS1_PS1_Ev13rocblas_fill_17rocblas_diagonal_T3_lilT4_lli,comdat
.Lfunc_end195:
	.size	_ZL25rocblas_trtri_trsm_kernelILi128ELi16ELi8E19rocblas_complex_numIfEPKS1_PS1_Ev13rocblas_fill_17rocblas_diagonal_T3_lilT4_lli, .Lfunc_end195-_ZL25rocblas_trtri_trsm_kernelILi128ELi16ELi8E19rocblas_complex_numIfEPKS1_PS1_Ev13rocblas_fill_17rocblas_diagonal_T3_lilT4_lli
                                        ; -- End function
	.set _ZL25rocblas_trtri_trsm_kernelILi128ELi16ELi8E19rocblas_complex_numIfEPKS1_PS1_Ev13rocblas_fill_17rocblas_diagonal_T3_lilT4_lli.num_vgpr, 64
	.set _ZL25rocblas_trtri_trsm_kernelILi128ELi16ELi8E19rocblas_complex_numIfEPKS1_PS1_Ev13rocblas_fill_17rocblas_diagonal_T3_lilT4_lli.num_agpr, 0
	.set _ZL25rocblas_trtri_trsm_kernelILi128ELi16ELi8E19rocblas_complex_numIfEPKS1_PS1_Ev13rocblas_fill_17rocblas_diagonal_T3_lilT4_lli.numbered_sgpr, 97
	.set _ZL25rocblas_trtri_trsm_kernelILi128ELi16ELi8E19rocblas_complex_numIfEPKS1_PS1_Ev13rocblas_fill_17rocblas_diagonal_T3_lilT4_lli.num_named_barrier, 0
	.set _ZL25rocblas_trtri_trsm_kernelILi128ELi16ELi8E19rocblas_complex_numIfEPKS1_PS1_Ev13rocblas_fill_17rocblas_diagonal_T3_lilT4_lli.private_seg_size, 0
	.set _ZL25rocblas_trtri_trsm_kernelILi128ELi16ELi8E19rocblas_complex_numIfEPKS1_PS1_Ev13rocblas_fill_17rocblas_diagonal_T3_lilT4_lli.uses_vcc, 1
	.set _ZL25rocblas_trtri_trsm_kernelILi128ELi16ELi8E19rocblas_complex_numIfEPKS1_PS1_Ev13rocblas_fill_17rocblas_diagonal_T3_lilT4_lli.uses_flat_scratch, 0
	.set _ZL25rocblas_trtri_trsm_kernelILi128ELi16ELi8E19rocblas_complex_numIfEPKS1_PS1_Ev13rocblas_fill_17rocblas_diagonal_T3_lilT4_lli.has_dyn_sized_stack, 0
	.set _ZL25rocblas_trtri_trsm_kernelILi128ELi16ELi8E19rocblas_complex_numIfEPKS1_PS1_Ev13rocblas_fill_17rocblas_diagonal_T3_lilT4_lli.has_recursion, 0
	.set _ZL25rocblas_trtri_trsm_kernelILi128ELi16ELi8E19rocblas_complex_numIfEPKS1_PS1_Ev13rocblas_fill_17rocblas_diagonal_T3_lilT4_lli.has_indirect_call, 0
	.section	.AMDGPU.csdata,"",@progbits
; Kernel info:
; codeLenInByte = 6096
; TotalNumSgprs: 99
; NumVgprs: 64
; ScratchSize: 0
; MemoryBound: 0
; FloatMode: 240
; IeeeMode: 1
; LDSByteSize: 8192 bytes/workgroup (compile time only)
; SGPRBlocks: 0
; VGPRBlocks: 3
; NumSGPRsForWavesPerEU: 99
; NumVGPRsForWavesPerEU: 64
; NamedBarCnt: 0
; Occupancy: 16
; WaveLimiterHint : 0
; COMPUTE_PGM_RSRC2:SCRATCH_EN: 0
; COMPUTE_PGM_RSRC2:USER_SGPR: 2
; COMPUTE_PGM_RSRC2:TRAP_HANDLER: 0
; COMPUTE_PGM_RSRC2:TGID_X_EN: 1
; COMPUTE_PGM_RSRC2:TGID_Y_EN: 0
; COMPUTE_PGM_RSRC2:TGID_Z_EN: 1
; COMPUTE_PGM_RSRC2:TIDIG_COMP_CNT: 0
	.section	.text._ZL18rocblas_trtri_fillILi128E19rocblas_complex_numIfEPS1_EvP15_rocblas_handle13rocblas_fill_ililT1_llii,"axG",@progbits,_ZL18rocblas_trtri_fillILi128E19rocblas_complex_numIfEPS1_EvP15_rocblas_handle13rocblas_fill_ililT1_llii,comdat
	.globl	_ZL18rocblas_trtri_fillILi128E19rocblas_complex_numIfEPS1_EvP15_rocblas_handle13rocblas_fill_ililT1_llii ; -- Begin function _ZL18rocblas_trtri_fillILi128E19rocblas_complex_numIfEPS1_EvP15_rocblas_handle13rocblas_fill_ililT1_llii
	.p2align	8
	.type	_ZL18rocblas_trtri_fillILi128E19rocblas_complex_numIfEPS1_EvP15_rocblas_handle13rocblas_fill_ililT1_llii,@function
_ZL18rocblas_trtri_fillILi128E19rocblas_complex_numIfEPS1_EvP15_rocblas_handle13rocblas_fill_ililT1_llii: ; @_ZL18rocblas_trtri_fillILi128E19rocblas_complex_numIfEPS1_EvP15_rocblas_handle13rocblas_fill_ililT1_llii
; %bb.0:
	s_load_b64 s[2:3], s[0:1], 0x40
	s_bfe_u32 s4, ttmp6, 0x40014
	s_lshr_b32 s5, ttmp7, 16
	s_add_co_i32 s4, s4, 1
	s_bfe_u32 s6, ttmp6, 0x40008
	s_mul_i32 s4, s5, s4
	s_getreg_b32 s17, hwreg(HW_REG_IB_STS2, 6, 4)
	s_add_co_i32 s6, s6, s4
	s_cmp_eq_u32 s17, 0
	s_mov_b32 s19, 0
	s_cselect_b32 s16, s5, s6
	s_wait_kmcnt 0x0
	s_cmp_ge_u32 s16, s3
	s_cbranch_scc1 .LBB196_19
; %bb.1:
	s_clause 0x2
	s_load_b32 s20, s[0:1], 0x18
	s_load_b128 s[12:15], s[0:1], 0x8
	s_load_b256 s[4:11], s[0:1], 0x20
	s_ashr_i32 s23, s2, 31
	s_mov_b32 s22, s2
	s_bfe_u32 s2, ttmp6, 0x4000c
	s_and_b32 s18, ttmp6, 15
	s_add_co_i32 s2, s2, 1
	s_mov_b64 s[28:29], 0xffffffff
	s_mul_i32 s2, ttmp9, s2
	s_add_nc_u64 s[34:35], s[0:1], 0x48
	s_add_co_i32 s18, s18, s2
	s_wait_kmcnt 0x0
	s_ashr_i32 s21, s20, 31
	v_cvt_f32_u32_e32 v1, s14
	s_lshl_b64 s[24:25], s[8:9], 3
	s_cmp_eq_u32 s17, 0
	s_cvt_f32_u32 s2, s14
	s_cvt_f32_u32 s8, s15
	v_rcp_iflag_f32_e32 v1, v1
	s_cselect_b32 s18, ttmp9, s18
	s_add_co_i32 s9, s13, -2
	s_fmamk_f32 s2, s8, 0x4f800000, s2
	v_cvt_f64_i32_e32 v[2:3], s9
	s_sub_co_i32 s17, 0, s14
	s_mul_u64 s[8:9], s[14:15], s[22:23]
	v_mul_f32_e32 v1, 0x4f7ffffe, v1
	v_s_rcp_f32 s2, s2
	s_lshl_b64 s[22:23], s[18:19], 7
	s_add_nc_u64 s[6:7], s[6:7], s[24:25]
	v_or_b32_e32 v0, s22, v0
	v_cvt_u32_f32_e32 v5, v1
	v_mov_b32_e32 v1, s23
	s_ashr_i32 s23, s13, 31
	s_add_co_i32 s24, s13, -1
	s_mov_b32 s22, s13
	v_mul_lo_u32 v4, s17, v5
	s_mul_f32 s17, s2, 0x5f7ffffc
	s_ashr_i32 s25, s24, 31
	s_sub_nc_u64 s[36:37], 0, s[14:15]
	s_mul_u64 s[26:27], s[24:25], s[22:23]
	s_mul_f32 s2, s17, 0x2f800000
	s_lshl_b64 s[24:25], s[26:27], 2
	s_lshr_b64 s[26:27], s[26:27], 1
	s_add_nc_u64 s[24:25], s[24:25], -7
	s_trunc_f32 s13, s2
	v_cmp_gt_u64_e64 s2, s[8:9], v[0:1]
	v_mul_hi_u32 v6, v5, v4
	v_mov_b32_e32 v4, 0
	s_fmamk_f32 s17, s13, 0xcf800000, s17
	s_cvt_u32_f32 s31, s13
	s_delay_alu instid0(SALU_CYCLE_2) | instskip(NEXT) | instid1(VALU_DEP_2)
	s_cvt_u32_f32 s30, s17
	v_add_nc_u32_e32 v14, v5, v6
	s_branch .LBB196_3
.LBB196_2:                              ;   in Loop: Header=BB196_3 Depth=1
	s_or_b32 exec_lo, exec_lo, s1
	s_add_co_i32 s16, s16, 0x10000
	s_delay_alu instid0(SALU_CYCLE_1)
	s_cmp_lt_u32 s16, s3
	s_cbranch_scc0 .LBB196_19
.LBB196_3:                              ; =>This Loop Header: Depth=1
                                        ;     Child Loop BB196_6 Depth 2
	s_and_saveexec_b32 s1, s2
	s_cbranch_execz .LBB196_2
; %bb.4:                                ;   in Loop: Header=BB196_3 Depth=1
	s_clause 0x1
	s_load_b32 s0, s[34:35], 0xc
	s_load_b32 s18, s[34:35], 0x0
	s_mov_b32 s17, s19
	v_mov_b64_e32 v[6:7], v[0:1]
	s_mul_u64 s[38:39], s[10:11], s[16:17]
	s_mov_b32 s41, s19
	s_lshl_b64 s[38:39], s[38:39], 3
	s_mov_b32 s13, 0
	s_add_nc_u64 s[38:39], s[6:7], s[38:39]
	s_wait_kmcnt 0x0
	s_and_b32 s40, s0, 0xffff
	s_delay_alu instid0(SALU_CYCLE_1)
	s_mul_u64 s[40:41], s[40:41], s[18:19]
	s_branch .LBB196_6
.LBB196_5:                              ;   in Loop: Header=BB196_6 Depth=2
	v_add_nc_u64_e32 v[6:7], s[40:41], v[6:7]
	s_delay_alu instid0(VALU_DEP_1)
	v_cmp_le_u64_e32 vcc_lo, s[8:9], v[6:7]
	s_or_b32 s13, vcc_lo, s13
	s_wait_xcnt 0x0
	s_and_not1_b32 exec_lo, exec_lo, s13
	s_cbranch_execz .LBB196_2
.LBB196_6:                              ;   Parent Loop BB196_3 Depth=1
                                        ; =>  This Inner Loop Header: Depth=2
	v_or_b32_e32 v5, s15, v7
                                        ; implicit-def: $vgpr8_vgpr9
	s_mov_b32 s0, exec_lo
	s_delay_alu instid0(VALU_DEP_1)
	v_cmpx_ne_u64_e32 0, v[4:5]
	s_xor_b32 s17, exec_lo, s0
	s_cbranch_execz .LBB196_8
; %bb.7:                                ;   in Loop: Header=BB196_6 Depth=2
	s_mul_u64 s[42:43], s[36:37], s[30:31]
	v_dual_mov_b32 v8, v6 :: v_dual_mov_b32 v9, v4
	s_mul_hi_u32 s45, s30, s43
	s_mul_i32 s44, s30, s43
	s_mul_hi_u32 s18, s30, s42
	s_mul_hi_u32 s0, s31, s42
	s_add_nc_u64 s[44:45], s[18:19], s[44:45]
	s_mul_i32 s18, s31, s42
	s_mul_hi_u32 s33, s31, s43
	s_add_co_u32 s18, s44, s18
	s_add_co_ci_u32 s18, s45, s0
	s_add_co_ci_u32 s45, s33, 0
	s_mul_i32 s44, s31, s43
	v_dual_mov_b32 v10, v7 :: v_dual_mov_b32 v11, v4
	s_add_nc_u64 s[42:43], s[18:19], s[44:45]
	v_mov_b32_e32 v17, v4
	s_add_co_u32 s42, s30, s42
	s_cselect_b32 s0, -1, 0
	s_delay_alu instid0(SALU_CYCLE_1) | instskip(SKIP_1) | instid1(SALU_CYCLE_1)
	s_cmp_lg_u32 s0, 0
	s_add_co_ci_u32 s43, s31, s43
	s_mul_u64 s[44:45], s[36:37], s[42:43]
	s_delay_alu instid0(SALU_CYCLE_1)
	s_mul_hi_u32 s47, s42, s45
	s_mul_i32 s46, s42, s45
	s_mul_hi_u32 s18, s42, s44
	s_mul_i32 s33, s43, s44
	s_add_nc_u64 s[46:47], s[18:19], s[46:47]
	s_mul_hi_u32 s0, s43, s44
	s_mul_hi_u32 s48, s43, s45
	s_add_co_u32 s18, s46, s33
	s_add_co_ci_u32 s18, s47, s0
	s_mul_i32 s44, s43, s45
	s_add_co_ci_u32 s45, s48, 0
	s_delay_alu instid0(SALU_CYCLE_1) | instskip(NEXT) | instid1(SALU_CYCLE_1)
	s_add_nc_u64 s[44:45], s[18:19], s[44:45]
	s_add_co_u32 s0, s42, s44
	s_cselect_b32 s18, -1, 0
	v_mul_hi_u32 v16, v6, s0
	s_cmp_lg_u32 s18, 0
	s_add_co_ci_u32 s18, s43, s45
	s_and_b64 s[42:43], s[0:1], s[28:29]
	v_mul_u64_e32 v[8:9], s[18:19], v[8:9]
	v_mul_u64_e32 v[12:13], s[42:43], v[10:11]
	;; [unrolled: 1-line block ×3, first 2 shown]
	s_delay_alu instid0(VALU_DEP_3) | instskip(NEXT) | instid1(VALU_DEP_1)
	v_add_nc_u64_e32 v[8:9], v[16:17], v[8:9]
	v_add_co_u32 v5, vcc_lo, v8, v12
	s_delay_alu instid0(VALU_DEP_2) | instskip(NEXT) | instid1(VALU_DEP_4)
	v_add_co_ci_u32_e32 v16, vcc_lo, v9, v13, vcc_lo
	v_add_co_ci_u32_e32 v11, vcc_lo, 0, v11, vcc_lo
	s_delay_alu instid0(VALU_DEP_1) | instskip(NEXT) | instid1(VALU_DEP_1)
	v_add_nc_u64_e32 v[8:9], v[16:17], v[10:11]
	v_mul_u64_e32 v[10:11], s[14:15], v[8:9]
	v_add_nc_u64_e32 v[12:13], 2, v[8:9]
	s_delay_alu instid0(VALU_DEP_2) | instskip(NEXT) | instid1(VALU_DEP_3)
	v_sub_nc_u32_e32 v5, v7, v11
	v_sub_co_u32 v10, vcc_lo, v6, v10
	s_delay_alu instid0(VALU_DEP_1) | instskip(NEXT) | instid1(VALU_DEP_3)
	v_sub_co_ci_u32_e64 v17, null, v7, v11, vcc_lo
	v_subrev_co_ci_u32_e64 v5, null, s15, v5, vcc_lo
	s_delay_alu instid0(VALU_DEP_3) | instskip(SKIP_1) | instid1(VALU_DEP_3)
	v_sub_co_u32 v15, s0, v10, s14
	v_cmp_le_u32_e32 vcc_lo, s14, v10
	v_subrev_co_ci_u32_e64 v5, null, 0, v5, s0
	s_delay_alu instid0(VALU_DEP_3) | instskip(SKIP_2) | instid1(VALU_DEP_4)
	v_cmp_le_u32_e64 s0, s14, v15
	v_add_nc_u64_e32 v[10:11], 1, v[8:9]
	v_cndmask_b32_e64 v18, 0, -1, vcc_lo
	v_cmp_eq_u32_e32 vcc_lo, s15, v5
	s_delay_alu instid0(VALU_DEP_4) | instskip(SKIP_1) | instid1(VALU_DEP_1)
	v_cndmask_b32_e64 v15, 0, -1, s0
	v_cmp_le_u32_e64 s0, s15, v5
	v_cndmask_b32_e64 v16, 0, -1, s0
	v_cmp_eq_u32_e64 s0, s15, v17
	s_delay_alu instid0(VALU_DEP_2) | instskip(SKIP_2) | instid1(VALU_DEP_3)
	v_cndmask_b32_e32 v5, v16, v15, vcc_lo
	v_cmp_le_u32_e32 vcc_lo, s15, v17
	v_cndmask_b32_e64 v15, 0, -1, vcc_lo
	v_cmp_ne_u32_e32 vcc_lo, 0, v5
	s_delay_alu instid0(VALU_DEP_2) | instskip(SKIP_1) | instid1(VALU_DEP_2)
	v_dual_cndmask_b32 v5, v15, v18, s0 :: v_dual_cndmask_b32 v10, v10, v12, vcc_lo
	v_cndmask_b32_e32 v11, v11, v13, vcc_lo
	v_cmp_ne_u32_e32 vcc_lo, 0, v5
	s_delay_alu instid0(VALU_DEP_2)
	v_dual_cndmask_b32 v9, v9, v11 :: v_dual_cndmask_b32 v8, v8, v10
.LBB196_8:                              ;   in Loop: Header=BB196_6 Depth=2
	s_and_not1_saveexec_b32 s0, s17
	s_cbranch_execz .LBB196_10
; %bb.9:                                ;   in Loop: Header=BB196_6 Depth=2
	v_mul_hi_u32 v5, v6, v14
	s_delay_alu instid0(VALU_DEP_1) | instskip(NEXT) | instid1(VALU_DEP_1)
	v_mul_lo_u32 v8, v5, s14
	v_dual_add_nc_u32 v9, 1, v5 :: v_dual_sub_nc_u32 v8, v6, v8
	s_delay_alu instid0(VALU_DEP_1) | instskip(SKIP_1) | instid1(VALU_DEP_2)
	v_subrev_nc_u32_e32 v10, s14, v8
	v_cmp_le_u32_e32 vcc_lo, s14, v8
	v_dual_cndmask_b32 v8, v8, v10 :: v_dual_cndmask_b32 v5, v5, v9
	s_delay_alu instid0(VALU_DEP_1) | instskip(NEXT) | instid1(VALU_DEP_2)
	v_cmp_le_u32_e32 vcc_lo, s14, v8
	v_add_nc_u32_e32 v9, 1, v5
	s_delay_alu instid0(VALU_DEP_1)
	v_dual_cndmask_b32 v8, v5, v9 :: v_dual_mov_b32 v9, v4
.LBB196_10:                             ;   in Loop: Header=BB196_6 Depth=2
	s_or_b32 exec_lo, exec_lo, s0
	s_delay_alu instid0(VALU_DEP_1) | instskip(SKIP_1) | instid1(VALU_DEP_1)
	v_mul_u64_e32 v[10:11], s[14:15], v[8:9]
	s_cmp_lt_i32 s12, 0x7a
	v_sub_nc_u64_e32 v[10:11], v[6:7], v[10:11]
	s_cbranch_scc1 .LBB196_13
; %bb.11:                               ;   in Loop: Header=BB196_6 Depth=2
	s_mov_b32 s0, 0
	s_cmp_eq_u32 s12, 0x7a
	s_mov_b32 s17, 0
                                        ; implicit-def: $vgpr12_vgpr13
	s_cbranch_scc0 .LBB196_14
; %bb.12:                               ;   in Loop: Header=BB196_6 Depth=2
	s_delay_alu instid0(VALU_DEP_1) | instskip(SKIP_1) | instid1(VALU_DEP_1)
	v_lshlrev_b64_e32 v[12:13], 3, v[10:11]
	s_mov_b32 s17, -1
	v_sub_nc_u64_e32 v[12:13], s[24:25], v[12:13]
	s_delay_alu instid0(VALU_DEP_1) | instskip(NEXT) | instid1(VALU_DEP_2)
	v_cvt_f64_u32_e32 v[16:17], v13
	v_cvt_f64_u32_e32 v[12:13], v12
	s_delay_alu instid0(VALU_DEP_2) | instskip(NEXT) | instid1(VALU_DEP_1)
	v_ldexp_f64 v[16:17], v[16:17], 32
	v_add_f64_e32 v[12:13], v[16:17], v[12:13]
	s_delay_alu instid0(VALU_DEP_1) | instskip(SKIP_1) | instid1(VALU_DEP_1)
	v_cmp_gt_f64_e32 vcc_lo, 0x10000000, v[12:13]
	v_cndmask_b32_e64 v5, 0, 0x100, vcc_lo
	v_ldexp_f64 v[12:13], v[12:13], v5
	v_cndmask_b32_e64 v5, 0, 0xffffff80, vcc_lo
	s_delay_alu instid0(VALU_DEP_2) | instskip(SKIP_1) | instid1(TRANS32_DEP_1)
	v_rsq_f64_e32 v[16:17], v[12:13]
	v_cmp_class_f64_e64 vcc_lo, v[12:13], 0x260
	v_mul_f64_e32 v[18:19], v[12:13], v[16:17]
	v_mul_f64_e32 v[16:17], 0.5, v[16:17]
	s_delay_alu instid0(VALU_DEP_1) | instskip(NEXT) | instid1(VALU_DEP_1)
	v_fma_f64 v[20:21], -v[16:17], v[18:19], 0.5
	v_fmac_f64_e32 v[18:19], v[18:19], v[20:21]
	v_fmac_f64_e32 v[16:17], v[16:17], v[20:21]
	s_delay_alu instid0(VALU_DEP_2) | instskip(NEXT) | instid1(VALU_DEP_1)
	v_fma_f64 v[20:21], -v[18:19], v[18:19], v[12:13]
	v_fmac_f64_e32 v[18:19], v[20:21], v[16:17]
	s_delay_alu instid0(VALU_DEP_1) | instskip(NEXT) | instid1(VALU_DEP_1)
	v_fma_f64 v[20:21], -v[18:19], v[18:19], v[12:13]
	v_fmac_f64_e32 v[18:19], v[20:21], v[16:17]
	s_delay_alu instid0(VALU_DEP_1) | instskip(SKIP_1) | instid1(VALU_DEP_2)
	v_ldexp_f64 v[16:17], v[18:19], v5
	v_mul_u64_e32 v[18:19], s[4:5], v[8:9]
	v_dual_cndmask_b32 v13, v17, v13 :: v_dual_cndmask_b32 v12, v16, v12
	s_delay_alu instid0(VALU_DEP_2) | instskip(NEXT) | instid1(VALU_DEP_2)
	v_lshl_add_u64 v[18:19], v[18:19], 3, s[38:39]
	v_fma_f64 v[12:13], v[12:13], 0.5, -0.5
	s_delay_alu instid0(VALU_DEP_1) | instskip(NEXT) | instid1(VALU_DEP_1)
	v_floor_f64_e32 v[12:13], v[12:13]
	v_add_f64_e64 v[12:13], v[2:3], -v[12:13]
	s_delay_alu instid0(VALU_DEP_1) | instskip(NEXT) | instid1(VALU_DEP_1)
	v_trunc_f64_e32 v[12:13], v[12:13]
	v_ldexp_f64 v[16:17], v[12:13], 0xffffffe0
	s_delay_alu instid0(VALU_DEP_1) | instskip(NEXT) | instid1(VALU_DEP_1)
	v_floor_f64_e32 v[16:17], v[16:17]
	v_fmac_f64_e32 v[12:13], 0xc1f00000, v[16:17]
	s_delay_alu instid0(VALU_DEP_1) | instskip(SKIP_1) | instid1(VALU_DEP_1)
	v_cvt_u32_f64_e32 v12, v[12:13]
	v_cvt_u32_f64_e32 v13, v[16:17]
	v_sub_nc_u64_e32 v[16:17], s[22:23], v[12:13]
	v_mul_u64_e32 v[22:23], s[20:21], v[12:13]
	s_delay_alu instid0(VALU_DEP_2) | instskip(NEXT) | instid1(VALU_DEP_1)
	v_add_nc_u64_e32 v[20:21], -1, v[16:17]
	v_mul_u64_e32 v[16:17], v[20:21], v[16:17]
	v_sub_nc_u64_e64 v[20:21], v[10:11], s[26:27]
	s_delay_alu instid0(VALU_DEP_4) | instskip(NEXT) | instid1(VALU_DEP_1)
	v_lshl_add_u64 v[18:19], v[22:23], 3, v[18:19]
	v_lshl_add_u64 v[18:19], v[20:21], 3, v[18:19]
	s_delay_alu instid0(VALU_DEP_1) | instskip(SKIP_1) | instid1(VALU_DEP_1)
	v_lshl_add_u64 v[12:13], v[12:13], 3, v[18:19]
	v_lshlrev_b64_e32 v[16:17], 2, v[16:17]
	v_and_b32_e32 v16, -8, v16
	s_delay_alu instid0(VALU_DEP_1) | instskip(NEXT) | instid1(VALU_DEP_1)
	v_add_nc_u64_e32 v[16:17], v[12:13], v[16:17]
	v_add_nc_u64_e32 v[12:13], 8, v[16:17]
	global_store_b32 v[16:17], v4, off offset:8
	s_branch .LBB196_14
.LBB196_13:                             ;   in Loop: Header=BB196_6 Depth=2
	s_mov_b32 s0, -1
	s_mov_b32 s17, 0
                                        ; implicit-def: $vgpr12_vgpr13
.LBB196_14:                             ;   in Loop: Header=BB196_6 Depth=2
	s_and_b32 vcc_lo, exec_lo, s0
	s_cbranch_vccz .LBB196_17
; %bb.15:                               ;   in Loop: Header=BB196_6 Depth=2
	s_cmp_eq_u32 s12, 0x79
                                        ; implicit-def: $vgpr12_vgpr13
	s_cbranch_scc0 .LBB196_17
; %bb.16:                               ;   in Loop: Header=BB196_6 Depth=2
	v_lshlrev_b64_e32 v[12:13], 3, v[10:11]
	v_mul_u64_e32 v[8:9], s[4:5], v[8:9]
	s_mov_b32 s17, -1
	s_wait_xcnt 0x0
	s_delay_alu instid0(VALU_DEP_2) | instskip(NEXT) | instid1(VALU_DEP_3)
	v_cvt_f64_u32_e32 v[16:17], v13
	v_or_b32_e32 v5, 1, v12
	s_delay_alu instid0(VALU_DEP_1) | instskip(NEXT) | instid1(VALU_DEP_4)
	v_cvt_f64_u32_e32 v[12:13], v5
	v_lshl_add_u64 v[8:9], v[8:9], 3, s[38:39]
	s_delay_alu instid0(VALU_DEP_4) | instskip(NEXT) | instid1(VALU_DEP_1)
	v_ldexp_f64 v[16:17], v[16:17], 32
	v_add_f64_e32 v[12:13], v[16:17], v[12:13]
	s_delay_alu instid0(VALU_DEP_1) | instskip(SKIP_1) | instid1(VALU_DEP_1)
	v_cmp_gt_f64_e32 vcc_lo, 0x10000000, v[12:13]
	v_cndmask_b32_e64 v5, 0, 0x100, vcc_lo
	v_ldexp_f64 v[12:13], v[12:13], v5
	v_cndmask_b32_e64 v5, 0, 0xffffff80, vcc_lo
	s_delay_alu instid0(VALU_DEP_2) | instskip(SKIP_1) | instid1(TRANS32_DEP_1)
	v_rsq_f64_e32 v[16:17], v[12:13]
	v_cmp_class_f64_e64 vcc_lo, v[12:13], 0x260
	v_mul_f64_e32 v[18:19], v[12:13], v[16:17]
	v_mul_f64_e32 v[16:17], 0.5, v[16:17]
	s_delay_alu instid0(VALU_DEP_1) | instskip(NEXT) | instid1(VALU_DEP_1)
	v_fma_f64 v[20:21], -v[16:17], v[18:19], 0.5
	v_fmac_f64_e32 v[18:19], v[18:19], v[20:21]
	v_fmac_f64_e32 v[16:17], v[16:17], v[20:21]
	s_delay_alu instid0(VALU_DEP_2) | instskip(NEXT) | instid1(VALU_DEP_1)
	v_fma_f64 v[20:21], -v[18:19], v[18:19], v[12:13]
	v_fmac_f64_e32 v[18:19], v[20:21], v[16:17]
	s_delay_alu instid0(VALU_DEP_1) | instskip(NEXT) | instid1(VALU_DEP_1)
	v_fma_f64 v[20:21], -v[18:19], v[18:19], v[12:13]
	v_fmac_f64_e32 v[18:19], v[20:21], v[16:17]
	s_delay_alu instid0(VALU_DEP_1) | instskip(NEXT) | instid1(VALU_DEP_1)
	v_ldexp_f64 v[16:17], v[18:19], v5
	v_dual_cndmask_b32 v13, v17, v13 :: v_dual_cndmask_b32 v12, v16, v12
	s_delay_alu instid0(VALU_DEP_1) | instskip(NEXT) | instid1(VALU_DEP_1)
	v_add_f64_e32 v[12:13], -1.0, v[12:13]
	v_mul_f64_e32 v[12:13], 0.5, v[12:13]
	s_delay_alu instid0(VALU_DEP_1) | instskip(NEXT) | instid1(VALU_DEP_1)
	v_trunc_f64_e32 v[12:13], v[12:13]
	v_ldexp_f64 v[16:17], v[12:13], 0xffffffe0
	s_delay_alu instid0(VALU_DEP_1) | instskip(NEXT) | instid1(VALU_DEP_1)
	v_floor_f64_e32 v[16:17], v[16:17]
	v_fmac_f64_e32 v[12:13], 0xc1f00000, v[16:17]
	s_delay_alu instid0(VALU_DEP_1) | instskip(SKIP_1) | instid1(VALU_DEP_2)
	v_cvt_u32_f64_e32 v12, v[12:13]
	v_cvt_u32_f64_e32 v13, v[16:17]
	v_mad_nc_u64_u32 v[16:17], s20, v12, s[20:21]
	s_delay_alu instid0(VALU_DEP_2) | instskip(SKIP_1) | instid1(VALU_DEP_3)
	v_mad_nc_u64_u32 v[18:19], v12, v12, v[12:13]
	v_mul_lo_u32 v5, v12, v13
	v_mad_u32 v12, s21, v12, v17
	s_delay_alu instid0(VALU_DEP_2) | instskip(NEXT) | instid1(VALU_DEP_2)
	v_add3_u32 v19, v5, v19, v5
	v_mad_u32 v17, s20, v13, v12
	s_delay_alu instid0(VALU_DEP_2) | instskip(NEXT) | instid1(VALU_DEP_1)
	v_lshrrev_b64 v[12:13], 1, v[18:19]
	v_sub_nc_u64_e32 v[10:11], v[10:11], v[12:13]
	s_delay_alu instid0(VALU_DEP_3) | instskip(NEXT) | instid1(VALU_DEP_1)
	v_lshl_add_u64 v[8:9], v[16:17], 3, v[8:9]
	v_lshl_add_u64 v[12:13], v[10:11], 3, v[8:9]
	global_store_b32 v[12:13], v4, off
.LBB196_17:                             ;   in Loop: Header=BB196_6 Depth=2
	s_and_b32 vcc_lo, exec_lo, s17
	s_cbranch_vccz .LBB196_5
; %bb.18:                               ;   in Loop: Header=BB196_6 Depth=2
	global_store_b32 v[12:13], v4, off offset:4
	s_branch .LBB196_5
.LBB196_19:
	s_endpgm
	.section	.rodata,"a",@progbits
	.p2align	6, 0x0
	.amdhsa_kernel _ZL18rocblas_trtri_fillILi128E19rocblas_complex_numIfEPS1_EvP15_rocblas_handle13rocblas_fill_ililT1_llii
		.amdhsa_group_segment_fixed_size 0
		.amdhsa_private_segment_fixed_size 0
		.amdhsa_kernarg_size 328
		.amdhsa_user_sgpr_count 2
		.amdhsa_user_sgpr_dispatch_ptr 0
		.amdhsa_user_sgpr_queue_ptr 0
		.amdhsa_user_sgpr_kernarg_segment_ptr 1
		.amdhsa_user_sgpr_dispatch_id 0
		.amdhsa_user_sgpr_kernarg_preload_length 0
		.amdhsa_user_sgpr_kernarg_preload_offset 0
		.amdhsa_user_sgpr_private_segment_size 0
		.amdhsa_wavefront_size32 1
		.amdhsa_uses_dynamic_stack 0
		.amdhsa_enable_private_segment 0
		.amdhsa_system_sgpr_workgroup_id_x 1
		.amdhsa_system_sgpr_workgroup_id_y 0
		.amdhsa_system_sgpr_workgroup_id_z 1
		.amdhsa_system_sgpr_workgroup_info 0
		.amdhsa_system_vgpr_workitem_id 0
		.amdhsa_next_free_vgpr 24
		.amdhsa_next_free_sgpr 49
		.amdhsa_named_barrier_count 0
		.amdhsa_reserve_vcc 1
		.amdhsa_float_round_mode_32 0
		.amdhsa_float_round_mode_16_64 0
		.amdhsa_float_denorm_mode_32 3
		.amdhsa_float_denorm_mode_16_64 3
		.amdhsa_fp16_overflow 0
		.amdhsa_memory_ordered 1
		.amdhsa_forward_progress 1
		.amdhsa_inst_pref_size 15
		.amdhsa_round_robin_scheduling 0
		.amdhsa_exception_fp_ieee_invalid_op 0
		.amdhsa_exception_fp_denorm_src 0
		.amdhsa_exception_fp_ieee_div_zero 0
		.amdhsa_exception_fp_ieee_overflow 0
		.amdhsa_exception_fp_ieee_underflow 0
		.amdhsa_exception_fp_ieee_inexact 0
		.amdhsa_exception_int_div_zero 0
	.end_amdhsa_kernel
	.section	.text._ZL18rocblas_trtri_fillILi128E19rocblas_complex_numIfEPS1_EvP15_rocblas_handle13rocblas_fill_ililT1_llii,"axG",@progbits,_ZL18rocblas_trtri_fillILi128E19rocblas_complex_numIfEPS1_EvP15_rocblas_handle13rocblas_fill_ililT1_llii,comdat
.Lfunc_end196:
	.size	_ZL18rocblas_trtri_fillILi128E19rocblas_complex_numIfEPS1_EvP15_rocblas_handle13rocblas_fill_ililT1_llii, .Lfunc_end196-_ZL18rocblas_trtri_fillILi128E19rocblas_complex_numIfEPS1_EvP15_rocblas_handle13rocblas_fill_ililT1_llii
                                        ; -- End function
	.set _ZL18rocblas_trtri_fillILi128E19rocblas_complex_numIfEPS1_EvP15_rocblas_handle13rocblas_fill_ililT1_llii.num_vgpr, 24
	.set _ZL18rocblas_trtri_fillILi128E19rocblas_complex_numIfEPS1_EvP15_rocblas_handle13rocblas_fill_ililT1_llii.num_agpr, 0
	.set _ZL18rocblas_trtri_fillILi128E19rocblas_complex_numIfEPS1_EvP15_rocblas_handle13rocblas_fill_ililT1_llii.numbered_sgpr, 49
	.set _ZL18rocblas_trtri_fillILi128E19rocblas_complex_numIfEPS1_EvP15_rocblas_handle13rocblas_fill_ililT1_llii.num_named_barrier, 0
	.set _ZL18rocblas_trtri_fillILi128E19rocblas_complex_numIfEPS1_EvP15_rocblas_handle13rocblas_fill_ililT1_llii.private_seg_size, 0
	.set _ZL18rocblas_trtri_fillILi128E19rocblas_complex_numIfEPS1_EvP15_rocblas_handle13rocblas_fill_ililT1_llii.uses_vcc, 1
	.set _ZL18rocblas_trtri_fillILi128E19rocblas_complex_numIfEPS1_EvP15_rocblas_handle13rocblas_fill_ililT1_llii.uses_flat_scratch, 0
	.set _ZL18rocblas_trtri_fillILi128E19rocblas_complex_numIfEPS1_EvP15_rocblas_handle13rocblas_fill_ililT1_llii.has_dyn_sized_stack, 0
	.set _ZL18rocblas_trtri_fillILi128E19rocblas_complex_numIfEPS1_EvP15_rocblas_handle13rocblas_fill_ililT1_llii.has_recursion, 0
	.set _ZL18rocblas_trtri_fillILi128E19rocblas_complex_numIfEPS1_EvP15_rocblas_handle13rocblas_fill_ililT1_llii.has_indirect_call, 0
	.section	.AMDGPU.csdata,"",@progbits
; Kernel info:
; codeLenInByte = 1856
; TotalNumSgprs: 51
; NumVgprs: 24
; ScratchSize: 0
; MemoryBound: 0
; FloatMode: 240
; IeeeMode: 1
; LDSByteSize: 0 bytes/workgroup (compile time only)
; SGPRBlocks: 0
; VGPRBlocks: 1
; NumSGPRsForWavesPerEU: 51
; NumVGPRsForWavesPerEU: 24
; NamedBarCnt: 0
; Occupancy: 16
; WaveLimiterHint : 0
; COMPUTE_PGM_RSRC2:SCRATCH_EN: 0
; COMPUTE_PGM_RSRC2:USER_SGPR: 2
; COMPUTE_PGM_RSRC2:TRAP_HANDLER: 0
; COMPUTE_PGM_RSRC2:TGID_X_EN: 1
; COMPUTE_PGM_RSRC2:TGID_Y_EN: 0
; COMPUTE_PGM_RSRC2:TGID_Z_EN: 1
; COMPUTE_PGM_RSRC2:TIDIG_COMP_CNT: 0
	.section	.text._ZL24rocblas_copy_matrix_trsmILi128ELi8E19rocblas_complex_numIfEPKS1_PS1_EviiiT2_ilT3_illli,"axG",@progbits,_ZL24rocblas_copy_matrix_trsmILi128ELi8E19rocblas_complex_numIfEPKS1_PS1_EviiiT2_ilT3_illli,comdat
	.globl	_ZL24rocblas_copy_matrix_trsmILi128ELi8E19rocblas_complex_numIfEPKS1_PS1_EviiiT2_ilT3_illli ; -- Begin function _ZL24rocblas_copy_matrix_trsmILi128ELi8E19rocblas_complex_numIfEPKS1_PS1_EviiiT2_ilT3_illli
	.p2align	8
	.type	_ZL24rocblas_copy_matrix_trsmILi128ELi8E19rocblas_complex_numIfEPKS1_PS1_EviiiT2_ilT3_illli,@function
_ZL24rocblas_copy_matrix_trsmILi128ELi8E19rocblas_complex_numIfEPKS1_PS1_EviiiT2_ilT3_illli: ; @_ZL24rocblas_copy_matrix_trsmILi128ELi8E19rocblas_complex_numIfEPKS1_PS1_EviiiT2_ilT3_illli
; %bb.0:
	s_load_b32 s18, s[0:1], 0x50
	s_bfe_u32 s2, ttmp6, 0x40014
	s_lshr_b32 s3, ttmp7, 16
	s_add_co_i32 s2, s2, 1
	s_bfe_u32 s5, ttmp6, 0x40008
	s_mul_i32 s4, s3, s2
	s_getreg_b32 s2, hwreg(HW_REG_IB_STS2, 6, 4)
	s_add_co_i32 s5, s5, s4
	s_cmp_eq_u32 s2, 0
	s_cselect_b32 s19, s3, s5
	s_mov_b32 s3, 0
	s_wait_kmcnt 0x0
	s_cmp_ge_u32 s19, s18
	s_cbranch_scc1 .LBB197_6
; %bb.1:
	s_clause 0x1
	s_load_b96 s[4:6], s[0:1], 0x10
	s_load_b32 s16, s[0:1], 0x30
	s_bfe_u32 s8, ttmp6, 0x40010
	s_bfe_u32 s11, ttmp6, 0x4000c
	s_and_b32 s7, ttmp7, 0xffff
	s_add_co_i32 s8, s8, 1
	s_add_co_i32 s11, s11, 1
	s_bfe_u32 s9, ttmp6, 0x40004
	s_and_b32 s10, ttmp6, 15
	s_mul_i32 s8, s7, s8
	s_mul_i32 s11, ttmp9, s11
	v_mov_b32_e32 v1, 0
	v_bfe_u32 v2, v0, 10, 10
	s_add_co_i32 s9, s9, s8
	s_add_co_i32 s12, s10, s11
	v_and_b32_e32 v0, 0x3ff, v0
	v_mov_b32_e32 v3, v1
	s_wait_kmcnt 0x0
	s_ashr_i32 s23, s6, 31
	s_ashr_i32 s17, s16, 31
	s_cmp_eq_u32 s2, 0
	s_mov_b32 s22, s6
	s_cselect_b32 s2, s7, s9
	s_clause 0x2
	s_load_b64 s[20:21], s[0:1], 0x0
	s_load_b64 s[24:25], s[0:1], 0x48
	s_load_b128 s[8:11], s[0:1], 0x38
	v_lshl_add_u32 v2, s2, 3, v2
	s_cselect_b32 s2, ttmp9, s12
	s_load_b128 s[12:15], s[0:1], 0x20
	v_lshl_add_u32 v0, s2, 7, v0
	s_wait_xcnt 0x0
	s_add_nc_u64 s[0:1], s[0:1], 0x58
	v_mul_u64_e32 v[4:5], s[16:17], v[2:3]
	v_mul_u64_e32 v[6:7], s[22:23], v[2:3]
	v_lshlrev_b64_e32 v[8:9], 3, v[0:1]
	s_wait_kmcnt 0x0
	s_mov_b32 s6, s21
	s_lshl_b64 s[24:25], s[24:25], 3
	s_lshl_b64 s[10:11], s[10:11], 3
	s_ashr_i32 s7, s21, 31
	s_ashr_i32 s21, s20, 31
	v_cmp_gt_u64_e64 s2, s[6:7], v[2:3]
	v_cmp_gt_u64_e32 vcc_lo, s[20:21], v[0:1]
	s_and_b32 s20, vcc_lo, s2
	v_lshl_add_u64 v[4:5], v[4:5], 3, s[24:25]
	v_lshl_add_u64 v[6:7], v[6:7], 3, s[10:11]
	s_lshl_b64 s[10:11], s[12:13], 3
	s_lshl_b64 s[12:13], s[22:23], 3
	s_delay_alu instid0(VALU_DEP_2) | instskip(NEXT) | instid1(VALU_DEP_2)
	v_add_nc_u64_e32 v[0:1], v[4:5], v[8:9]
	v_add_nc_u64_e32 v[4:5], v[6:7], v[8:9]
	s_delay_alu instid0(VALU_DEP_2) | instskip(NEXT) | instid1(VALU_DEP_2)
	v_add_nc_u64_e32 v[0:1], s[14:15], v[0:1]
	v_add_nc_u64_e32 v[4:5], s[4:5], v[4:5]
	s_lshl_b64 s[4:5], s[8:9], 3
	s_lshl_b64 s[8:9], s[16:17], 3
	s_branch .LBB197_3
.LBB197_2:                              ;   in Loop: Header=BB197_3 Depth=1
	s_or_b32 exec_lo, exec_lo, s21
	s_add_co_i32 s19, s19, 0x10000
	s_delay_alu instid0(SALU_CYCLE_1)
	s_cmp_ge_u32 s19, s18
	s_cbranch_scc1 .LBB197_6
.LBB197_3:                              ; =>This Loop Header: Depth=1
                                        ;     Child Loop BB197_5 Depth 2
	s_and_saveexec_b32 s21, s20
	s_cbranch_execz .LBB197_2
; %bb.4:                                ;   in Loop: Header=BB197_3 Depth=1
	s_load_b32 s2, s[0:1], 0x4
	v_mad_nc_u64_u32 v[6:7], s4, s19, v[0:1]
	v_mad_nc_u64_u32 v[8:9], s10, s19, v[4:5]
	v_mov_b64_e32 v[10:11], v[2:3]
	s_mov_b32 s22, 0
	s_delay_alu instid0(VALU_DEP_3) | instskip(NEXT) | instid1(VALU_DEP_3)
	v_mad_u32 v7, s5, s19, v7
	v_mad_u32 v9, s11, s19, v9
	s_wait_kmcnt 0x0
	s_lshl_b32 s2, s2, 3
	s_delay_alu instid0(SALU_CYCLE_1)
	s_mul_u64 s[14:15], s[8:9], s[2:3]
	s_mul_u64 s[16:17], s[12:13], s[2:3]
.LBB197_5:                              ;   Parent Loop BB197_3 Depth=1
                                        ; =>  This Inner Loop Header: Depth=2
	global_load_b64 v[12:13], v[8:9], off
	v_add_nc_u64_e32 v[10:11], s[2:3], v[10:11]
	s_wait_xcnt 0x0
	v_add_nc_u64_e32 v[8:9], s[16:17], v[8:9]
	s_delay_alu instid0(VALU_DEP_2)
	v_cmp_le_u64_e32 vcc_lo, s[6:7], v[10:11]
	s_or_b32 s22, vcc_lo, s22
	s_wait_loadcnt 0x0
	global_store_b64 v[6:7], v[12:13], off
	s_wait_xcnt 0x0
	v_add_nc_u64_e32 v[6:7], s[14:15], v[6:7]
	s_and_not1_b32 exec_lo, exec_lo, s22
	s_cbranch_execnz .LBB197_5
	s_branch .LBB197_2
.LBB197_6:
	s_endpgm
	.section	.rodata,"a",@progbits
	.p2align	6, 0x0
	.amdhsa_kernel _ZL24rocblas_copy_matrix_trsmILi128ELi8E19rocblas_complex_numIfEPKS1_PS1_EviiiT2_ilT3_illli
		.amdhsa_group_segment_fixed_size 0
		.amdhsa_private_segment_fixed_size 0
		.amdhsa_kernarg_size 344
		.amdhsa_user_sgpr_count 2
		.amdhsa_user_sgpr_dispatch_ptr 0
		.amdhsa_user_sgpr_queue_ptr 0
		.amdhsa_user_sgpr_kernarg_segment_ptr 1
		.amdhsa_user_sgpr_dispatch_id 0
		.amdhsa_user_sgpr_kernarg_preload_length 0
		.amdhsa_user_sgpr_kernarg_preload_offset 0
		.amdhsa_user_sgpr_private_segment_size 0
		.amdhsa_wavefront_size32 1
		.amdhsa_uses_dynamic_stack 0
		.amdhsa_enable_private_segment 0
		.amdhsa_system_sgpr_workgroup_id_x 1
		.amdhsa_system_sgpr_workgroup_id_y 1
		.amdhsa_system_sgpr_workgroup_id_z 1
		.amdhsa_system_sgpr_workgroup_info 0
		.amdhsa_system_vgpr_workitem_id 1
		.amdhsa_next_free_vgpr 14
		.amdhsa_next_free_sgpr 26
		.amdhsa_named_barrier_count 0
		.amdhsa_reserve_vcc 1
		.amdhsa_float_round_mode_32 0
		.amdhsa_float_round_mode_16_64 0
		.amdhsa_float_denorm_mode_32 3
		.amdhsa_float_denorm_mode_16_64 3
		.amdhsa_fp16_overflow 0
		.amdhsa_memory_ordered 1
		.amdhsa_forward_progress 1
		.amdhsa_inst_pref_size 5
		.amdhsa_round_robin_scheduling 0
		.amdhsa_exception_fp_ieee_invalid_op 0
		.amdhsa_exception_fp_denorm_src 0
		.amdhsa_exception_fp_ieee_div_zero 0
		.amdhsa_exception_fp_ieee_overflow 0
		.amdhsa_exception_fp_ieee_underflow 0
		.amdhsa_exception_fp_ieee_inexact 0
		.amdhsa_exception_int_div_zero 0
	.end_amdhsa_kernel
	.section	.text._ZL24rocblas_copy_matrix_trsmILi128ELi8E19rocblas_complex_numIfEPKS1_PS1_EviiiT2_ilT3_illli,"axG",@progbits,_ZL24rocblas_copy_matrix_trsmILi128ELi8E19rocblas_complex_numIfEPKS1_PS1_EviiiT2_ilT3_illli,comdat
.Lfunc_end197:
	.size	_ZL24rocblas_copy_matrix_trsmILi128ELi8E19rocblas_complex_numIfEPKS1_PS1_EviiiT2_ilT3_illli, .Lfunc_end197-_ZL24rocblas_copy_matrix_trsmILi128ELi8E19rocblas_complex_numIfEPKS1_PS1_EviiiT2_ilT3_illli
                                        ; -- End function
	.set _ZL24rocblas_copy_matrix_trsmILi128ELi8E19rocblas_complex_numIfEPKS1_PS1_EviiiT2_ilT3_illli.num_vgpr, 14
	.set _ZL24rocblas_copy_matrix_trsmILi128ELi8E19rocblas_complex_numIfEPKS1_PS1_EviiiT2_ilT3_illli.num_agpr, 0
	.set _ZL24rocblas_copy_matrix_trsmILi128ELi8E19rocblas_complex_numIfEPKS1_PS1_EviiiT2_ilT3_illli.numbered_sgpr, 26
	.set _ZL24rocblas_copy_matrix_trsmILi128ELi8E19rocblas_complex_numIfEPKS1_PS1_EviiiT2_ilT3_illli.num_named_barrier, 0
	.set _ZL24rocblas_copy_matrix_trsmILi128ELi8E19rocblas_complex_numIfEPKS1_PS1_EviiiT2_ilT3_illli.private_seg_size, 0
	.set _ZL24rocblas_copy_matrix_trsmILi128ELi8E19rocblas_complex_numIfEPKS1_PS1_EviiiT2_ilT3_illli.uses_vcc, 1
	.set _ZL24rocblas_copy_matrix_trsmILi128ELi8E19rocblas_complex_numIfEPKS1_PS1_EviiiT2_ilT3_illli.uses_flat_scratch, 0
	.set _ZL24rocblas_copy_matrix_trsmILi128ELi8E19rocblas_complex_numIfEPKS1_PS1_EviiiT2_ilT3_illli.has_dyn_sized_stack, 0
	.set _ZL24rocblas_copy_matrix_trsmILi128ELi8E19rocblas_complex_numIfEPKS1_PS1_EviiiT2_ilT3_illli.has_recursion, 0
	.set _ZL24rocblas_copy_matrix_trsmILi128ELi8E19rocblas_complex_numIfEPKS1_PS1_EviiiT2_ilT3_illli.has_indirect_call, 0
	.section	.AMDGPU.csdata,"",@progbits
; Kernel info:
; codeLenInByte = 556
; TotalNumSgprs: 28
; NumVgprs: 14
; ScratchSize: 0
; MemoryBound: 0
; FloatMode: 240
; IeeeMode: 1
; LDSByteSize: 0 bytes/workgroup (compile time only)
; SGPRBlocks: 0
; VGPRBlocks: 0
; NumSGPRsForWavesPerEU: 28
; NumVGPRsForWavesPerEU: 14
; NamedBarCnt: 0
; Occupancy: 16
; WaveLimiterHint : 0
; COMPUTE_PGM_RSRC2:SCRATCH_EN: 0
; COMPUTE_PGM_RSRC2:USER_SGPR: 2
; COMPUTE_PGM_RSRC2:TRAP_HANDLER: 0
; COMPUTE_PGM_RSRC2:TGID_X_EN: 1
; COMPUTE_PGM_RSRC2:TGID_Y_EN: 1
; COMPUTE_PGM_RSRC2:TGID_Z_EN: 1
; COMPUTE_PGM_RSRC2:TIDIG_COMP_CNT: 1
	.section	.text._ZL23rocblas_set_matrix_trsmILi128ELi8E19rocblas_complex_numIdEPS1_EvlliT2_llT1_li,"axG",@progbits,_ZL23rocblas_set_matrix_trsmILi128ELi8E19rocblas_complex_numIdEPS1_EvlliT2_llT1_li,comdat
	.globl	_ZL23rocblas_set_matrix_trsmILi128ELi8E19rocblas_complex_numIdEPS1_EvlliT2_llT1_li ; -- Begin function _ZL23rocblas_set_matrix_trsmILi128ELi8E19rocblas_complex_numIdEPS1_EvlliT2_llT1_li
	.p2align	8
	.type	_ZL23rocblas_set_matrix_trsmILi128ELi8E19rocblas_complex_numIdEPS1_EvlliT2_llT1_li,@function
_ZL23rocblas_set_matrix_trsmILi128ELi8E19rocblas_complex_numIdEPS1_EvlliT2_llT1_li: ; @_ZL23rocblas_set_matrix_trsmILi128ELi8E19rocblas_complex_numIdEPS1_EvlliT2_llT1_li
; %bb.0:
	s_load_b32 s6, s[0:1], 0x48
	s_bfe_u32 s2, ttmp6, 0x40014
	s_lshr_b32 s3, ttmp7, 16
	s_add_co_i32 s2, s2, 1
	s_bfe_u32 s5, ttmp6, 0x40008
	s_mul_i32 s2, s3, s2
	s_getreg_b32 s4, hwreg(HW_REG_IB_STS2, 6, 4)
	s_add_co_i32 s5, s5, s2
	s_cmp_eq_u32 s4, 0
	s_cselect_b32 s2, s3, s5
	s_mov_b32 s3, 0
	s_wait_kmcnt 0x0
	s_cmp_ge_u32 s2, s6
	s_cbranch_scc1 .LBB198_5
; %bb.1:
	s_clause 0x1
	s_load_b64 s[12:13], s[0:1], 0x40
	s_load_b128 s[8:11], s[0:1], 0x18
	s_bfe_u32 s7, ttmp6, 0x4000c
	s_bfe_u32 s15, ttmp6, 0x40010
	s_and_b32 s14, ttmp7, 0xffff
	s_add_co_i32 s7, s7, 1
	s_add_co_i32 s15, s15, 1
	s_and_b32 s5, ttmp6, 15
	s_bfe_u32 s16, ttmp6, 0x40004
	s_mul_i32 s7, ttmp9, s7
	s_mul_i32 s15, s14, s15
	v_bfe_u32 v1, v0, 10, 10
	v_mov_b32_e32 v2, 0
	s_add_co_i32 s7, s5, s7
	s_add_co_i32 s5, s16, s15
	v_and_b32_e32 v0, 0x3ff, v0
	s_delay_alu instid0(VALU_DEP_2)
	v_mov_b32_e32 v5, v2
	s_wait_kmcnt 0x0
	s_lshl_b64 s[16:17], s[12:13], 4
	s_cmp_eq_u32 s4, 0
	s_cselect_b32 s4, s14, s5
	s_load_b128 s[12:15], s[0:1], 0x0
	v_lshl_add_u32 v4, s4, 3, v1
	v_mov_b32_e32 v1, v2
	s_load_b64 s[4:5], s[0:1], 0x28
	s_wait_xcnt 0x0
	s_cselect_b32 s0, ttmp9, s7
	s_delay_alu instid0(SALU_CYCLE_1) | instskip(SKIP_3) | instid1(VALU_DEP_2)
	v_lshl_add_u32 v0, s0, 7, v0
	v_mul_u64_e32 v[6:7], s[10:11], v[4:5]
	s_add_nc_u64 s[0:1], s[8:9], s[16:17]
	s_wait_kmcnt 0x0
	v_cmp_gt_u64_e32 vcc_lo, s[12:13], v[0:1]
	s_delay_alu instid0(VALU_DEP_2) | instskip(SKIP_1) | instid1(VALU_DEP_2)
	v_lshl_add_u64 v[6:7], v[6:7], 4, s[0:1]
	v_cmp_gt_u64_e64 s0, s[14:15], v[4:5]
	v_lshl_add_u64 v[0:1], v[0:1], 4, v[6:7]
	s_and_b32 s0, vcc_lo, s0
	s_branch .LBB198_3
.LBB198_2:                              ;   in Loop: Header=BB198_3 Depth=1
	s_wait_xcnt 0x0
	s_or_b32 exec_lo, exec_lo, s1
	s_add_co_i32 s2, s2, 0x10000
	s_delay_alu instid0(SALU_CYCLE_1)
	s_cmp_lt_u32 s2, s6
	s_cbranch_scc0 .LBB198_5
.LBB198_3:                              ; =>This Inner Loop Header: Depth=1
	s_and_saveexec_b32 s1, s0
	s_cbranch_execz .LBB198_2
; %bb.4:                                ;   in Loop: Header=BB198_3 Depth=1
	s_mul_u64 s[8:9], s[4:5], s[2:3]
	v_dual_mov_b32 v3, v2 :: v_dual_mov_b32 v4, v2
	v_lshl_add_u64 v[6:7], s[8:9], 4, v[0:1]
	v_mov_b32_e32 v5, v2
	global_store_b128 v[6:7], v[2:5], off
	s_branch .LBB198_2
.LBB198_5:
	s_endpgm
	.section	.rodata,"a",@progbits
	.p2align	6, 0x0
	.amdhsa_kernel _ZL23rocblas_set_matrix_trsmILi128ELi8E19rocblas_complex_numIdEPS1_EvlliT2_llT1_li
		.amdhsa_group_segment_fixed_size 0
		.amdhsa_private_segment_fixed_size 0
		.amdhsa_kernarg_size 76
		.amdhsa_user_sgpr_count 2
		.amdhsa_user_sgpr_dispatch_ptr 0
		.amdhsa_user_sgpr_queue_ptr 0
		.amdhsa_user_sgpr_kernarg_segment_ptr 1
		.amdhsa_user_sgpr_dispatch_id 0
		.amdhsa_user_sgpr_kernarg_preload_length 0
		.amdhsa_user_sgpr_kernarg_preload_offset 0
		.amdhsa_user_sgpr_private_segment_size 0
		.amdhsa_wavefront_size32 1
		.amdhsa_uses_dynamic_stack 0
		.amdhsa_enable_private_segment 0
		.amdhsa_system_sgpr_workgroup_id_x 1
		.amdhsa_system_sgpr_workgroup_id_y 1
		.amdhsa_system_sgpr_workgroup_id_z 1
		.amdhsa_system_sgpr_workgroup_info 0
		.amdhsa_system_vgpr_workitem_id 1
		.amdhsa_next_free_vgpr 8
		.amdhsa_next_free_sgpr 18
		.amdhsa_named_barrier_count 0
		.amdhsa_reserve_vcc 1
		.amdhsa_float_round_mode_32 0
		.amdhsa_float_round_mode_16_64 0
		.amdhsa_float_denorm_mode_32 3
		.amdhsa_float_denorm_mode_16_64 3
		.amdhsa_fp16_overflow 0
		.amdhsa_memory_ordered 1
		.amdhsa_forward_progress 1
		.amdhsa_inst_pref_size 3
		.amdhsa_round_robin_scheduling 0
		.amdhsa_exception_fp_ieee_invalid_op 0
		.amdhsa_exception_fp_denorm_src 0
		.amdhsa_exception_fp_ieee_div_zero 0
		.amdhsa_exception_fp_ieee_overflow 0
		.amdhsa_exception_fp_ieee_underflow 0
		.amdhsa_exception_fp_ieee_inexact 0
		.amdhsa_exception_int_div_zero 0
	.end_amdhsa_kernel
	.section	.text._ZL23rocblas_set_matrix_trsmILi128ELi8E19rocblas_complex_numIdEPS1_EvlliT2_llT1_li,"axG",@progbits,_ZL23rocblas_set_matrix_trsmILi128ELi8E19rocblas_complex_numIdEPS1_EvlliT2_llT1_li,comdat
.Lfunc_end198:
	.size	_ZL23rocblas_set_matrix_trsmILi128ELi8E19rocblas_complex_numIdEPS1_EvlliT2_llT1_li, .Lfunc_end198-_ZL23rocblas_set_matrix_trsmILi128ELi8E19rocblas_complex_numIdEPS1_EvlliT2_llT1_li
                                        ; -- End function
	.set _ZL23rocblas_set_matrix_trsmILi128ELi8E19rocblas_complex_numIdEPS1_EvlliT2_llT1_li.num_vgpr, 8
	.set _ZL23rocblas_set_matrix_trsmILi128ELi8E19rocblas_complex_numIdEPS1_EvlliT2_llT1_li.num_agpr, 0
	.set _ZL23rocblas_set_matrix_trsmILi128ELi8E19rocblas_complex_numIdEPS1_EvlliT2_llT1_li.numbered_sgpr, 18
	.set _ZL23rocblas_set_matrix_trsmILi128ELi8E19rocblas_complex_numIdEPS1_EvlliT2_llT1_li.num_named_barrier, 0
	.set _ZL23rocblas_set_matrix_trsmILi128ELi8E19rocblas_complex_numIdEPS1_EvlliT2_llT1_li.private_seg_size, 0
	.set _ZL23rocblas_set_matrix_trsmILi128ELi8E19rocblas_complex_numIdEPS1_EvlliT2_llT1_li.uses_vcc, 1
	.set _ZL23rocblas_set_matrix_trsmILi128ELi8E19rocblas_complex_numIdEPS1_EvlliT2_llT1_li.uses_flat_scratch, 0
	.set _ZL23rocblas_set_matrix_trsmILi128ELi8E19rocblas_complex_numIdEPS1_EvlliT2_llT1_li.has_dyn_sized_stack, 0
	.set _ZL23rocblas_set_matrix_trsmILi128ELi8E19rocblas_complex_numIdEPS1_EvlliT2_llT1_li.has_recursion, 0
	.set _ZL23rocblas_set_matrix_trsmILi128ELi8E19rocblas_complex_numIdEPS1_EvlliT2_llT1_li.has_indirect_call, 0
	.section	.AMDGPU.csdata,"",@progbits
; Kernel info:
; codeLenInByte = 372
; TotalNumSgprs: 20
; NumVgprs: 8
; ScratchSize: 0
; MemoryBound: 0
; FloatMode: 240
; IeeeMode: 1
; LDSByteSize: 0 bytes/workgroup (compile time only)
; SGPRBlocks: 0
; VGPRBlocks: 0
; NumSGPRsForWavesPerEU: 20
; NumVGPRsForWavesPerEU: 8
; NamedBarCnt: 0
; Occupancy: 16
; WaveLimiterHint : 0
; COMPUTE_PGM_RSRC2:SCRATCH_EN: 0
; COMPUTE_PGM_RSRC2:USER_SGPR: 2
; COMPUTE_PGM_RSRC2:TRAP_HANDLER: 0
; COMPUTE_PGM_RSRC2:TGID_X_EN: 1
; COMPUTE_PGM_RSRC2:TGID_Y_EN: 1
; COMPUTE_PGM_RSRC2:TGID_Z_EN: 1
; COMPUTE_PGM_RSRC2:TIDIG_COMP_CNT: 1
	.section	.text._ZL38rocblas_trsm_small_left_device_sharedBILi4ELi4ELb0E19rocblas_complex_numIdES1_PKS1_PS1_Ev13rocblas_fill_18rocblas_operation_17rocblas_diagonal_iiT3_T4_lilT5_lili,"axG",@progbits,_ZL38rocblas_trsm_small_left_device_sharedBILi4ELi4ELb0E19rocblas_complex_numIdES1_PKS1_PS1_Ev13rocblas_fill_18rocblas_operation_17rocblas_diagonal_iiT3_T4_lilT5_lili,comdat
	.globl	_ZL38rocblas_trsm_small_left_device_sharedBILi4ELi4ELb0E19rocblas_complex_numIdES1_PKS1_PS1_Ev13rocblas_fill_18rocblas_operation_17rocblas_diagonal_iiT3_T4_lilT5_lili ; -- Begin function _ZL38rocblas_trsm_small_left_device_sharedBILi4ELi4ELb0E19rocblas_complex_numIdES1_PKS1_PS1_Ev13rocblas_fill_18rocblas_operation_17rocblas_diagonal_iiT3_T4_lilT5_lili
	.p2align	8
	.type	_ZL38rocblas_trsm_small_left_device_sharedBILi4ELi4ELb0E19rocblas_complex_numIdES1_PKS1_PS1_Ev13rocblas_fill_18rocblas_operation_17rocblas_diagonal_iiT3_T4_lilT5_lili,@function
_ZL38rocblas_trsm_small_left_device_sharedBILi4ELi4ELb0E19rocblas_complex_numIdES1_PKS1_PS1_Ev13rocblas_fill_18rocblas_operation_17rocblas_diagonal_iiT3_T4_lilT5_lili: ; @_ZL38rocblas_trsm_small_left_device_sharedBILi4ELi4ELb0E19rocblas_complex_numIdES1_PKS1_PS1_Ev13rocblas_fill_18rocblas_operation_17rocblas_diagonal_iiT3_T4_lilT5_lili
; %bb.0:
	s_load_b32 s19, s[2:3], 0x68
	s_bfe_u32 s4, ttmp6, 0x40014
	s_lshr_b32 s5, ttmp7, 16
	s_add_co_i32 s4, s4, 1
	s_bfe_u32 s6, ttmp6, 0x40008
	s_mul_i32 s4, s5, s4
	s_getreg_b32 s8, hwreg(HW_REG_IB_STS2, 6, 4)
	s_add_co_i32 s6, s6, s4
	s_cmp_eq_u32 s8, 0
	s_mov_b32 s21, 0
	s_cselect_b32 s20, s5, s6
	s_wait_kmcnt 0x0
	s_cmp_ge_u32 s20, s19
	s_cbranch_scc1 .LBB199_62
; %bb.1:
	s_clause 0x1
	s_load_b32 s22, s[2:3], 0x38
	s_load_b96 s[16:18], s[2:3], 0x50
	s_load_b64 s[28:29], s[0:1], 0x4
	s_clause 0x3
	s_load_b128 s[4:7], s[2:3], 0x4
	s_load_b32 s9, s[2:3], 0x70
	s_load_b64 s[30:31], s[2:3], 0x60
	s_load_b128 s[12:15], s[2:3], 0x40
	v_and_b32_e32 v2, 0x3ff, v0
	v_bfe_u32 v3, v0, 10, 10
	v_bfe_u32 v0, v0, 20, 10
	s_delay_alu instid0(VALU_DEP_3) | instskip(NEXT) | instid1(VALU_DEP_1)
	v_dual_mov_b32 v9, 0 :: v_dual_lshlrev_b32 v8, 4, v2
	v_add_nc_u32_e32 v16, 0x100, v8
	s_wait_kmcnt 0x0
	s_ashr_i32 s23, s22, 31
	s_ashr_i32 s1, s18, 31
	s_lshr_b32 s28, s28, 16
	s_cmp_eq_u32 s4, 0x71
	s_mul_i32 s28, s28, s29
	s_cselect_b32 s0, -1, 0
	s_bfe_u32 s10, ttmp6, 0x4000c
	s_min_i32 s24, s6, 4
	s_add_co_i32 s10, s10, 1
	s_and_b32 s11, ttmp6, 15
	s_mul_i32 s10, ttmp9, s10
	s_add_co_i32 s9, s9, -1
	s_add_co_i32 s25, s24, -1
	s_add_co_i32 s11, s11, s10
	s_cmp_eq_u32 s8, 0
	v_mul_u32_u24_e32 v5, s28, v2
	s_cselect_b32 s10, ttmp9, s11
	v_mul_u32_u24_e32 v3, s29, v3
	s_lshl_b32 s8, s10, 2
	s_delay_alu instid0(SALU_CYCLE_1) | instskip(SKIP_1) | instid1(VALU_DEP_1)
	s_sub_co_i32 s7, s7, s8
	s_cmp_ge_u32 s10, s9
	v_add3_u32 v3, v5, v3, v0
	s_cselect_b32 s33, s7, 4
	s_ashr_i32 s9, s8, 31
	s_cmp_lg_u32 s5, 0x84
	v_cmp_gt_i32_e32 vcc_lo, s33, v2
	s_cselect_b32 s26, -1, 0
	s_cmp_gt_i32 s6, 0
	s_cselect_b32 s36, -1, 0
	s_cmp_lg_u32 s4, 0x6f
	s_cselect_b32 s27, -1, 0
	s_lshl_b64 s[34:35], s[8:9], 4
	s_lshl_b64 s[4:5], s[16:17], 4
	v_or_b32_e32 v1, s34, v8
	s_add_nc_u64 s[14:15], s[14:15], s[4:5]
	s_load_b256 s[4:11], s[2:3], 0x18
	s_and_b32 s16, vcc_lo, s36
	s_delay_alu instid0(VALU_DEP_1) | instskip(SKIP_1) | instid1(SALU_CYCLE_1)
	v_mad_nc_u64_u32 v[10:11], v1, s18, s[14:15]
	s_lshl_b32 s14, s24, 6
	s_sub_co_i32 s17, s14, 64
	s_delay_alu instid0(VALU_DEP_1)
	v_mad_u32 v4, s35, s18, v11
	s_wait_kmcnt 0x0
	s_lshl_b64 s[2:3], s[10:11], 4
	s_get_pc_i64 s[10:11]
	s_add_nc_u64 s[10:11], s[10:11], __const._ZL38rocblas_trsm_small_left_device_sharedBILi4ELi4ELb0E19rocblas_complex_numIdES1_PKS1_PS1_Ev13rocblas_fill_18rocblas_operation_17rocblas_diagonal_iiT3_T4_lilT5_lili.step_sizes@rel64+4
	s_add_nc_u64 s[2:3], s[8:9], s[2:3]
	s_lshl_b64 s[8:9], s[22:23], 4
	s_delay_alu instid0(VALU_DEP_1)
	v_mad_u32 v11, v1, s1, v4
	v_add_nc_u64_e32 v[0:1], s[2:3], v[8:9]
	v_cmp_gt_i32_e64 s1, s24, v2
	v_lshlrev_b32_e32 v2, 6, v2
	v_lshl_add_u32 v9, v3, 6, 0x200
	s_lshl_b64 s[2:3], s[12:13], 4
	s_lshl_b64 s[12:13], s[30:31], 4
	v_add_nc_u64_e32 v[12:13], 8, v[0:1]
	v_add_nc_u32_e32 v17, v8, v2
	v_add_nc_u64_e32 v[14:15], 8, v[10:11]
	s_branch .LBB199_3
.LBB199_2:                              ;   in Loop: Header=BB199_3 Depth=1
	s_or_b32 exec_lo, exec_lo, s18
	s_add_co_i32 s20, s20, 0x10000
	s_delay_alu instid0(SALU_CYCLE_1)
	s_cmp_lt_u32 s20, s19
	s_cbranch_scc0 .LBB199_62
.LBB199_3:                              ; =>This Loop Header: Depth=1
                                        ;     Child Loop BB199_5 Depth 2
                                        ;     Child Loop BB199_16 Depth 2
	;; [unrolled: 1-line block ×3, first 2 shown]
                                        ;       Child Loop BB199_23 Depth 3
                                        ;         Child Loop BB199_24 Depth 4
                                        ;         Child Loop BB199_27 Depth 4
                                        ;           Child Loop BB199_28 Depth 5
                                        ;         Child Loop BB199_32 Depth 4
                                        ;           Child Loop BB199_34 Depth 5
                                        ;     Child Loop BB199_42 Depth 2
                                        ;       Child Loop BB199_45 Depth 3
                                        ;         Child Loop BB199_46 Depth 4
                                        ;         Child Loop BB199_48 Depth 4
                                        ;           Child Loop BB199_49 Depth 5
                                        ;         Child Loop BB199_53 Depth 4
                                        ;           Child Loop BB199_55 Depth 5
                                        ;     Child Loop BB199_61 Depth 2
	s_and_saveexec_b32 s14, s1
	s_cbranch_execz .LBB199_14
; %bb.4:                                ;   in Loop: Header=BB199_3 Depth=1
	s_delay_alu instid0(VALU_DEP_3) | instskip(SKIP_2) | instid1(VALU_DEP_2)
	v_mad_nc_u64_u32 v[0:1], s2, s20, v[12:13]
	v_mov_b32_e32 v2, v8
	s_mov_b32 s15, s24
	v_mad_u32 v1, s3, s20, v1
.LBB199_5:                              ;   Parent Loop BB199_3 Depth=1
                                        ; =>  This Inner Loop Header: Depth=2
	global_load_b128 v[4:7], v[0:1], off offset:-8
	s_wait_xcnt 0x0
	v_add_nc_u64_e32 v[0:1], s[8:9], v[0:1]
	s_add_co_i32 s15, s15, -1
	s_delay_alu instid0(SALU_CYCLE_1) | instskip(SKIP_2) | instid1(VALU_DEP_1)
	s_cmp_eq_u32 s15, 0
	s_wait_loadcnt 0x0
	v_xor_b32_e32 v3, 0x80000000, v7
	v_cndmask_b32_e64 v7, v7, v3, s0
	ds_store_b128 v2, v[4:7]
	v_add_nc_u32_e32 v2, 64, v2
	s_cbranch_scc0 .LBB199_5
; %bb.6:                                ;   in Loop: Header=BB199_3 Depth=1
	s_and_b32 vcc_lo, exec_lo, s26
	s_cbranch_vccz .LBB199_12
; %bb.7:                                ;   in Loop: Header=BB199_3 Depth=1
	ds_load_b128 v[0:3], v17
                                        ; implicit-def: $vgpr6_vgpr7
	s_wait_dscnt 0x0
	v_cmp_ngt_f64_e64 s15, |v[0:1]|, |v[2:3]|
	s_and_saveexec_b32 s18, s15
	s_delay_alu instid0(SALU_CYCLE_1)
	s_xor_b32 s15, exec_lo, s18
	s_cbranch_execz .LBB199_9
; %bb.8:                                ;   in Loop: Header=BB199_3 Depth=1
	v_div_scale_f64 v[4:5], null, v[2:3], v[2:3], v[0:1]
	v_div_scale_f64 v[20:21], vcc_lo, v[0:1], v[2:3], v[0:1]
	s_delay_alu instid0(VALU_DEP_2) | instskip(SKIP_1) | instid1(TRANS32_DEP_1)
	v_rcp_f64_e32 v[6:7], v[4:5]
	v_nop
	v_fma_f64 v[18:19], -v[4:5], v[6:7], 1.0
	s_delay_alu instid0(VALU_DEP_1) | instskip(NEXT) | instid1(VALU_DEP_1)
	v_fmac_f64_e32 v[6:7], v[6:7], v[18:19]
	v_fma_f64 v[18:19], -v[4:5], v[6:7], 1.0
	s_delay_alu instid0(VALU_DEP_1) | instskip(NEXT) | instid1(VALU_DEP_1)
	v_fmac_f64_e32 v[6:7], v[6:7], v[18:19]
	v_mul_f64_e32 v[18:19], v[20:21], v[6:7]
	s_delay_alu instid0(VALU_DEP_1) | instskip(NEXT) | instid1(VALU_DEP_1)
	v_fma_f64 v[4:5], -v[4:5], v[18:19], v[20:21]
	v_div_fmas_f64 v[4:5], v[4:5], v[6:7], v[18:19]
	s_delay_alu instid0(VALU_DEP_1) | instskip(NEXT) | instid1(VALU_DEP_1)
	v_div_fixup_f64 v[4:5], v[4:5], v[2:3], v[0:1]
	v_fmac_f64_e32 v[2:3], v[0:1], v[4:5]
	s_delay_alu instid0(VALU_DEP_1) | instskip(SKIP_1) | instid1(VALU_DEP_2)
	v_div_scale_f64 v[0:1], null, v[2:3], v[2:3], 1.0
	v_div_scale_f64 v[20:21], vcc_lo, 1.0, v[2:3], 1.0
	v_rcp_f64_e32 v[6:7], v[0:1]
	v_nop
	s_delay_alu instid0(TRANS32_DEP_1) | instskip(NEXT) | instid1(VALU_DEP_1)
	v_fma_f64 v[18:19], -v[0:1], v[6:7], 1.0
	v_fmac_f64_e32 v[6:7], v[6:7], v[18:19]
	s_delay_alu instid0(VALU_DEP_1) | instskip(NEXT) | instid1(VALU_DEP_1)
	v_fma_f64 v[18:19], -v[0:1], v[6:7], 1.0
	v_fmac_f64_e32 v[6:7], v[6:7], v[18:19]
	s_delay_alu instid0(VALU_DEP_1) | instskip(NEXT) | instid1(VALU_DEP_1)
	v_mul_f64_e32 v[18:19], v[20:21], v[6:7]
	v_fma_f64 v[0:1], -v[0:1], v[18:19], v[20:21]
	s_delay_alu instid0(VALU_DEP_1) | instskip(SKIP_1) | instid1(VALU_DEP_2)
	v_div_fmas_f64 v[0:1], v[0:1], v[6:7], v[18:19]
	v_add_f64_e32 v[6:7], 0, v[4:5]
	v_div_fixup_f64 v[0:1], v[0:1], v[2:3], 1.0
	v_fma_f64 v[2:3], v[4:5], 0, -1.0
	s_delay_alu instid0(VALU_DEP_2) | instskip(NEXT) | instid1(VALU_DEP_2)
	v_mul_f64_e32 v[4:5], v[6:7], v[0:1]
	v_mul_f64_e32 v[6:7], v[2:3], v[0:1]
                                        ; implicit-def: $vgpr0_vgpr1
.LBB199_9:                              ;   in Loop: Header=BB199_3 Depth=1
	s_and_not1_saveexec_b32 s15, s15
	s_cbranch_execz .LBB199_11
; %bb.10:                               ;   in Loop: Header=BB199_3 Depth=1
	v_div_scale_f64 v[4:5], null, v[0:1], v[0:1], v[2:3]
	v_div_scale_f64 v[20:21], vcc_lo, v[2:3], v[0:1], v[2:3]
	s_delay_alu instid0(VALU_DEP_2) | instskip(SKIP_1) | instid1(TRANS32_DEP_1)
	v_rcp_f64_e32 v[6:7], v[4:5]
	v_nop
	v_fma_f64 v[18:19], -v[4:5], v[6:7], 1.0
	s_delay_alu instid0(VALU_DEP_1) | instskip(NEXT) | instid1(VALU_DEP_1)
	v_fmac_f64_e32 v[6:7], v[6:7], v[18:19]
	v_fma_f64 v[18:19], -v[4:5], v[6:7], 1.0
	s_delay_alu instid0(VALU_DEP_1) | instskip(NEXT) | instid1(VALU_DEP_1)
	v_fmac_f64_e32 v[6:7], v[6:7], v[18:19]
	v_mul_f64_e32 v[18:19], v[20:21], v[6:7]
	s_delay_alu instid0(VALU_DEP_1) | instskip(NEXT) | instid1(VALU_DEP_1)
	v_fma_f64 v[4:5], -v[4:5], v[18:19], v[20:21]
	v_div_fmas_f64 v[4:5], v[4:5], v[6:7], v[18:19]
	s_delay_alu instid0(VALU_DEP_1) | instskip(NEXT) | instid1(VALU_DEP_1)
	v_div_fixup_f64 v[4:5], v[4:5], v[0:1], v[2:3]
	v_fmac_f64_e32 v[0:1], v[2:3], v[4:5]
	s_delay_alu instid0(VALU_DEP_1) | instskip(SKIP_1) | instid1(VALU_DEP_2)
	v_div_scale_f64 v[2:3], null, v[0:1], v[0:1], 1.0
	v_div_scale_f64 v[20:21], vcc_lo, 1.0, v[0:1], 1.0
	v_rcp_f64_e32 v[6:7], v[2:3]
	v_nop
	s_delay_alu instid0(TRANS32_DEP_1) | instskip(NEXT) | instid1(VALU_DEP_1)
	v_fma_f64 v[18:19], -v[2:3], v[6:7], 1.0
	v_fmac_f64_e32 v[6:7], v[6:7], v[18:19]
	s_delay_alu instid0(VALU_DEP_1) | instskip(NEXT) | instid1(VALU_DEP_1)
	v_fma_f64 v[18:19], -v[2:3], v[6:7], 1.0
	v_fmac_f64_e32 v[6:7], v[6:7], v[18:19]
	s_delay_alu instid0(VALU_DEP_1) | instskip(NEXT) | instid1(VALU_DEP_1)
	v_mul_f64_e32 v[18:19], v[20:21], v[6:7]
	v_fma_f64 v[2:3], -v[2:3], v[18:19], v[20:21]
	s_delay_alu instid0(VALU_DEP_1) | instskip(SKIP_1) | instid1(VALU_DEP_2)
	v_div_fmas_f64 v[2:3], v[2:3], v[6:7], v[18:19]
	v_fma_f64 v[6:7], v[4:5], 0, 1.0
	v_div_fixup_f64 v[0:1], v[2:3], v[0:1], 1.0
	v_add_f64_e64 v[2:3], -v[4:5], 0
	s_delay_alu instid0(VALU_DEP_2) | instskip(NEXT) | instid1(VALU_DEP_2)
	v_mul_f64_e32 v[4:5], v[6:7], v[0:1]
	v_mul_f64_e32 v[6:7], v[2:3], v[0:1]
.LBB199_11:                             ;   in Loop: Header=BB199_3 Depth=1
	s_or_b32 exec_lo, exec_lo, s15
	s_branch .LBB199_13
.LBB199_12:                             ;   in Loop: Header=BB199_3 Depth=1
	v_mov_b64_e32 v[6:7], 0
	v_mov_b64_e32 v[4:5], 1.0
.LBB199_13:                             ;   in Loop: Header=BB199_3 Depth=1
	ds_store_b128 v17, v[4:7]
.LBB199_14:                             ;   in Loop: Header=BB199_3 Depth=1
	s_or_b32 exec_lo, exec_lo, s14
	s_mul_u64 s[14:15], s[12:13], s[20:21]
	s_and_saveexec_b32 s18, s16
	s_cbranch_execz .LBB199_17
; %bb.15:                               ;   in Loop: Header=BB199_3 Depth=1
	v_add_nc_u64_e32 v[0:1], s[14:15], v[14:15]
	v_mov_b32_e32 v2, v16
	s_mov_b32 s22, s24
.LBB199_16:                             ;   Parent Loop BB199_3 Depth=1
                                        ; =>  This Inner Loop Header: Depth=2
	global_load_b128 v[4:7], v[0:1], off offset:-8
	s_wait_xcnt 0x0
	v_add_nc_u64_e32 v[0:1], 16, v[0:1]
	s_add_co_i32 s22, s22, -1
	s_delay_alu instid0(SALU_CYCLE_1) | instskip(SKIP_3) | instid1(VALU_DEP_2)
	s_cmp_lg_u32 s22, 0
	s_wait_loadcnt 0x0
	v_mul_f64_e32 v[18:19], s[6:7], v[6:7]
	v_mul_f64_e32 v[20:21], s[4:5], v[6:7]
	v_fma_f64 v[18:19], s[4:5], v[4:5], -v[18:19]
	s_delay_alu instid0(VALU_DEP_2)
	v_fmac_f64_e32 v[20:21], s[6:7], v[4:5]
	ds_store_b128 v2, v[18:21]
	v_add_nc_u32_e32 v2, 64, v2
	s_cbranch_scc1 .LBB199_16
.LBB199_17:                             ;   in Loop: Header=BB199_3 Depth=1
	s_or_b32 exec_lo, exec_lo, s18
	s_delay_alu instid0(SALU_CYCLE_1)
	s_and_not1_b32 vcc_lo, exec_lo, s27
	s_mov_b32 s18, -1
	s_wait_dscnt 0x0
	; wave barrier
	s_cbranch_vccnz .LBB199_39
; %bb.18:                               ;   in Loop: Header=BB199_3 Depth=1
	s_mov_b32 s22, 0
	s_mov_b32 s18, 0
	s_branch .LBB199_20
.LBB199_19:                             ;   in Loop: Header=BB199_20 Depth=2
	s_cmp_lt_i32 s18, s24
	s_cselect_b32 s23, -1, 0
	s_add_co_i32 s28, s22, 1
	s_cmp_lt_u32 s22, 2
	s_wait_xcnt 0x0
	s_cselect_b32 s22, -1, 0
	s_delay_alu instid0(SALU_CYCLE_1) | instskip(NEXT) | instid1(SALU_CYCLE_1)
	s_and_b32 s22, s23, s22
	s_and_b32 vcc_lo, exec_lo, s22
	s_mov_b32 s22, s28
	s_cbranch_vccz .LBB199_38
.LBB199_20:                             ;   Parent Loop BB199_3 Depth=1
                                        ; =>  This Loop Header: Depth=2
                                        ;       Child Loop BB199_23 Depth 3
                                        ;         Child Loop BB199_24 Depth 4
                                        ;         Child Loop BB199_27 Depth 4
                                        ;           Child Loop BB199_28 Depth 5
                                        ;         Child Loop BB199_32 Depth 4
                                        ;           Child Loop BB199_34 Depth 5
	s_load_b32 s23, s[10:11], s22 offset:0x0 scale_offset
	s_wait_kmcnt 0x0
	s_add_co_i32 s28, s23, -1
	s_delay_alu instid0(SALU_CYCLE_1) | instskip(NEXT) | instid1(SALU_CYCLE_1)
	s_add_co_i32 s29, s28, s18
	s_cmp_ge_i32 s29, s24
	s_cbranch_scc1 .LBB199_19
; %bb.21:                               ;   in Loop: Header=BB199_20 Depth=2
	s_lshl_b32 s29, s18, 6
	s_max_i32 s30, s23, 1
	v_add_nc_u32_e32 v4, s29, v16
	s_lshl_b32 s31, s23, 6
	s_mul_i32 s33, s18, 0x50
	s_mul_i32 s34, s23, 0x50
	s_branch .LBB199_23
.LBB199_22:                             ;   in Loop: Header=BB199_23 Depth=3
	s_add_co_i32 s18, s18, s23
	v_add_nc_u32_e32 v4, s31, v4
	s_add_co_i32 s35, s28, s18
	s_add_co_i32 s29, s29, s31
	;; [unrolled: 1-line block ×3, first 2 shown]
	s_cmp_ge_i32 s35, s24
	s_cbranch_scc1 .LBB199_19
.LBB199_23:                             ;   Parent Loop BB199_3 Depth=1
                                        ;     Parent Loop BB199_20 Depth=2
                                        ; =>    This Loop Header: Depth=3
                                        ;         Child Loop BB199_24 Depth 4
                                        ;         Child Loop BB199_27 Depth 4
                                        ;           Child Loop BB199_28 Depth 5
                                        ;         Child Loop BB199_32 Depth 4
                                        ;           Child Loop BB199_34 Depth 5
	v_dual_mov_b32 v0, v9 :: v_dual_mov_b32 v1, v4
	s_mov_b32 s35, s30
.LBB199_24:                             ;   Parent Loop BB199_3 Depth=1
                                        ;     Parent Loop BB199_20 Depth=2
                                        ;       Parent Loop BB199_23 Depth=3
                                        ; =>      This Inner Loop Header: Depth=4
	ds_load_b128 v[18:21], v1
	v_add_nc_u32_e32 v1, 64, v1
	s_add_co_i32 s35, s35, -1
	s_delay_alu instid0(SALU_CYCLE_1)
	s_cmp_eq_u32 s35, 0
	s_wait_dscnt 0x0
	ds_store_b128 v0, v[18:21]
	v_add_nc_u32_e32 v0, 16, v0
	s_cbranch_scc0 .LBB199_24
; %bb.25:                               ;   in Loop: Header=BB199_23 Depth=3
	s_cmp_lt_i32 s18, 1
	s_cbranch_scc1 .LBB199_30
; %bb.26:                               ;   in Loop: Header=BB199_23 Depth=3
	s_mov_b32 s35, 0
	s_mov_b32 s36, s29
.LBB199_27:                             ;   Parent Loop BB199_3 Depth=1
                                        ;     Parent Loop BB199_20 Depth=2
                                        ;       Parent Loop BB199_23 Depth=3
                                        ; =>      This Loop Header: Depth=4
                                        ;           Child Loop BB199_28 Depth 5
	v_lshl_add_u32 v0, s35, 6, v16
	v_mov_b32_e32 v5, v9
	s_mov_b32 s37, s36
	s_mov_b32 s38, s30
	ds_load_b128 v[0:3], v0
.LBB199_28:                             ;   Parent Loop BB199_3 Depth=1
                                        ;     Parent Loop BB199_20 Depth=2
                                        ;       Parent Loop BB199_23 Depth=3
                                        ;         Parent Loop BB199_27 Depth=4
                                        ; =>        This Inner Loop Header: Depth=5
	v_mov_b32_e32 v6, s37
	s_add_co_i32 s38, s38, -1
	s_add_co_i32 s37, s37, 64
	s_cmp_eq_u32 s38, 0
	ds_load_b128 v[18:21], v6
	s_wait_dscnt 0x0
	v_mul_f64_e32 v[6:7], v[2:3], v[20:21]
	v_mul_f64_e32 v[22:23], v[0:1], v[20:21]
	s_delay_alu instid0(VALU_DEP_2) | instskip(NEXT) | instid1(VALU_DEP_2)
	v_fma_f64 v[6:7], v[0:1], v[18:19], -v[6:7]
	v_fmac_f64_e32 v[22:23], v[2:3], v[18:19]
	ds_load_b128 v[18:21], v5
	s_wait_dscnt 0x0
	v_add_f64_e64 v[18:19], v[18:19], -v[6:7]
	v_add_f64_e64 v[20:21], v[20:21], -v[22:23]
	ds_store_b128 v5, v[18:21]
	v_add_nc_u32_e32 v5, 16, v5
	s_cbranch_scc0 .LBB199_28
; %bb.29:                               ;   in Loop: Header=BB199_27 Depth=4
	s_add_co_i32 s35, s35, 1
	s_add_co_i32 s36, s36, 16
	s_cmp_eq_u32 s35, s18
	s_cbranch_scc0 .LBB199_27
.LBB199_30:                             ;   in Loop: Header=BB199_23 Depth=3
	s_lshl_b32 s35, s18, 6
	s_mov_b32 s36, 0
	s_mov_b32 s37, s33
	s_branch .LBB199_32
.LBB199_31:                             ;   in Loop: Header=BB199_32 Depth=4
	s_mulk_i32 s39, 0x50
	s_add_co_i32 s36, s36, 1
	v_mov_b32_e32 v6, s39
	s_add_co_i32 s37, s37, 64
	s_cmp_eq_u32 s36, s30
	ds_load_b128 v[18:21], v6
	s_wait_dscnt 0x0
	v_mul_f64_e32 v[6:7], v[20:21], v[2:3]
	v_mul_f64_e32 v[24:25], v[18:19], v[2:3]
	s_delay_alu instid0(VALU_DEP_2) | instskip(NEXT) | instid1(VALU_DEP_2)
	v_fma_f64 v[22:23], v[18:19], v[0:1], -v[6:7]
	v_fmac_f64_e32 v[24:25], v[20:21], v[0:1]
	v_add_nc_u32_e32 v0, s38, v16
	ds_store_b128 v5, v[22:25]
	ds_store_b128 v0, v[22:25]
	s_cbranch_scc1 .LBB199_22
.LBB199_32:                             ;   Parent Loop BB199_3 Depth=1
                                        ;     Parent Loop BB199_20 Depth=2
                                        ;       Parent Loop BB199_23 Depth=3
                                        ; =>      This Loop Header: Depth=4
                                        ;           Child Loop BB199_34 Depth 5
	v_lshl_add_u32 v5, s36, 4, v9
	s_cmp_lg_u32 s36, 0
	s_cbranch_scc0 .LBB199_36
; %bb.33:                               ;   in Loop: Header=BB199_32 Depth=4
	ds_load_b128 v[0:3], v5
	v_mov_b32_e32 v6, v9
	s_add_co_i32 s39, s36, s18
	s_mov_b32 s40, s37
	s_lshl_b32 s38, s39, 6
	s_mov_b32 s41, s36
.LBB199_34:                             ;   Parent Loop BB199_3 Depth=1
                                        ;     Parent Loop BB199_20 Depth=2
                                        ;       Parent Loop BB199_23 Depth=3
                                        ;         Parent Loop BB199_32 Depth=4
                                        ; =>        This Inner Loop Header: Depth=5
	v_mov_b32_e32 v7, s40
	s_add_co_i32 s41, s41, -1
	s_add_co_i32 s40, s40, 16
	s_cmp_eq_u32 s41, 0
	ds_load_b128 v[18:21], v6
	ds_load_b128 v[22:25], v7
	s_wait_dscnt 0x0
	v_dual_mul_f64 v[26:27], v[24:25], v[20:21] :: v_dual_add_nc_u32 v6, 16, v6
	v_mul_f64_e32 v[20:21], v[22:23], v[20:21]
	s_delay_alu instid0(VALU_DEP_2) | instskip(NEXT) | instid1(VALU_DEP_2)
	v_fma_f64 v[22:23], v[22:23], v[18:19], -v[26:27]
	v_fmac_f64_e32 v[20:21], v[24:25], v[18:19]
	s_delay_alu instid0(VALU_DEP_2) | instskip(NEXT) | instid1(VALU_DEP_2)
	v_add_f64_e64 v[0:1], v[0:1], -v[22:23]
	v_add_f64_e64 v[2:3], v[2:3], -v[20:21]
	ds_store_b128 v5, v[0:3]
	s_cbranch_scc0 .LBB199_34
; %bb.35:                               ;   in Loop: Header=BB199_32 Depth=4
	s_branch .LBB199_31
.LBB199_36:                             ;   in Loop: Header=BB199_32 Depth=4
                                        ; implicit-def: $vgpr0_vgpr1
                                        ; implicit-def: $sgpr39
                                        ; implicit-def: $sgpr38
	s_cbranch_execz .LBB199_31
; %bb.37:                               ;   in Loop: Header=BB199_32 Depth=4
	ds_load_b128 v[0:3], v9
	s_mov_b32 s38, s35
	s_mov_b32 s39, s18
	s_branch .LBB199_31
.LBB199_38:                             ;   in Loop: Header=BB199_3 Depth=1
	s_mov_b32 s18, 0
.LBB199_39:                             ;   in Loop: Header=BB199_3 Depth=1
	s_delay_alu instid0(SALU_CYCLE_1)
	s_and_b32 vcc_lo, exec_lo, s18
	s_cbranch_vccz .LBB199_59
; %bb.40:                               ;   in Loop: Header=BB199_3 Depth=1
	s_mov_b32 s22, 0
	s_mov_b32 s18, s25
	s_branch .LBB199_42
.LBB199_41:                             ;   in Loop: Header=BB199_42 Depth=2
	s_cmp_gt_i32 s18, -1
	s_cselect_b32 s23, -1, 0
	s_add_co_i32 s28, s22, 1
	s_cmp_lt_u32 s22, 2
	s_wait_xcnt 0x0
	s_cselect_b32 s22, -1, 0
	s_delay_alu instid0(SALU_CYCLE_1) | instskip(NEXT) | instid1(SALU_CYCLE_1)
	s_and_b32 s22, s23, s22
	s_and_not1_b32 vcc_lo, exec_lo, s22
	s_mov_b32 s22, s28
	s_cbranch_vccnz .LBB199_59
.LBB199_42:                             ;   Parent Loop BB199_3 Depth=1
                                        ; =>  This Loop Header: Depth=2
                                        ;       Child Loop BB199_45 Depth 3
                                        ;         Child Loop BB199_46 Depth 4
                                        ;         Child Loop BB199_48 Depth 4
                                        ;           Child Loop BB199_49 Depth 5
                                        ;         Child Loop BB199_53 Depth 4
                                        ;           Child Loop BB199_55 Depth 5
	s_load_b32 s23, s[10:11], s22 offset:0x0 scale_offset
	s_wait_kmcnt 0x0
	s_add_co_i32 s28, s23, -1
	s_delay_alu instid0(SALU_CYCLE_1)
	s_cmp_lt_i32 s18, s28
	s_cbranch_scc1 .LBB199_41
; %bb.43:                               ;   in Loop: Header=BB199_42 Depth=2
	v_lshl_add_u32 v4, s18, 6, v16
	s_lshl_b32 s30, s23, 6
	s_lshl_b32 s31, s18, 4
	;; [unrolled: 1-line block ×3, first 2 shown]
	s_max_i32 s29, s23, 1
	s_sub_co_i32 s30, 0, s30
	s_add_co_i32 s31, s17, s31
	s_sub_co_i32 s33, 0, s33
	s_mul_i32 s34, s18, 0x50
	s_mul_i32 s35, s23, 0xffffffb0
	s_branch .LBB199_45
.LBB199_44:                             ;   in Loop: Header=BB199_45 Depth=3
	v_add_nc_u32_e32 v4, s30, v4
	s_sub_co_i32 s18, s18, s23
	s_add_co_i32 s31, s31, s33
	s_add_co_i32 s34, s34, s35
	s_cmp_lt_i32 s18, s28
	s_cbranch_scc1 .LBB199_41
.LBB199_45:                             ;   Parent Loop BB199_3 Depth=1
                                        ;     Parent Loop BB199_42 Depth=2
                                        ; =>    This Loop Header: Depth=3
                                        ;         Child Loop BB199_46 Depth 4
                                        ;         Child Loop BB199_48 Depth 4
                                        ;           Child Loop BB199_49 Depth 5
                                        ;         Child Loop BB199_53 Depth 4
                                        ;           Child Loop BB199_55 Depth 5
	v_dual_mov_b32 v0, v9 :: v_dual_mov_b32 v1, v4
	s_mov_b32 s36, s29
.LBB199_46:                             ;   Parent Loop BB199_3 Depth=1
                                        ;     Parent Loop BB199_42 Depth=2
                                        ;       Parent Loop BB199_45 Depth=3
                                        ; =>      This Inner Loop Header: Depth=4
	ds_load_b128 v[18:21], v1
	v_subrev_nc_u32_e32 v1, 64, v1
	s_add_co_i32 s36, s36, -1
	s_delay_alu instid0(SALU_CYCLE_1)
	s_cmp_eq_u32 s36, 0
	s_wait_dscnt 0x0
	ds_store_b128 v0, v[18:21]
	v_add_nc_u32_e32 v0, 16, v0
	s_cbranch_scc0 .LBB199_46
; %bb.47:                               ;   in Loop: Header=BB199_45 Depth=3
	s_cmp_le_i32 s25, s18
	s_mov_b32 s36, s31
	s_mov_b32 s37, s25
	s_cbranch_scc1 .LBB199_51
.LBB199_48:                             ;   Parent Loop BB199_3 Depth=1
                                        ;     Parent Loop BB199_42 Depth=2
                                        ;       Parent Loop BB199_45 Depth=3
                                        ; =>      This Loop Header: Depth=4
                                        ;           Child Loop BB199_49 Depth 5
	v_lshl_add_u32 v0, s37, 6, v16
	v_mov_b32_e32 v5, v9
	s_mov_b32 s38, s36
	s_mov_b32 s39, s29
	ds_load_b128 v[0:3], v0
.LBB199_49:                             ;   Parent Loop BB199_3 Depth=1
                                        ;     Parent Loop BB199_42 Depth=2
                                        ;       Parent Loop BB199_45 Depth=3
                                        ;         Parent Loop BB199_48 Depth=4
                                        ; =>        This Inner Loop Header: Depth=5
	v_mov_b32_e32 v6, s38
	s_add_co_i32 s39, s39, -1
	s_add_co_i32 s38, s38, -16
	s_cmp_eq_u32 s39, 0
	ds_load_b128 v[18:21], v6
	s_wait_dscnt 0x0
	v_mul_f64_e32 v[6:7], v[2:3], v[20:21]
	v_mul_f64_e32 v[22:23], v[0:1], v[20:21]
	s_delay_alu instid0(VALU_DEP_2) | instskip(NEXT) | instid1(VALU_DEP_2)
	v_fma_f64 v[6:7], v[0:1], v[18:19], -v[6:7]
	v_fmac_f64_e32 v[22:23], v[2:3], v[18:19]
	ds_load_b128 v[18:21], v5
	s_wait_dscnt 0x0
	v_add_f64_e64 v[18:19], v[18:19], -v[6:7]
	v_add_f64_e64 v[20:21], v[20:21], -v[22:23]
	ds_store_b128 v5, v[18:21]
	v_add_nc_u32_e32 v5, 16, v5
	s_cbranch_scc0 .LBB199_49
; %bb.50:                               ;   in Loop: Header=BB199_48 Depth=4
	s_add_co_i32 s37, s37, -1
	s_sub_co_i32 s36, s36, 64
	s_cmp_le_i32 s37, s18
	s_cbranch_scc0 .LBB199_48
.LBB199_51:                             ;   in Loop: Header=BB199_45 Depth=3
	s_mov_b32 s36, 0
	s_mov_b32 s37, s34
	s_branch .LBB199_53
.LBB199_52:                             ;   in Loop: Header=BB199_53 Depth=4
	s_mul_i32 s39, s38, 0x50
	s_add_co_i32 s36, s36, 1
	v_mov_b32_e32 v6, s39
	s_add_co_i32 s37, s37, -16
	s_cmp_eq_u32 s36, s29
	ds_load_b128 v[18:21], v6
	s_wait_dscnt 0x0
	v_mul_f64_e32 v[6:7], v[20:21], v[2:3]
	v_mul_f64_e32 v[24:25], v[18:19], v[2:3]
	s_delay_alu instid0(VALU_DEP_2) | instskip(NEXT) | instid1(VALU_DEP_2)
	v_fma_f64 v[22:23], v[18:19], v[0:1], -v[6:7]
	v_fmac_f64_e32 v[24:25], v[20:21], v[0:1]
	v_lshl_add_u32 v0, s38, 6, v16
	ds_store_b128 v5, v[22:25]
	ds_store_b128 v0, v[22:25]
	s_cbranch_scc1 .LBB199_44
.LBB199_53:                             ;   Parent Loop BB199_3 Depth=1
                                        ;     Parent Loop BB199_42 Depth=2
                                        ;       Parent Loop BB199_45 Depth=3
                                        ; =>      This Loop Header: Depth=4
                                        ;           Child Loop BB199_55 Depth 5
	v_lshl_add_u32 v5, s36, 4, v9
	s_cmp_lg_u32 s36, 0
	s_cbranch_scc0 .LBB199_57
; %bb.54:                               ;   in Loop: Header=BB199_53 Depth=4
	ds_load_b128 v[0:3], v5
	v_mov_b32_e32 v6, v9
	s_sub_co_i32 s38, s18, s36
	s_mov_b32 s39, s37
	s_mov_b32 s40, s36
.LBB199_55:                             ;   Parent Loop BB199_3 Depth=1
                                        ;     Parent Loop BB199_42 Depth=2
                                        ;       Parent Loop BB199_45 Depth=3
                                        ;         Parent Loop BB199_53 Depth=4
                                        ; =>        This Inner Loop Header: Depth=5
	v_mov_b32_e32 v7, s39
	s_add_co_i32 s40, s40, -1
	s_sub_co_i32 s39, s39, 64
	s_cmp_eq_u32 s40, 0
	ds_load_b128 v[18:21], v6
	ds_load_b128 v[22:25], v7
	s_wait_dscnt 0x0
	v_dual_mul_f64 v[26:27], v[24:25], v[20:21] :: v_dual_add_nc_u32 v6, 16, v6
	v_mul_f64_e32 v[20:21], v[22:23], v[20:21]
	s_delay_alu instid0(VALU_DEP_2) | instskip(NEXT) | instid1(VALU_DEP_2)
	v_fma_f64 v[22:23], v[22:23], v[18:19], -v[26:27]
	v_fmac_f64_e32 v[20:21], v[24:25], v[18:19]
	s_delay_alu instid0(VALU_DEP_2) | instskip(NEXT) | instid1(VALU_DEP_2)
	v_add_f64_e64 v[0:1], v[0:1], -v[22:23]
	v_add_f64_e64 v[2:3], v[2:3], -v[20:21]
	ds_store_b128 v5, v[0:3]
	s_cbranch_scc0 .LBB199_55
; %bb.56:                               ;   in Loop: Header=BB199_53 Depth=4
	s_branch .LBB199_52
.LBB199_57:                             ;   in Loop: Header=BB199_53 Depth=4
                                        ; implicit-def: $vgpr0_vgpr1
                                        ; implicit-def: $sgpr38
	s_cbranch_execz .LBB199_52
; %bb.58:                               ;   in Loop: Header=BB199_53 Depth=4
	ds_load_b128 v[0:3], v9
	s_mov_b32 s38, s18
	s_branch .LBB199_52
.LBB199_59:                             ;   in Loop: Header=BB199_3 Depth=1
	s_wait_dscnt 0x0
	; wave barrier
	s_and_saveexec_b32 s18, s16
	s_cbranch_execz .LBB199_2
; %bb.60:                               ;   in Loop: Header=BB199_3 Depth=1
	v_add_nc_u64_e32 v[0:1], s[14:15], v[10:11]
	v_mov_b32_e32 v2, v16
	s_mov_b32 s14, s24
.LBB199_61:                             ;   Parent Loop BB199_3 Depth=1
                                        ; =>  This Inner Loop Header: Depth=2
	ds_load_2addr_b64 v[4:7], v2 offset1:1
	v_add_nc_u32_e32 v2, 64, v2
	s_add_co_i32 s14, s14, -1
	s_delay_alu instid0(SALU_CYCLE_1)
	s_cmp_lg_u32 s14, 0
	s_wait_dscnt 0x0
	global_store_b128 v[0:1], v[4:7], off
	s_wait_xcnt 0x0
	v_add_nc_u64_e32 v[0:1], 16, v[0:1]
	s_cbranch_scc1 .LBB199_61
	s_branch .LBB199_2
.LBB199_62:
	s_endpgm
	.section	.rodata,"a",@progbits
	.p2align	6, 0x0
	.amdhsa_kernel _ZL38rocblas_trsm_small_left_device_sharedBILi4ELi4ELb0E19rocblas_complex_numIdES1_PKS1_PS1_Ev13rocblas_fill_18rocblas_operation_17rocblas_diagonal_iiT3_T4_lilT5_lili
		.amdhsa_group_segment_fixed_size 768
		.amdhsa_private_segment_fixed_size 0
		.amdhsa_kernarg_size 368
		.amdhsa_user_sgpr_count 4
		.amdhsa_user_sgpr_dispatch_ptr 1
		.amdhsa_user_sgpr_queue_ptr 0
		.amdhsa_user_sgpr_kernarg_segment_ptr 1
		.amdhsa_user_sgpr_dispatch_id 0
		.amdhsa_user_sgpr_kernarg_preload_length 0
		.amdhsa_user_sgpr_kernarg_preload_offset 0
		.amdhsa_user_sgpr_private_segment_size 0
		.amdhsa_wavefront_size32 1
		.amdhsa_uses_dynamic_stack 0
		.amdhsa_enable_private_segment 0
		.amdhsa_system_sgpr_workgroup_id_x 1
		.amdhsa_system_sgpr_workgroup_id_y 0
		.amdhsa_system_sgpr_workgroup_id_z 1
		.amdhsa_system_sgpr_workgroup_info 0
		.amdhsa_system_vgpr_workitem_id 2
		.amdhsa_next_free_vgpr 28
		.amdhsa_next_free_sgpr 42
		.amdhsa_named_barrier_count 0
		.amdhsa_reserve_vcc 1
		.amdhsa_float_round_mode_32 0
		.amdhsa_float_round_mode_16_64 0
		.amdhsa_float_denorm_mode_32 3
		.amdhsa_float_denorm_mode_16_64 3
		.amdhsa_fp16_overflow 0
		.amdhsa_memory_ordered 1
		.amdhsa_forward_progress 1
		.amdhsa_inst_pref_size 21
		.amdhsa_round_robin_scheduling 0
		.amdhsa_exception_fp_ieee_invalid_op 0
		.amdhsa_exception_fp_denorm_src 0
		.amdhsa_exception_fp_ieee_div_zero 0
		.amdhsa_exception_fp_ieee_overflow 0
		.amdhsa_exception_fp_ieee_underflow 0
		.amdhsa_exception_fp_ieee_inexact 0
		.amdhsa_exception_int_div_zero 0
	.end_amdhsa_kernel
	.section	.text._ZL38rocblas_trsm_small_left_device_sharedBILi4ELi4ELb0E19rocblas_complex_numIdES1_PKS1_PS1_Ev13rocblas_fill_18rocblas_operation_17rocblas_diagonal_iiT3_T4_lilT5_lili,"axG",@progbits,_ZL38rocblas_trsm_small_left_device_sharedBILi4ELi4ELb0E19rocblas_complex_numIdES1_PKS1_PS1_Ev13rocblas_fill_18rocblas_operation_17rocblas_diagonal_iiT3_T4_lilT5_lili,comdat
.Lfunc_end199:
	.size	_ZL38rocblas_trsm_small_left_device_sharedBILi4ELi4ELb0E19rocblas_complex_numIdES1_PKS1_PS1_Ev13rocblas_fill_18rocblas_operation_17rocblas_diagonal_iiT3_T4_lilT5_lili, .Lfunc_end199-_ZL38rocblas_trsm_small_left_device_sharedBILi4ELi4ELb0E19rocblas_complex_numIdES1_PKS1_PS1_Ev13rocblas_fill_18rocblas_operation_17rocblas_diagonal_iiT3_T4_lilT5_lili
                                        ; -- End function
	.set _ZL38rocblas_trsm_small_left_device_sharedBILi4ELi4ELb0E19rocblas_complex_numIdES1_PKS1_PS1_Ev13rocblas_fill_18rocblas_operation_17rocblas_diagonal_iiT3_T4_lilT5_lili.num_vgpr, 28
	.set _ZL38rocblas_trsm_small_left_device_sharedBILi4ELi4ELb0E19rocblas_complex_numIdES1_PKS1_PS1_Ev13rocblas_fill_18rocblas_operation_17rocblas_diagonal_iiT3_T4_lilT5_lili.num_agpr, 0
	.set _ZL38rocblas_trsm_small_left_device_sharedBILi4ELi4ELb0E19rocblas_complex_numIdES1_PKS1_PS1_Ev13rocblas_fill_18rocblas_operation_17rocblas_diagonal_iiT3_T4_lilT5_lili.numbered_sgpr, 42
	.set _ZL38rocblas_trsm_small_left_device_sharedBILi4ELi4ELb0E19rocblas_complex_numIdES1_PKS1_PS1_Ev13rocblas_fill_18rocblas_operation_17rocblas_diagonal_iiT3_T4_lilT5_lili.num_named_barrier, 0
	.set _ZL38rocblas_trsm_small_left_device_sharedBILi4ELi4ELb0E19rocblas_complex_numIdES1_PKS1_PS1_Ev13rocblas_fill_18rocblas_operation_17rocblas_diagonal_iiT3_T4_lilT5_lili.private_seg_size, 0
	.set _ZL38rocblas_trsm_small_left_device_sharedBILi4ELi4ELb0E19rocblas_complex_numIdES1_PKS1_PS1_Ev13rocblas_fill_18rocblas_operation_17rocblas_diagonal_iiT3_T4_lilT5_lili.uses_vcc, 1
	.set _ZL38rocblas_trsm_small_left_device_sharedBILi4ELi4ELb0E19rocblas_complex_numIdES1_PKS1_PS1_Ev13rocblas_fill_18rocblas_operation_17rocblas_diagonal_iiT3_T4_lilT5_lili.uses_flat_scratch, 0
	.set _ZL38rocblas_trsm_small_left_device_sharedBILi4ELi4ELb0E19rocblas_complex_numIdES1_PKS1_PS1_Ev13rocblas_fill_18rocblas_operation_17rocblas_diagonal_iiT3_T4_lilT5_lili.has_dyn_sized_stack, 0
	.set _ZL38rocblas_trsm_small_left_device_sharedBILi4ELi4ELb0E19rocblas_complex_numIdES1_PKS1_PS1_Ev13rocblas_fill_18rocblas_operation_17rocblas_diagonal_iiT3_T4_lilT5_lili.has_recursion, 0
	.set _ZL38rocblas_trsm_small_left_device_sharedBILi4ELi4ELb0E19rocblas_complex_numIdES1_PKS1_PS1_Ev13rocblas_fill_18rocblas_operation_17rocblas_diagonal_iiT3_T4_lilT5_lili.has_indirect_call, 0
	.section	.AMDGPU.csdata,"",@progbits
; Kernel info:
; codeLenInByte = 2632
; TotalNumSgprs: 44
; NumVgprs: 28
; ScratchSize: 0
; MemoryBound: 0
; FloatMode: 240
; IeeeMode: 1
; LDSByteSize: 768 bytes/workgroup (compile time only)
; SGPRBlocks: 0
; VGPRBlocks: 1
; NumSGPRsForWavesPerEU: 44
; NumVGPRsForWavesPerEU: 28
; NamedBarCnt: 0
; Occupancy: 16
; WaveLimiterHint : 0
; COMPUTE_PGM_RSRC2:SCRATCH_EN: 0
; COMPUTE_PGM_RSRC2:USER_SGPR: 4
; COMPUTE_PGM_RSRC2:TRAP_HANDLER: 0
; COMPUTE_PGM_RSRC2:TGID_X_EN: 1
; COMPUTE_PGM_RSRC2:TGID_Y_EN: 0
; COMPUTE_PGM_RSRC2:TGID_Z_EN: 1
; COMPUTE_PGM_RSRC2:TIDIG_COMP_CNT: 2
	.section	.text._ZL30rocblas_trsm_small_left_deviceILi4ELi4ELb0E19rocblas_complex_numIdES1_PKS1_PS1_Ev13rocblas_fill_18rocblas_operation_17rocblas_diagonal_iiT3_T4_lilT5_lili,"axG",@progbits,_ZL30rocblas_trsm_small_left_deviceILi4ELi4ELb0E19rocblas_complex_numIdES1_PKS1_PS1_Ev13rocblas_fill_18rocblas_operation_17rocblas_diagonal_iiT3_T4_lilT5_lili,comdat
	.globl	_ZL30rocblas_trsm_small_left_deviceILi4ELi4ELb0E19rocblas_complex_numIdES1_PKS1_PS1_Ev13rocblas_fill_18rocblas_operation_17rocblas_diagonal_iiT3_T4_lilT5_lili ; -- Begin function _ZL30rocblas_trsm_small_left_deviceILi4ELi4ELb0E19rocblas_complex_numIdES1_PKS1_PS1_Ev13rocblas_fill_18rocblas_operation_17rocblas_diagonal_iiT3_T4_lilT5_lili
	.p2align	8
	.type	_ZL30rocblas_trsm_small_left_deviceILi4ELi4ELb0E19rocblas_complex_numIdES1_PKS1_PS1_Ev13rocblas_fill_18rocblas_operation_17rocblas_diagonal_iiT3_T4_lilT5_lili,@function
_ZL30rocblas_trsm_small_left_deviceILi4ELi4ELb0E19rocblas_complex_numIdES1_PKS1_PS1_Ev13rocblas_fill_18rocblas_operation_17rocblas_diagonal_iiT3_T4_lilT5_lili: ; @_ZL30rocblas_trsm_small_left_deviceILi4ELi4ELb0E19rocblas_complex_numIdES1_PKS1_PS1_Ev13rocblas_fill_18rocblas_operation_17rocblas_diagonal_iiT3_T4_lilT5_lili
; %bb.0:
	s_load_b32 s33, s[2:3], 0x68
	s_bfe_u32 s4, ttmp6, 0x40014
	s_lshr_b32 s5, ttmp7, 16
	s_add_co_i32 s4, s4, 1
	s_bfe_u32 s6, ttmp6, 0x40008
	s_mul_i32 s4, s5, s4
	s_getreg_b32 s7, hwreg(HW_REG_IB_STS2, 6, 4)
	s_add_co_i32 s6, s6, s4
	s_cmp_eq_u32 s7, 0
	s_mov_b32 s23, 0
	s_cselect_b32 s20, s5, s6
	s_wait_kmcnt 0x0
	s_cmp_ge_u32 s20, s33
	s_cbranch_scc1 .LBB200_58
; %bb.1:
	s_clause 0x1
	s_load_b32 s26, s[2:3], 0x38
	s_load_b96 s[4:6], s[2:3], 0x50
	s_load_b64 s[28:29], s[0:1], 0x4
	s_clause 0x3
	s_load_b128 s[12:15], s[2:3], 0x4
	s_load_b32 s8, s[2:3], 0x70
	s_load_b64 s[24:25], s[2:3], 0x60
	s_load_b128 s[16:19], s[2:3], 0x40
	v_and_b32_e32 v4, 0x3ff, v0
	v_bfe_u32 v1, v0, 10, 10
	v_bfe_u32 v0, v0, 20, 10
	s_mov_b32 s38, 0
	s_delay_alu instid0(VALU_DEP_3) | instskip(SKIP_1) | instid1(VALU_DEP_1)
	v_dual_mov_b32 v9, 0 :: v_dual_lshlrev_b32 v6, 6, v4
	v_lshlrev_b32_e32 v8, 4, v4
	v_add_nc_u32_e32 v18, v8, v6
	s_wait_kmcnt 0x0
	s_ashr_i32 s27, s26, 31
	s_ashr_i32 s9, s6, 31
	s_lshr_b32 s1, s28, 16
	s_cmp_eq_u32 s12, 0x71
	s_mul_i32 s1, s1, s29
	s_cselect_b32 s0, -1, 0
	s_lshl_b64 s[30:31], s[4:5], 4
	s_bfe_u32 s4, ttmp6, 0x4000c
	s_min_i32 s34, s14, 4
	s_add_co_i32 s4, s4, 1
	s_and_b32 s5, ttmp6, 15
	s_mul_i32 s4, ttmp9, s4
	s_add_co_i32 s14, s8, -1
	s_add_co_i32 s35, s34, -1
	s_add_co_i32 s5, s5, s4
	s_cmp_eq_u32 s7, 0
	s_mov_b32 s8, s6
	s_cselect_b32 s21, ttmp9, s5
	v_mul_u32_u24_e32 v1, s29, v1
	s_lshl_b32 s22, s21, 2
	v_mul_u32_u24_e32 v5, s1, v4
	v_or_b32_e32 v2, s22, v4
	v_cmp_gt_i32_e64 s1, s34, v4
	s_delay_alu instid0(VALU_DEP_3) | instskip(NEXT) | instid1(VALU_DEP_3)
	v_add3_u32 v5, v5, v1, v0
	v_ashrrev_i32_e32 v3, 31, v2
	s_delay_alu instid0(VALU_DEP_1)
	v_mul_u64_e32 v[2:3], s[8:9], v[2:3]
	s_load_b256 s[4:11], s[2:3], 0x18
	s_wait_xcnt 0x0
	s_sub_co_i32 s2, s15, s22
	s_cmp_ge_u32 s21, s14
	s_cselect_b32 s2, s2, 4
	s_cmp_lg_u32 s13, 0x84
	v_cmp_gt_i32_e64 s2, s2, v4
	s_cselect_b32 s3, -1, 0
	s_cmp_lg_u32 s12, 0x6f
	s_get_pc_i64 s[12:13]
	s_add_nc_u64 s[12:13], s[12:13], __const._ZL30rocblas_trsm_small_left_deviceILi4ELi4ELb0E19rocblas_complex_numIdES1_PKS1_PS1_Ev13rocblas_fill_18rocblas_operation_17rocblas_diagonal_iiT3_T4_lilT5_lili.step_sizes@rel64+4
	s_cselect_b32 s36, -1, 0
	s_lshl_b64 s[14:15], s[24:25], 4
	s_wait_kmcnt 0x0
	s_lshl_b64 s[10:11], s[10:11], 4
	s_delay_alu instid0(SALU_CYCLE_1)
	s_add_nc_u64 s[8:9], s[8:9], s[10:11]
	s_add_nc_u64 s[10:11], s[18:19], s[30:31]
	v_add_nc_u64_e32 v[0:1], s[8:9], v[8:9]
	v_lshl_add_u32 v9, v5, 6, 0x100
	s_lshl_b64 s[8:9], s[16:17], 4
	s_lshl_b32 s16, s34, 6
	s_delay_alu instid0(SALU_CYCLE_1) | instskip(SKIP_1) | instid1(VALU_DEP_3)
	s_sub_co_i32 s37, s16, 64
	v_lshl_add_u64 v[10:11], v[2:3], 4, s[10:11]
	v_add_nc_u64_e32 v[12:13], 8, v[0:1]
	s_lshl_b64 s[10:11], s[26:27], 4
	s_delay_alu instid0(VALU_DEP_2)
	v_add_nc_u64_e32 v[14:15], 8, v[10:11]
	s_branch .LBB200_4
.LBB200_2:                              ;   in Loop: Header=BB200_4 Depth=1
	s_add_co_i32 s20, s20, 0x10000
	s_delay_alu instid0(SALU_CYCLE_1) | instskip(SKIP_1) | instid1(SALU_CYCLE_1)
	s_cmp_ge_u32 s20, s33
	s_cselect_b32 s16, -1, 0
	s_or_not1_b32 s16, s16, exec_lo
.LBB200_3:                              ;   in Loop: Header=BB200_4 Depth=1
	s_wait_xcnt 0x0
	s_or_b32 exec_lo, exec_lo, s39
	s_delay_alu instid0(SALU_CYCLE_1) | instskip(NEXT) | instid1(SALU_CYCLE_1)
	s_and_b32 s16, exec_lo, s16
	s_or_b32 s38, s16, s38
	s_delay_alu instid0(SALU_CYCLE_1)
	s_and_not1_b32 exec_lo, exec_lo, s38
	s_cbranch_execz .LBB200_58
.LBB200_4:                              ; =>This Loop Header: Depth=1
                                        ;     Child Loop BB200_6 Depth 2
                                        ;     Child Loop BB200_19 Depth 2
                                        ;       Child Loop BB200_22 Depth 3
                                        ;         Child Loop BB200_23 Depth 4
                                        ;         Child Loop BB200_26 Depth 4
                                        ;           Child Loop BB200_27 Depth 5
                                        ;         Child Loop BB200_31 Depth 4
                                        ;           Child Loop BB200_33 Depth 5
                                        ;     Child Loop BB200_41 Depth 2
                                        ;       Child Loop BB200_44 Depth 3
                                        ;         Child Loop BB200_45 Depth 4
                                        ;         Child Loop BB200_47 Depth 4
                                        ;           Child Loop BB200_48 Depth 5
                                        ;         Child Loop BB200_52 Depth 4
                                        ;           Child Loop BB200_54 Depth 5
	s_mov_b32 s21, s23
	s_and_saveexec_b32 s16, s1
	s_cbranch_execz .LBB200_15
; %bb.5:                                ;   in Loop: Header=BB200_4 Depth=1
	v_mad_nc_u64_u32 v[0:1], s8, s20, v[12:13]
	v_mov_b32_e32 v2, v8
	s_mov_b32 s17, s34
	s_delay_alu instid0(VALU_DEP_2)
	v_mad_u32 v1, s9, s20, v1
.LBB200_6:                              ;   Parent Loop BB200_4 Depth=1
                                        ; =>  This Inner Loop Header: Depth=2
	global_load_b128 v[4:7], v[0:1], off offset:-8
	s_wait_xcnt 0x0
	v_add_nc_u64_e32 v[0:1], s[10:11], v[0:1]
	s_add_co_i32 s17, s17, -1
	s_delay_alu instid0(SALU_CYCLE_1) | instskip(SKIP_2) | instid1(VALU_DEP_1)
	s_cmp_eq_u32 s17, 0
	s_wait_loadcnt 0x0
	v_xor_b32_e32 v3, 0x80000000, v7
	v_cndmask_b32_e64 v7, v7, v3, s0
	ds_store_b128 v2, v[4:7]
	v_add_nc_u32_e32 v2, 64, v2
	s_cbranch_scc0 .LBB200_6
; %bb.7:                                ;   in Loop: Header=BB200_4 Depth=1
	s_and_b32 vcc_lo, exec_lo, s3
	s_cbranch_vccz .LBB200_13
; %bb.8:                                ;   in Loop: Header=BB200_4 Depth=1
	ds_load_b128 v[0:3], v18
                                        ; implicit-def: $vgpr6_vgpr7
	s_wait_dscnt 0x0
	v_cmp_ngt_f64_e64 s17, |v[0:1]|, |v[2:3]|
	s_and_saveexec_b32 s18, s17
	s_delay_alu instid0(SALU_CYCLE_1)
	s_xor_b32 s17, exec_lo, s18
	s_cbranch_execz .LBB200_10
; %bb.9:                                ;   in Loop: Header=BB200_4 Depth=1
	v_div_scale_f64 v[4:5], null, v[2:3], v[2:3], v[0:1]
	v_div_scale_f64 v[20:21], vcc_lo, v[0:1], v[2:3], v[0:1]
	s_delay_alu instid0(VALU_DEP_2) | instskip(SKIP_1) | instid1(TRANS32_DEP_1)
	v_rcp_f64_e32 v[6:7], v[4:5]
	v_nop
	v_fma_f64 v[16:17], -v[4:5], v[6:7], 1.0
	s_delay_alu instid0(VALU_DEP_1) | instskip(NEXT) | instid1(VALU_DEP_1)
	v_fmac_f64_e32 v[6:7], v[6:7], v[16:17]
	v_fma_f64 v[16:17], -v[4:5], v[6:7], 1.0
	s_delay_alu instid0(VALU_DEP_1) | instskip(NEXT) | instid1(VALU_DEP_1)
	v_fmac_f64_e32 v[6:7], v[6:7], v[16:17]
	v_mul_f64_e32 v[16:17], v[20:21], v[6:7]
	s_delay_alu instid0(VALU_DEP_1) | instskip(NEXT) | instid1(VALU_DEP_1)
	v_fma_f64 v[4:5], -v[4:5], v[16:17], v[20:21]
	v_div_fmas_f64 v[4:5], v[4:5], v[6:7], v[16:17]
	s_delay_alu instid0(VALU_DEP_1) | instskip(NEXT) | instid1(VALU_DEP_1)
	v_div_fixup_f64 v[4:5], v[4:5], v[2:3], v[0:1]
	v_fmac_f64_e32 v[2:3], v[0:1], v[4:5]
	s_delay_alu instid0(VALU_DEP_1) | instskip(SKIP_1) | instid1(VALU_DEP_2)
	v_div_scale_f64 v[0:1], null, v[2:3], v[2:3], 1.0
	v_div_scale_f64 v[20:21], vcc_lo, 1.0, v[2:3], 1.0
	v_rcp_f64_e32 v[6:7], v[0:1]
	v_nop
	s_delay_alu instid0(TRANS32_DEP_1) | instskip(NEXT) | instid1(VALU_DEP_1)
	v_fma_f64 v[16:17], -v[0:1], v[6:7], 1.0
	v_fmac_f64_e32 v[6:7], v[6:7], v[16:17]
	s_delay_alu instid0(VALU_DEP_1) | instskip(NEXT) | instid1(VALU_DEP_1)
	v_fma_f64 v[16:17], -v[0:1], v[6:7], 1.0
	v_fmac_f64_e32 v[6:7], v[6:7], v[16:17]
	s_delay_alu instid0(VALU_DEP_1) | instskip(NEXT) | instid1(VALU_DEP_1)
	v_mul_f64_e32 v[16:17], v[20:21], v[6:7]
	v_fma_f64 v[0:1], -v[0:1], v[16:17], v[20:21]
	s_delay_alu instid0(VALU_DEP_1) | instskip(SKIP_1) | instid1(VALU_DEP_2)
	v_div_fmas_f64 v[0:1], v[0:1], v[6:7], v[16:17]
	v_add_f64_e32 v[6:7], 0, v[4:5]
	v_div_fixup_f64 v[0:1], v[0:1], v[2:3], 1.0
	v_fma_f64 v[2:3], v[4:5], 0, -1.0
	s_delay_alu instid0(VALU_DEP_2) | instskip(NEXT) | instid1(VALU_DEP_2)
	v_mul_f64_e32 v[4:5], v[6:7], v[0:1]
	v_mul_f64_e32 v[6:7], v[2:3], v[0:1]
                                        ; implicit-def: $vgpr0_vgpr1
.LBB200_10:                             ;   in Loop: Header=BB200_4 Depth=1
	s_and_not1_saveexec_b32 s17, s17
	s_cbranch_execz .LBB200_12
; %bb.11:                               ;   in Loop: Header=BB200_4 Depth=1
	v_div_scale_f64 v[4:5], null, v[0:1], v[0:1], v[2:3]
	v_div_scale_f64 v[20:21], vcc_lo, v[2:3], v[0:1], v[2:3]
	s_delay_alu instid0(VALU_DEP_2) | instskip(SKIP_1) | instid1(TRANS32_DEP_1)
	v_rcp_f64_e32 v[6:7], v[4:5]
	v_nop
	v_fma_f64 v[16:17], -v[4:5], v[6:7], 1.0
	s_delay_alu instid0(VALU_DEP_1) | instskip(NEXT) | instid1(VALU_DEP_1)
	v_fmac_f64_e32 v[6:7], v[6:7], v[16:17]
	v_fma_f64 v[16:17], -v[4:5], v[6:7], 1.0
	s_delay_alu instid0(VALU_DEP_1) | instskip(NEXT) | instid1(VALU_DEP_1)
	v_fmac_f64_e32 v[6:7], v[6:7], v[16:17]
	v_mul_f64_e32 v[16:17], v[20:21], v[6:7]
	s_delay_alu instid0(VALU_DEP_1) | instskip(NEXT) | instid1(VALU_DEP_1)
	v_fma_f64 v[4:5], -v[4:5], v[16:17], v[20:21]
	v_div_fmas_f64 v[4:5], v[4:5], v[6:7], v[16:17]
	s_delay_alu instid0(VALU_DEP_1) | instskip(NEXT) | instid1(VALU_DEP_1)
	v_div_fixup_f64 v[4:5], v[4:5], v[0:1], v[2:3]
	v_fmac_f64_e32 v[0:1], v[2:3], v[4:5]
	s_delay_alu instid0(VALU_DEP_1) | instskip(SKIP_1) | instid1(VALU_DEP_2)
	v_div_scale_f64 v[2:3], null, v[0:1], v[0:1], 1.0
	v_div_scale_f64 v[20:21], vcc_lo, 1.0, v[0:1], 1.0
	v_rcp_f64_e32 v[6:7], v[2:3]
	v_nop
	s_delay_alu instid0(TRANS32_DEP_1) | instskip(NEXT) | instid1(VALU_DEP_1)
	v_fma_f64 v[16:17], -v[2:3], v[6:7], 1.0
	v_fmac_f64_e32 v[6:7], v[6:7], v[16:17]
	s_delay_alu instid0(VALU_DEP_1) | instskip(NEXT) | instid1(VALU_DEP_1)
	v_fma_f64 v[16:17], -v[2:3], v[6:7], 1.0
	v_fmac_f64_e32 v[6:7], v[6:7], v[16:17]
	s_delay_alu instid0(VALU_DEP_1) | instskip(NEXT) | instid1(VALU_DEP_1)
	v_mul_f64_e32 v[16:17], v[20:21], v[6:7]
	v_fma_f64 v[2:3], -v[2:3], v[16:17], v[20:21]
	s_delay_alu instid0(VALU_DEP_1) | instskip(SKIP_1) | instid1(VALU_DEP_2)
	v_div_fmas_f64 v[2:3], v[2:3], v[6:7], v[16:17]
	v_fma_f64 v[6:7], v[4:5], 0, 1.0
	v_div_fixup_f64 v[0:1], v[2:3], v[0:1], 1.0
	v_add_f64_e64 v[2:3], -v[4:5], 0
	s_delay_alu instid0(VALU_DEP_2) | instskip(NEXT) | instid1(VALU_DEP_2)
	v_mul_f64_e32 v[4:5], v[6:7], v[0:1]
	v_mul_f64_e32 v[6:7], v[2:3], v[0:1]
.LBB200_12:                             ;   in Loop: Header=BB200_4 Depth=1
	s_or_b32 exec_lo, exec_lo, s17
	s_branch .LBB200_14
.LBB200_13:                             ;   in Loop: Header=BB200_4 Depth=1
	v_mov_b64_e32 v[6:7], 0
	v_mov_b64_e32 v[4:5], 1.0
.LBB200_14:                             ;   in Loop: Header=BB200_4 Depth=1
	ds_store_b128 v18, v[4:7]
.LBB200_15:                             ;   in Loop: Header=BB200_4 Depth=1
	s_or_b32 exec_lo, exec_lo, s16
	s_mov_b32 s16, -1
	s_wait_dscnt 0x0
	; wave barrier
	s_and_saveexec_b32 s39, s2
	s_cbranch_execz .LBB200_3
; %bb.16:                               ;   in Loop: Header=BB200_4 Depth=1
	s_mul_u64 s[16:17], s[24:25], s[20:21]
	s_and_not1_b32 vcc_lo, exec_lo, s36
	v_lshl_add_u64 v[4:5], s[16:17], 4, v[10:11]
	s_mul_u64 s[16:17], s[14:15], s[20:21]
	s_mov_b32 s18, -1
	s_cbranch_vccnz .LBB200_38
; %bb.17:                               ;   in Loop: Header=BB200_4 Depth=1
	v_add_nc_u64_e32 v[6:7], s[16:17], v[14:15]
	s_mov_b32 s21, 0
	s_mov_b32 s18, 0
	s_branch .LBB200_19
.LBB200_18:                             ;   in Loop: Header=BB200_19 Depth=2
	s_cmp_lt_i32 s18, s34
	s_cselect_b32 s19, -1, 0
	s_add_co_i32 s22, s21, 1
	s_cmp_lt_u32 s21, 2
	s_wait_xcnt 0x0
	s_cselect_b32 s21, -1, 0
	s_delay_alu instid0(SALU_CYCLE_1)
	s_and_b32 s19, s19, s21
	s_mov_b32 s21, s22
	s_and_b32 vcc_lo, exec_lo, s19
	s_cbranch_vccz .LBB200_37
.LBB200_19:                             ;   Parent Loop BB200_4 Depth=1
                                        ; =>  This Loop Header: Depth=2
                                        ;       Child Loop BB200_22 Depth 3
                                        ;         Child Loop BB200_23 Depth 4
                                        ;         Child Loop BB200_26 Depth 4
                                        ;           Child Loop BB200_27 Depth 5
                                        ;         Child Loop BB200_31 Depth 4
                                        ;           Child Loop BB200_33 Depth 5
	s_load_b32 s26, s[12:13], s21 offset:0x0 scale_offset
	s_wait_kmcnt 0x0
	s_add_co_i32 s40, s26, -1
	s_delay_alu instid0(SALU_CYCLE_1) | instskip(NEXT) | instid1(SALU_CYCLE_1)
	s_add_co_i32 s19, s40, s18
	s_cmp_ge_i32 s19, s34
	s_cbranch_scc1 .LBB200_18
; %bb.20:                               ;   in Loop: Header=BB200_19 Depth=2
	s_ashr_i32 s19, s18, 31
	s_ashr_i32 s27, s26, 31
	v_lshl_add_u64 v[16:17], s[18:19], 4, v[6:7]
	s_max_i32 s41, s26, 1
	s_lshl_b64 s[28:29], s[26:27], 4
	s_lshl_b32 s19, s18, 6
	s_lshl_b32 s27, s26, 6
	s_mul_i32 s42, s18, 0x50
	s_mul_i32 s43, s26, 0x50
	s_branch .LBB200_22
.LBB200_21:                             ;   in Loop: Header=BB200_22 Depth=3
	v_add_nc_u64_e32 v[16:17], s[28:29], v[16:17]
	s_add_co_i32 s18, s18, s26
	s_add_co_i32 s19, s19, s27
	;; [unrolled: 1-line block ×4, first 2 shown]
	s_cmp_ge_i32 s22, s34
	s_cbranch_scc1 .LBB200_18
.LBB200_22:                             ;   Parent Loop BB200_4 Depth=1
                                        ;     Parent Loop BB200_19 Depth=2
                                        ; =>    This Loop Header: Depth=3
                                        ;         Child Loop BB200_23 Depth 4
                                        ;         Child Loop BB200_26 Depth 4
                                        ;           Child Loop BB200_27 Depth 5
                                        ;         Child Loop BB200_31 Depth 4
                                        ;           Child Loop BB200_33 Depth 5
	s_wait_xcnt 0x0
	v_mov_b64_e32 v[0:1], v[16:17]
	v_mov_b32_e32 v2, v9
	s_mov_b32 s22, s41
.LBB200_23:                             ;   Parent Loop BB200_4 Depth=1
                                        ;     Parent Loop BB200_19 Depth=2
                                        ;       Parent Loop BB200_22 Depth=3
                                        ; =>      This Inner Loop Header: Depth=4
	global_load_b128 v[20:23], v[0:1], off offset:-8
	s_wait_xcnt 0x0
	v_add_nc_u64_e32 v[0:1], 16, v[0:1]
	s_add_co_i32 s22, s22, -1
	s_delay_alu instid0(SALU_CYCLE_1) | instskip(SKIP_3) | instid1(VALU_DEP_2)
	s_cmp_eq_u32 s22, 0
	s_wait_loadcnt 0x0
	v_mul_f64_e32 v[26:27], s[6:7], v[22:23]
	v_mul_f64_e32 v[24:25], s[4:5], v[22:23]
	v_fma_f64 v[22:23], s[4:5], v[20:21], -v[26:27]
	s_delay_alu instid0(VALU_DEP_2)
	v_fmac_f64_e32 v[24:25], s[6:7], v[20:21]
	ds_store_b128 v2, v[22:25]
	v_add_nc_u32_e32 v2, 16, v2
	s_cbranch_scc0 .LBB200_23
; %bb.24:                               ;   in Loop: Header=BB200_22 Depth=3
	s_cmp_lt_i32 s18, 1
	s_cbranch_scc1 .LBB200_29
; %bb.25:                               ;   in Loop: Header=BB200_22 Depth=3
	s_mov_b32 s22, 0
	s_mov_b32 s30, s19
.LBB200_26:                             ;   Parent Loop BB200_4 Depth=1
                                        ;     Parent Loop BB200_19 Depth=2
                                        ;       Parent Loop BB200_22 Depth=3
                                        ; =>      This Loop Header: Depth=4
                                        ;           Child Loop BB200_27 Depth 5
	s_wait_xcnt 0x0
	v_lshl_add_u64 v[0:1], s[22:23], 4, v[4:5]
	v_mov_b32_e32 v19, v9
	s_mov_b32 s31, s30
	s_mov_b32 s44, s41
	global_load_b128 v[0:3], v[0:1], off
.LBB200_27:                             ;   Parent Loop BB200_4 Depth=1
                                        ;     Parent Loop BB200_19 Depth=2
                                        ;       Parent Loop BB200_22 Depth=3
                                        ;         Parent Loop BB200_26 Depth=4
                                        ; =>        This Inner Loop Header: Depth=5
	v_mov_b32_e32 v20, s31
	s_add_co_i32 s44, s44, -1
	s_add_co_i32 s31, s31, 64
	s_cmp_eq_u32 s44, 0
	ds_load_b128 v[20:23], v20
	s_wait_loadcnt_dscnt 0x0
	v_mul_f64_e32 v[24:25], v[2:3], v[22:23]
	v_mul_f64_e32 v[26:27], v[0:1], v[22:23]
	s_delay_alu instid0(VALU_DEP_2) | instskip(NEXT) | instid1(VALU_DEP_2)
	v_fma_f64 v[24:25], v[0:1], v[20:21], -v[24:25]
	v_fmac_f64_e32 v[26:27], v[2:3], v[20:21]
	ds_load_b128 v[20:23], v19
	s_wait_dscnt 0x0
	v_add_f64_e64 v[20:21], v[20:21], -v[24:25]
	v_add_f64_e64 v[22:23], v[22:23], -v[26:27]
	ds_store_b128 v19, v[20:23]
	v_add_nc_u32_e32 v19, 16, v19
	s_cbranch_scc0 .LBB200_27
; %bb.28:                               ;   in Loop: Header=BB200_26 Depth=4
	s_add_co_i32 s22, s22, 1
	s_add_co_i32 s30, s30, 16
	s_cmp_eq_u32 s22, s18
	s_cbranch_scc0 .LBB200_26
.LBB200_29:                             ;   in Loop: Header=BB200_22 Depth=3
	s_mov_b32 s22, 0
	s_mov_b32 s44, s42
	s_branch .LBB200_31
.LBB200_30:                             ;   in Loop: Header=BB200_31 Depth=4
	s_mul_i32 s31, s30, 0x50
	s_add_co_i32 s22, s22, 1
	v_mov_b32_e32 v20, s31
	s_ashr_i32 s31, s30, 31
	s_add_co_i32 s44, s44, 64
	s_cmp_eq_u32 s22, s41
	ds_load_b128 v[20:23], v20
	s_wait_dscnt 0x0
	s_wait_xcnt 0x0
	v_mul_f64_e32 v[24:25], v[22:23], v[2:3]
	v_mul_f64_e32 v[26:27], v[20:21], v[2:3]
	s_delay_alu instid0(VALU_DEP_2) | instskip(NEXT) | instid1(VALU_DEP_2)
	v_fma_f64 v[24:25], v[20:21], v[0:1], -v[24:25]
	v_fmac_f64_e32 v[26:27], v[22:23], v[0:1]
	v_lshl_add_u64 v[0:1], s[30:31], 4, v[4:5]
	ds_store_b128 v19, v[24:27]
	global_store_b128 v[0:1], v[24:27], off
	s_cbranch_scc1 .LBB200_21
.LBB200_31:                             ;   Parent Loop BB200_4 Depth=1
                                        ;     Parent Loop BB200_19 Depth=2
                                        ;       Parent Loop BB200_22 Depth=3
                                        ; =>      This Loop Header: Depth=4
                                        ;           Child Loop BB200_33 Depth 5
	v_lshl_add_u32 v19, s22, 4, v9
	s_cmp_lg_u32 s22, 0
	s_cbranch_scc0 .LBB200_35
; %bb.32:                               ;   in Loop: Header=BB200_31 Depth=4
	s_wait_xcnt 0x0
	ds_load_b128 v[0:3], v19
	v_mov_b32_e32 v20, v9
	s_add_co_i32 s30, s22, s18
	s_mov_b32 s31, s44
	s_mov_b32 s45, s22
.LBB200_33:                             ;   Parent Loop BB200_4 Depth=1
                                        ;     Parent Loop BB200_19 Depth=2
                                        ;       Parent Loop BB200_22 Depth=3
                                        ;         Parent Loop BB200_31 Depth=4
                                        ; =>        This Inner Loop Header: Depth=5
	v_mov_b32_e32 v21, s31
	s_add_co_i32 s45, s45, -1
	s_add_co_i32 s31, s31, 16
	s_cmp_eq_u32 s45, 0
	ds_load_b128 v[22:25], v20
	ds_load_b128 v[26:29], v21
	v_add_nc_u32_e32 v20, 16, v20
	s_wait_dscnt 0x0
	v_mul_f64_e32 v[30:31], v[28:29], v[24:25]
	v_mul_f64_e32 v[24:25], v[26:27], v[24:25]
	s_delay_alu instid0(VALU_DEP_2) | instskip(NEXT) | instid1(VALU_DEP_2)
	v_fma_f64 v[26:27], v[26:27], v[22:23], -v[30:31]
	v_fmac_f64_e32 v[24:25], v[28:29], v[22:23]
	s_delay_alu instid0(VALU_DEP_2) | instskip(NEXT) | instid1(VALU_DEP_2)
	v_add_f64_e64 v[0:1], v[0:1], -v[26:27]
	v_add_f64_e64 v[2:3], v[2:3], -v[24:25]
	ds_store_b128 v19, v[0:3]
	s_cbranch_scc0 .LBB200_33
; %bb.34:                               ;   in Loop: Header=BB200_31 Depth=4
	s_branch .LBB200_30
.LBB200_35:                             ;   in Loop: Header=BB200_31 Depth=4
                                        ; implicit-def: $vgpr0_vgpr1
                                        ; implicit-def: $sgpr30
	s_cbranch_execz .LBB200_30
; %bb.36:                               ;   in Loop: Header=BB200_31 Depth=4
	s_wait_xcnt 0x0
	ds_load_b128 v[0:3], v9
	s_mov_b32 s30, s18
	s_branch .LBB200_30
.LBB200_37:                             ;   in Loop: Header=BB200_4 Depth=1
	s_mov_b32 s18, 0
.LBB200_38:                             ;   in Loop: Header=BB200_4 Depth=1
	s_delay_alu instid0(SALU_CYCLE_1)
	s_and_b32 vcc_lo, exec_lo, s18
	s_cbranch_vccz .LBB200_2
; %bb.39:                               ;   in Loop: Header=BB200_4 Depth=1
	v_add_nc_u64_e32 v[6:7], s[16:17], v[14:15]
	s_mov_b32 s21, 0
	s_mov_b32 s16, s35
	s_branch .LBB200_41
.LBB200_40:                             ;   in Loop: Header=BB200_41 Depth=2
	s_cmp_gt_i32 s16, -1
	s_cselect_b32 s17, -1, 0
	s_add_co_i32 s18, s21, 1
	s_cmp_lt_u32 s21, 2
	s_mov_b32 s21, s18
	s_cselect_b32 s19, -1, 0
	s_delay_alu instid0(SALU_CYCLE_1) | instskip(NEXT) | instid1(SALU_CYCLE_1)
	s_and_b32 s17, s17, s19
	s_and_not1_b32 vcc_lo, exec_lo, s17
	s_cbranch_vccnz .LBB200_2
.LBB200_41:                             ;   Parent Loop BB200_4 Depth=1
                                        ; =>  This Loop Header: Depth=2
                                        ;       Child Loop BB200_44 Depth 3
                                        ;         Child Loop BB200_45 Depth 4
                                        ;         Child Loop BB200_47 Depth 4
                                        ;           Child Loop BB200_48 Depth 5
                                        ;         Child Loop BB200_52 Depth 4
                                        ;           Child Loop BB200_54 Depth 5
	s_load_b32 s22, s[12:13], s21 offset:0x0 scale_offset
	s_wait_kmcnt 0x0
	s_add_co_i32 s28, s22, -1
	s_delay_alu instid0(SALU_CYCLE_1)
	s_cmp_lt_i32 s16, s28
	s_cbranch_scc1 .LBB200_40
; %bb.42:                               ;   in Loop: Header=BB200_41 Depth=2
	s_lshl_b32 s17, s16, 4
	s_lshl_b32 s18, s22, 4
	s_max_i32 s29, s22, 1
	s_add_co_i32 s30, s37, s17
	s_sub_co_i32 s31, 0, s18
	s_mul_i32 s40, s16, 0x50
	s_mul_i32 s41, s22, 0xffffffb0
	s_branch .LBB200_44
.LBB200_43:                             ;   in Loop: Header=BB200_44 Depth=3
	s_sub_co_i32 s16, s16, s22
	s_add_co_i32 s30, s30, s31
	s_add_co_i32 s40, s40, s41
	s_cmp_lt_i32 s16, s28
	s_cbranch_scc1 .LBB200_40
.LBB200_44:                             ;   Parent Loop BB200_4 Depth=1
                                        ;     Parent Loop BB200_41 Depth=2
                                        ; =>    This Loop Header: Depth=3
                                        ;         Child Loop BB200_45 Depth 4
                                        ;         Child Loop BB200_47 Depth 4
                                        ;           Child Loop BB200_48 Depth 5
                                        ;         Child Loop BB200_52 Depth 4
                                        ;           Child Loop BB200_54 Depth 5
	s_ashr_i32 s17, s16, 31
	v_mov_b32_e32 v2, v9
	s_wait_xcnt 0x0
	v_lshl_add_u64 v[0:1], s[16:17], 4, v[6:7]
	s_mov_b32 s18, s29
.LBB200_45:                             ;   Parent Loop BB200_4 Depth=1
                                        ;     Parent Loop BB200_41 Depth=2
                                        ;       Parent Loop BB200_44 Depth=3
                                        ; =>      This Inner Loop Header: Depth=4
	global_load_b128 v[20:23], v[0:1], off offset:-8
	s_wait_xcnt 0x0
	v_add_nc_u64_e32 v[0:1], -16, v[0:1]
	s_add_co_i32 s18, s18, -1
	s_delay_alu instid0(SALU_CYCLE_1) | instskip(SKIP_3) | instid1(VALU_DEP_2)
	s_cmp_eq_u32 s18, 0
	s_wait_loadcnt 0x0
	v_mul_f64_e32 v[16:17], s[6:7], v[22:23]
	v_mul_f64_e32 v[24:25], s[4:5], v[22:23]
	v_fma_f64 v[22:23], s[4:5], v[20:21], -v[16:17]
	s_delay_alu instid0(VALU_DEP_2)
	v_fmac_f64_e32 v[24:25], s[6:7], v[20:21]
	ds_store_b128 v2, v[22:25]
	v_add_nc_u32_e32 v2, 16, v2
	s_cbranch_scc0 .LBB200_45
; %bb.46:                               ;   in Loop: Header=BB200_44 Depth=3
	s_cmp_le_i32 s35, s16
	s_mov_b32 s26, s30
	s_mov_b32 s18, s35
	s_cbranch_scc1 .LBB200_50
.LBB200_47:                             ;   Parent Loop BB200_4 Depth=1
                                        ;     Parent Loop BB200_41 Depth=2
                                        ;       Parent Loop BB200_44 Depth=3
                                        ; =>      This Loop Header: Depth=4
                                        ;           Child Loop BB200_48 Depth 5
	s_ashr_i32 s19, s18, 31
	v_mov_b32_e32 v16, v9
	s_wait_xcnt 0x0
	v_lshl_add_u64 v[0:1], s[18:19], 4, v[4:5]
	s_mov_b32 s19, s26
	s_mov_b32 s27, s29
	global_load_b128 v[0:3], v[0:1], off
.LBB200_48:                             ;   Parent Loop BB200_4 Depth=1
                                        ;     Parent Loop BB200_41 Depth=2
                                        ;       Parent Loop BB200_44 Depth=3
                                        ;         Parent Loop BB200_47 Depth=4
                                        ; =>        This Inner Loop Header: Depth=5
	v_mov_b32_e32 v17, s19
	s_add_co_i32 s27, s27, -1
	s_add_co_i32 s19, s19, -16
	s_cmp_eq_u32 s27, 0
	ds_load_b128 v[20:23], v17
	s_wait_loadcnt_dscnt 0x0
	v_mul_f64_e32 v[24:25], v[2:3], v[22:23]
	v_mul_f64_e32 v[26:27], v[0:1], v[22:23]
	s_delay_alu instid0(VALU_DEP_2) | instskip(NEXT) | instid1(VALU_DEP_2)
	v_fma_f64 v[24:25], v[0:1], v[20:21], -v[24:25]
	v_fmac_f64_e32 v[26:27], v[2:3], v[20:21]
	ds_load_b128 v[20:23], v16
	s_wait_dscnt 0x0
	v_add_f64_e64 v[20:21], v[20:21], -v[24:25]
	v_add_f64_e64 v[22:23], v[22:23], -v[26:27]
	ds_store_b128 v16, v[20:23]
	v_add_nc_u32_e32 v16, 16, v16
	s_cbranch_scc0 .LBB200_48
; %bb.49:                               ;   in Loop: Header=BB200_47 Depth=4
	s_add_co_i32 s18, s18, -1
	s_sub_co_i32 s26, s26, 64
	s_cmp_le_i32 s18, s16
	s_cbranch_scc0 .LBB200_47
.LBB200_50:                             ;   in Loop: Header=BB200_44 Depth=3
	s_mov_b32 s42, 0
	s_mov_b32 s43, s40
	s_branch .LBB200_52
.LBB200_51:                             ;   in Loop: Header=BB200_52 Depth=4
	s_mulk_i32 s26, 0x50
	s_add_co_i32 s42, s42, 1
	v_mov_b32_e32 v17, s26
	s_add_co_i32 s43, s43, -16
	s_cmp_eq_u32 s42, s29
	ds_load_b128 v[20:23], v17
	s_wait_dscnt 0x0
	s_wait_xcnt 0x0
	v_mul_f64_e32 v[24:25], v[22:23], v[2:3]
	v_mul_f64_e32 v[26:27], v[20:21], v[2:3]
	s_delay_alu instid0(VALU_DEP_2) | instskip(NEXT) | instid1(VALU_DEP_2)
	v_fma_f64 v[24:25], v[20:21], v[0:1], -v[24:25]
	v_fmac_f64_e32 v[26:27], v[22:23], v[0:1]
	s_wait_xcnt 0x0
	v_lshl_add_u64 v[0:1], s[18:19], 4, v[4:5]
	ds_store_b128 v16, v[24:27]
	global_store_b128 v[0:1], v[24:27], off
	s_cbranch_scc1 .LBB200_43
.LBB200_52:                             ;   Parent Loop BB200_4 Depth=1
                                        ;     Parent Loop BB200_41 Depth=2
                                        ;       Parent Loop BB200_44 Depth=3
                                        ; =>      This Loop Header: Depth=4
                                        ;           Child Loop BB200_54 Depth 5
	v_lshl_add_u32 v16, s42, 4, v9
	s_cmp_lg_u32 s42, 0
	s_cbranch_scc0 .LBB200_56
; %bb.53:                               ;   in Loop: Header=BB200_52 Depth=4
	s_wait_xcnt 0x0
	ds_load_b128 v[0:3], v16
	v_mov_b32_e32 v17, v9
	s_mov_b32 s18, s43
	s_mov_b32 s19, s42
.LBB200_54:                             ;   Parent Loop BB200_4 Depth=1
                                        ;     Parent Loop BB200_41 Depth=2
                                        ;       Parent Loop BB200_44 Depth=3
                                        ;         Parent Loop BB200_52 Depth=4
                                        ; =>        This Inner Loop Header: Depth=5
	v_mov_b32_e32 v19, s18
	s_add_co_i32 s19, s19, -1
	s_sub_co_i32 s18, s18, 64
	s_cmp_eq_u32 s19, 0
	ds_load_b128 v[20:23], v17
	ds_load_b128 v[24:27], v19
	s_wait_dscnt 0x0
	v_dual_mul_f64 v[28:29], v[26:27], v[22:23] :: v_dual_add_nc_u32 v17, 16, v17
	v_mul_f64_e32 v[22:23], v[24:25], v[22:23]
	s_delay_alu instid0(VALU_DEP_2) | instskip(NEXT) | instid1(VALU_DEP_2)
	v_fma_f64 v[24:25], v[24:25], v[20:21], -v[28:29]
	v_fmac_f64_e32 v[22:23], v[26:27], v[20:21]
	s_delay_alu instid0(VALU_DEP_2) | instskip(NEXT) | instid1(VALU_DEP_2)
	v_add_f64_e64 v[0:1], v[0:1], -v[24:25]
	v_add_f64_e64 v[2:3], v[2:3], -v[22:23]
	ds_store_b128 v16, v[0:3]
	s_cbranch_scc0 .LBB200_54
; %bb.55:                               ;   in Loop: Header=BB200_52 Depth=4
	s_sub_co_i32 s26, s16, s42
	s_delay_alu instid0(SALU_CYCLE_1) | instskip(NEXT) | instid1(SALU_CYCLE_1)
	s_ashr_i32 s27, s26, 31
	s_mov_b64 s[18:19], s[26:27]
	s_branch .LBB200_51
.LBB200_56:                             ;   in Loop: Header=BB200_52 Depth=4
                                        ; implicit-def: $vgpr0_vgpr1
                                        ; implicit-def: $sgpr26
                                        ; implicit-def: $sgpr18_sgpr19
	s_cbranch_execz .LBB200_51
; %bb.57:                               ;   in Loop: Header=BB200_52 Depth=4
	s_wait_xcnt 0x0
	ds_load_b128 v[0:3], v9
	s_mov_b64 s[18:19], s[16:17]
	s_mov_b32 s26, s16
	s_branch .LBB200_51
.LBB200_58:
	s_endpgm
	.section	.rodata,"a",@progbits
	.p2align	6, 0x0
	.amdhsa_kernel _ZL30rocblas_trsm_small_left_deviceILi4ELi4ELb0E19rocblas_complex_numIdES1_PKS1_PS1_Ev13rocblas_fill_18rocblas_operation_17rocblas_diagonal_iiT3_T4_lilT5_lili
		.amdhsa_group_segment_fixed_size 512
		.amdhsa_private_segment_fixed_size 0
		.amdhsa_kernarg_size 368
		.amdhsa_user_sgpr_count 4
		.amdhsa_user_sgpr_dispatch_ptr 1
		.amdhsa_user_sgpr_queue_ptr 0
		.amdhsa_user_sgpr_kernarg_segment_ptr 1
		.amdhsa_user_sgpr_dispatch_id 0
		.amdhsa_user_sgpr_kernarg_preload_length 0
		.amdhsa_user_sgpr_kernarg_preload_offset 0
		.amdhsa_user_sgpr_private_segment_size 0
		.amdhsa_wavefront_size32 1
		.amdhsa_uses_dynamic_stack 0
		.amdhsa_enable_private_segment 0
		.amdhsa_system_sgpr_workgroup_id_x 1
		.amdhsa_system_sgpr_workgroup_id_y 0
		.amdhsa_system_sgpr_workgroup_id_z 1
		.amdhsa_system_sgpr_workgroup_info 0
		.amdhsa_system_vgpr_workitem_id 2
		.amdhsa_next_free_vgpr 32
		.amdhsa_next_free_sgpr 46
		.amdhsa_named_barrier_count 0
		.amdhsa_reserve_vcc 1
		.amdhsa_float_round_mode_32 0
		.amdhsa_float_round_mode_16_64 0
		.amdhsa_float_denorm_mode_32 3
		.amdhsa_float_denorm_mode_16_64 3
		.amdhsa_fp16_overflow 0
		.amdhsa_memory_ordered 1
		.amdhsa_forward_progress 1
		.amdhsa_inst_pref_size 21
		.amdhsa_round_robin_scheduling 0
		.amdhsa_exception_fp_ieee_invalid_op 0
		.amdhsa_exception_fp_denorm_src 0
		.amdhsa_exception_fp_ieee_div_zero 0
		.amdhsa_exception_fp_ieee_overflow 0
		.amdhsa_exception_fp_ieee_underflow 0
		.amdhsa_exception_fp_ieee_inexact 0
		.amdhsa_exception_int_div_zero 0
	.end_amdhsa_kernel
	.section	.text._ZL30rocblas_trsm_small_left_deviceILi4ELi4ELb0E19rocblas_complex_numIdES1_PKS1_PS1_Ev13rocblas_fill_18rocblas_operation_17rocblas_diagonal_iiT3_T4_lilT5_lili,"axG",@progbits,_ZL30rocblas_trsm_small_left_deviceILi4ELi4ELb0E19rocblas_complex_numIdES1_PKS1_PS1_Ev13rocblas_fill_18rocblas_operation_17rocblas_diagonal_iiT3_T4_lilT5_lili,comdat
.Lfunc_end200:
	.size	_ZL30rocblas_trsm_small_left_deviceILi4ELi4ELb0E19rocblas_complex_numIdES1_PKS1_PS1_Ev13rocblas_fill_18rocblas_operation_17rocblas_diagonal_iiT3_T4_lilT5_lili, .Lfunc_end200-_ZL30rocblas_trsm_small_left_deviceILi4ELi4ELb0E19rocblas_complex_numIdES1_PKS1_PS1_Ev13rocblas_fill_18rocblas_operation_17rocblas_diagonal_iiT3_T4_lilT5_lili
                                        ; -- End function
	.set _ZL30rocblas_trsm_small_left_deviceILi4ELi4ELb0E19rocblas_complex_numIdES1_PKS1_PS1_Ev13rocblas_fill_18rocblas_operation_17rocblas_diagonal_iiT3_T4_lilT5_lili.num_vgpr, 32
	.set _ZL30rocblas_trsm_small_left_deviceILi4ELi4ELb0E19rocblas_complex_numIdES1_PKS1_PS1_Ev13rocblas_fill_18rocblas_operation_17rocblas_diagonal_iiT3_T4_lilT5_lili.num_agpr, 0
	.set _ZL30rocblas_trsm_small_left_deviceILi4ELi4ELb0E19rocblas_complex_numIdES1_PKS1_PS1_Ev13rocblas_fill_18rocblas_operation_17rocblas_diagonal_iiT3_T4_lilT5_lili.numbered_sgpr, 46
	.set _ZL30rocblas_trsm_small_left_deviceILi4ELi4ELb0E19rocblas_complex_numIdES1_PKS1_PS1_Ev13rocblas_fill_18rocblas_operation_17rocblas_diagonal_iiT3_T4_lilT5_lili.num_named_barrier, 0
	.set _ZL30rocblas_trsm_small_left_deviceILi4ELi4ELb0E19rocblas_complex_numIdES1_PKS1_PS1_Ev13rocblas_fill_18rocblas_operation_17rocblas_diagonal_iiT3_T4_lilT5_lili.private_seg_size, 0
	.set _ZL30rocblas_trsm_small_left_deviceILi4ELi4ELb0E19rocblas_complex_numIdES1_PKS1_PS1_Ev13rocblas_fill_18rocblas_operation_17rocblas_diagonal_iiT3_T4_lilT5_lili.uses_vcc, 1
	.set _ZL30rocblas_trsm_small_left_deviceILi4ELi4ELb0E19rocblas_complex_numIdES1_PKS1_PS1_Ev13rocblas_fill_18rocblas_operation_17rocblas_diagonal_iiT3_T4_lilT5_lili.uses_flat_scratch, 0
	.set _ZL30rocblas_trsm_small_left_deviceILi4ELi4ELb0E19rocblas_complex_numIdES1_PKS1_PS1_Ev13rocblas_fill_18rocblas_operation_17rocblas_diagonal_iiT3_T4_lilT5_lili.has_dyn_sized_stack, 0
	.set _ZL30rocblas_trsm_small_left_deviceILi4ELi4ELb0E19rocblas_complex_numIdES1_PKS1_PS1_Ev13rocblas_fill_18rocblas_operation_17rocblas_diagonal_iiT3_T4_lilT5_lili.has_recursion, 0
	.set _ZL30rocblas_trsm_small_left_deviceILi4ELi4ELb0E19rocblas_complex_numIdES1_PKS1_PS1_Ev13rocblas_fill_18rocblas_operation_17rocblas_diagonal_iiT3_T4_lilT5_lili.has_indirect_call, 0
	.section	.AMDGPU.csdata,"",@progbits
; Kernel info:
; codeLenInByte = 2636
; TotalNumSgprs: 48
; NumVgprs: 32
; ScratchSize: 0
; MemoryBound: 0
; FloatMode: 240
; IeeeMode: 1
; LDSByteSize: 512 bytes/workgroup (compile time only)
; SGPRBlocks: 0
; VGPRBlocks: 1
; NumSGPRsForWavesPerEU: 48
; NumVGPRsForWavesPerEU: 32
; NamedBarCnt: 0
; Occupancy: 16
; WaveLimiterHint : 0
; COMPUTE_PGM_RSRC2:SCRATCH_EN: 0
; COMPUTE_PGM_RSRC2:USER_SGPR: 4
; COMPUTE_PGM_RSRC2:TRAP_HANDLER: 0
; COMPUTE_PGM_RSRC2:TGID_X_EN: 1
; COMPUTE_PGM_RSRC2:TGID_Y_EN: 0
; COMPUTE_PGM_RSRC2:TGID_Z_EN: 1
; COMPUTE_PGM_RSRC2:TIDIG_COMP_CNT: 2
	.section	.text._ZL38rocblas_trsm_small_left_device_sharedBILi4ELi4ELb1E19rocblas_complex_numIdES1_PKS1_PS1_Ev13rocblas_fill_18rocblas_operation_17rocblas_diagonal_iiT3_T4_lilT5_lili,"axG",@progbits,_ZL38rocblas_trsm_small_left_device_sharedBILi4ELi4ELb1E19rocblas_complex_numIdES1_PKS1_PS1_Ev13rocblas_fill_18rocblas_operation_17rocblas_diagonal_iiT3_T4_lilT5_lili,comdat
	.globl	_ZL38rocblas_trsm_small_left_device_sharedBILi4ELi4ELb1E19rocblas_complex_numIdES1_PKS1_PS1_Ev13rocblas_fill_18rocblas_operation_17rocblas_diagonal_iiT3_T4_lilT5_lili ; -- Begin function _ZL38rocblas_trsm_small_left_device_sharedBILi4ELi4ELb1E19rocblas_complex_numIdES1_PKS1_PS1_Ev13rocblas_fill_18rocblas_operation_17rocblas_diagonal_iiT3_T4_lilT5_lili
	.p2align	8
	.type	_ZL38rocblas_trsm_small_left_device_sharedBILi4ELi4ELb1E19rocblas_complex_numIdES1_PKS1_PS1_Ev13rocblas_fill_18rocblas_operation_17rocblas_diagonal_iiT3_T4_lilT5_lili,@function
_ZL38rocblas_trsm_small_left_device_sharedBILi4ELi4ELb1E19rocblas_complex_numIdES1_PKS1_PS1_Ev13rocblas_fill_18rocblas_operation_17rocblas_diagonal_iiT3_T4_lilT5_lili: ; @_ZL38rocblas_trsm_small_left_device_sharedBILi4ELi4ELb1E19rocblas_complex_numIdES1_PKS1_PS1_Ev13rocblas_fill_18rocblas_operation_17rocblas_diagonal_iiT3_T4_lilT5_lili
; %bb.0:
	s_load_b32 s19, s[2:3], 0x68
	s_bfe_u32 s4, ttmp6, 0x40014
	s_lshr_b32 s5, ttmp7, 16
	s_add_co_i32 s4, s4, 1
	s_bfe_u32 s6, ttmp6, 0x40008
	s_mul_i32 s4, s5, s4
	s_getreg_b32 s8, hwreg(HW_REG_IB_STS2, 6, 4)
	s_add_co_i32 s6, s6, s4
	s_cmp_eq_u32 s8, 0
	s_mov_b32 s21, 0
	s_cselect_b32 s20, s5, s6
	s_wait_kmcnt 0x0
	s_cmp_ge_u32 s20, s19
	s_cbranch_scc1 .LBB201_62
; %bb.1:
	s_clause 0x1
	s_load_b32 s22, s[2:3], 0x38
	s_load_b96 s[16:18], s[2:3], 0x50
	s_load_b64 s[28:29], s[0:1], 0x4
	s_clause 0x3
	s_load_b128 s[4:7], s[2:3], 0x4
	s_load_b32 s9, s[2:3], 0x70
	s_load_b64 s[30:31], s[2:3], 0x60
	s_load_b128 s[12:15], s[2:3], 0x40
	v_and_b32_e32 v2, 0x3ff, v0
	v_bfe_u32 v3, v0, 10, 10
	v_bfe_u32 v0, v0, 20, 10
	s_delay_alu instid0(VALU_DEP_3) | instskip(NEXT) | instid1(VALU_DEP_1)
	v_dual_mov_b32 v9, 0 :: v_dual_lshlrev_b32 v8, 4, v2
	v_add_nc_u32_e32 v16, 0x100, v8
	s_wait_kmcnt 0x0
	s_ashr_i32 s23, s22, 31
	s_ashr_i32 s1, s18, 31
	s_lshr_b32 s28, s28, 16
	s_cmp_eq_u32 s4, 0x71
	s_mul_i32 s28, s28, s29
	s_cselect_b32 s0, -1, 0
	s_bfe_u32 s10, ttmp6, 0x4000c
	s_min_i32 s24, s6, 4
	s_add_co_i32 s10, s10, 1
	s_and_b32 s11, ttmp6, 15
	s_mul_i32 s10, ttmp9, s10
	s_add_co_i32 s9, s9, -1
	s_add_co_i32 s25, s24, -1
	s_add_co_i32 s11, s11, s10
	s_cmp_eq_u32 s8, 0
	v_mul_u32_u24_e32 v5, s28, v2
	s_cselect_b32 s10, ttmp9, s11
	v_mul_u32_u24_e32 v3, s29, v3
	s_lshl_b32 s8, s10, 2
	s_delay_alu instid0(SALU_CYCLE_1) | instskip(SKIP_1) | instid1(VALU_DEP_1)
	s_sub_co_i32 s7, s7, s8
	s_cmp_ge_u32 s10, s9
	v_add3_u32 v3, v5, v3, v0
	s_cselect_b32 s33, s7, 4
	s_ashr_i32 s9, s8, 31
	s_cmp_lg_u32 s5, 0x84
	v_cmp_gt_i32_e32 vcc_lo, s33, v2
	s_cselect_b32 s26, -1, 0
	s_cmp_gt_i32 s6, 0
	s_cselect_b32 s36, -1, 0
	s_cmp_lg_u32 s4, 0x6f
	s_cselect_b32 s27, -1, 0
	s_lshl_b64 s[34:35], s[8:9], 4
	s_lshl_b64 s[4:5], s[16:17], 4
	v_or_b32_e32 v1, s34, v8
	s_add_nc_u64 s[14:15], s[14:15], s[4:5]
	s_load_b256 s[4:11], s[2:3], 0x18
	s_lshl_b32 s17, s24, 4
	s_and_b32 s16, vcc_lo, s36
	v_mad_nc_u64_u32 v[10:11], v1, s18, s[14:15]
	s_add_co_i32 s17, s17, -16
	s_delay_alu instid0(VALU_DEP_1)
	v_mad_u32 v4, s35, s18, v11
	s_wait_kmcnt 0x0
	s_lshl_b64 s[2:3], s[10:11], 4
	s_get_pc_i64 s[10:11]
	s_add_nc_u64 s[10:11], s[10:11], __const._ZL38rocblas_trsm_small_left_device_sharedBILi4ELi4ELb1E19rocblas_complex_numIdES1_PKS1_PS1_Ev13rocblas_fill_18rocblas_operation_17rocblas_diagonal_iiT3_T4_lilT5_lili.step_sizes@rel64+4
	s_add_nc_u64 s[2:3], s[8:9], s[2:3]
	s_lshl_b64 s[8:9], s[22:23], 4
	s_delay_alu instid0(VALU_DEP_1)
	v_mad_u32 v11, v1, s1, v4
	v_add_nc_u64_e32 v[0:1], s[2:3], v[8:9]
	v_cmp_gt_i32_e64 s1, s24, v2
	v_lshlrev_b32_e32 v2, 6, v2
	v_lshl_add_u32 v9, v3, 6, 0x200
	s_lshl_b64 s[2:3], s[12:13], 4
	s_lshl_b64 s[12:13], s[30:31], 4
	v_add_nc_u64_e32 v[12:13], 8, v[0:1]
	v_add_nc_u32_e32 v17, v8, v2
	v_add_nc_u64_e32 v[14:15], 8, v[10:11]
	s_branch .LBB201_3
.LBB201_2:                              ;   in Loop: Header=BB201_3 Depth=1
	s_or_b32 exec_lo, exec_lo, s18
	s_add_co_i32 s20, s20, 0x10000
	s_delay_alu instid0(SALU_CYCLE_1)
	s_cmp_lt_u32 s20, s19
	s_cbranch_scc0 .LBB201_62
.LBB201_3:                              ; =>This Loop Header: Depth=1
                                        ;     Child Loop BB201_5 Depth 2
                                        ;     Child Loop BB201_16 Depth 2
                                        ;     Child Loop BB201_20 Depth 2
                                        ;       Child Loop BB201_23 Depth 3
                                        ;         Child Loop BB201_24 Depth 4
                                        ;         Child Loop BB201_26 Depth 4
                                        ;           Child Loop BB201_27 Depth 5
                                        ;         Child Loop BB201_31 Depth 4
                                        ;           Child Loop BB201_33 Depth 5
                                        ;     Child Loop BB201_41 Depth 2
                                        ;       Child Loop BB201_44 Depth 3
                                        ;         Child Loop BB201_45 Depth 4
                                        ;         Child Loop BB201_48 Depth 4
                                        ;           Child Loop BB201_49 Depth 5
                                        ;         Child Loop BB201_53 Depth 4
                                        ;           Child Loop BB201_55 Depth 5
                                        ;     Child Loop BB201_61 Depth 2
	s_and_saveexec_b32 s14, s1
	s_cbranch_execz .LBB201_14
; %bb.4:                                ;   in Loop: Header=BB201_3 Depth=1
	s_delay_alu instid0(VALU_DEP_3) | instskip(SKIP_2) | instid1(VALU_DEP_2)
	v_mad_nc_u64_u32 v[0:1], s2, s20, v[12:13]
	v_mov_b32_e32 v2, v8
	s_mov_b32 s15, s24
	v_mad_u32 v1, s3, s20, v1
.LBB201_5:                              ;   Parent Loop BB201_3 Depth=1
                                        ; =>  This Inner Loop Header: Depth=2
	global_load_b128 v[4:7], v[0:1], off offset:-8
	s_wait_xcnt 0x0
	v_add_nc_u64_e32 v[0:1], s[8:9], v[0:1]
	s_add_co_i32 s15, s15, -1
	s_delay_alu instid0(SALU_CYCLE_1) | instskip(SKIP_2) | instid1(VALU_DEP_1)
	s_cmp_eq_u32 s15, 0
	s_wait_loadcnt 0x0
	v_xor_b32_e32 v3, 0x80000000, v7
	v_cndmask_b32_e64 v7, v7, v3, s0
	ds_store_b128 v2, v[4:7]
	v_add_nc_u32_e32 v2, 64, v2
	s_cbranch_scc0 .LBB201_5
; %bb.6:                                ;   in Loop: Header=BB201_3 Depth=1
	s_and_b32 vcc_lo, exec_lo, s26
	s_cbranch_vccz .LBB201_12
; %bb.7:                                ;   in Loop: Header=BB201_3 Depth=1
	ds_load_b128 v[0:3], v17
                                        ; implicit-def: $vgpr6_vgpr7
	s_wait_dscnt 0x0
	v_cmp_ngt_f64_e64 s15, |v[0:1]|, |v[2:3]|
	s_and_saveexec_b32 s18, s15
	s_delay_alu instid0(SALU_CYCLE_1)
	s_xor_b32 s15, exec_lo, s18
	s_cbranch_execz .LBB201_9
; %bb.8:                                ;   in Loop: Header=BB201_3 Depth=1
	v_div_scale_f64 v[4:5], null, v[2:3], v[2:3], v[0:1]
	v_div_scale_f64 v[20:21], vcc_lo, v[0:1], v[2:3], v[0:1]
	s_delay_alu instid0(VALU_DEP_2) | instskip(SKIP_1) | instid1(TRANS32_DEP_1)
	v_rcp_f64_e32 v[6:7], v[4:5]
	v_nop
	v_fma_f64 v[18:19], -v[4:5], v[6:7], 1.0
	s_delay_alu instid0(VALU_DEP_1) | instskip(NEXT) | instid1(VALU_DEP_1)
	v_fmac_f64_e32 v[6:7], v[6:7], v[18:19]
	v_fma_f64 v[18:19], -v[4:5], v[6:7], 1.0
	s_delay_alu instid0(VALU_DEP_1) | instskip(NEXT) | instid1(VALU_DEP_1)
	v_fmac_f64_e32 v[6:7], v[6:7], v[18:19]
	v_mul_f64_e32 v[18:19], v[20:21], v[6:7]
	s_delay_alu instid0(VALU_DEP_1) | instskip(NEXT) | instid1(VALU_DEP_1)
	v_fma_f64 v[4:5], -v[4:5], v[18:19], v[20:21]
	v_div_fmas_f64 v[4:5], v[4:5], v[6:7], v[18:19]
	s_delay_alu instid0(VALU_DEP_1) | instskip(NEXT) | instid1(VALU_DEP_1)
	v_div_fixup_f64 v[4:5], v[4:5], v[2:3], v[0:1]
	v_fmac_f64_e32 v[2:3], v[0:1], v[4:5]
	s_delay_alu instid0(VALU_DEP_1) | instskip(SKIP_1) | instid1(VALU_DEP_2)
	v_div_scale_f64 v[0:1], null, v[2:3], v[2:3], 1.0
	v_div_scale_f64 v[20:21], vcc_lo, 1.0, v[2:3], 1.0
	v_rcp_f64_e32 v[6:7], v[0:1]
	v_nop
	s_delay_alu instid0(TRANS32_DEP_1) | instskip(NEXT) | instid1(VALU_DEP_1)
	v_fma_f64 v[18:19], -v[0:1], v[6:7], 1.0
	v_fmac_f64_e32 v[6:7], v[6:7], v[18:19]
	s_delay_alu instid0(VALU_DEP_1) | instskip(NEXT) | instid1(VALU_DEP_1)
	v_fma_f64 v[18:19], -v[0:1], v[6:7], 1.0
	v_fmac_f64_e32 v[6:7], v[6:7], v[18:19]
	s_delay_alu instid0(VALU_DEP_1) | instskip(NEXT) | instid1(VALU_DEP_1)
	v_mul_f64_e32 v[18:19], v[20:21], v[6:7]
	v_fma_f64 v[0:1], -v[0:1], v[18:19], v[20:21]
	s_delay_alu instid0(VALU_DEP_1) | instskip(SKIP_1) | instid1(VALU_DEP_2)
	v_div_fmas_f64 v[0:1], v[0:1], v[6:7], v[18:19]
	v_add_f64_e32 v[6:7], 0, v[4:5]
	v_div_fixup_f64 v[0:1], v[0:1], v[2:3], 1.0
	v_fma_f64 v[2:3], v[4:5], 0, -1.0
	s_delay_alu instid0(VALU_DEP_2) | instskip(NEXT) | instid1(VALU_DEP_2)
	v_mul_f64_e32 v[4:5], v[6:7], v[0:1]
	v_mul_f64_e32 v[6:7], v[2:3], v[0:1]
                                        ; implicit-def: $vgpr0_vgpr1
.LBB201_9:                              ;   in Loop: Header=BB201_3 Depth=1
	s_and_not1_saveexec_b32 s15, s15
	s_cbranch_execz .LBB201_11
; %bb.10:                               ;   in Loop: Header=BB201_3 Depth=1
	v_div_scale_f64 v[4:5], null, v[0:1], v[0:1], v[2:3]
	v_div_scale_f64 v[20:21], vcc_lo, v[2:3], v[0:1], v[2:3]
	s_delay_alu instid0(VALU_DEP_2) | instskip(SKIP_1) | instid1(TRANS32_DEP_1)
	v_rcp_f64_e32 v[6:7], v[4:5]
	v_nop
	v_fma_f64 v[18:19], -v[4:5], v[6:7], 1.0
	s_delay_alu instid0(VALU_DEP_1) | instskip(NEXT) | instid1(VALU_DEP_1)
	v_fmac_f64_e32 v[6:7], v[6:7], v[18:19]
	v_fma_f64 v[18:19], -v[4:5], v[6:7], 1.0
	s_delay_alu instid0(VALU_DEP_1) | instskip(NEXT) | instid1(VALU_DEP_1)
	v_fmac_f64_e32 v[6:7], v[6:7], v[18:19]
	v_mul_f64_e32 v[18:19], v[20:21], v[6:7]
	s_delay_alu instid0(VALU_DEP_1) | instskip(NEXT) | instid1(VALU_DEP_1)
	v_fma_f64 v[4:5], -v[4:5], v[18:19], v[20:21]
	v_div_fmas_f64 v[4:5], v[4:5], v[6:7], v[18:19]
	s_delay_alu instid0(VALU_DEP_1) | instskip(NEXT) | instid1(VALU_DEP_1)
	v_div_fixup_f64 v[4:5], v[4:5], v[0:1], v[2:3]
	v_fmac_f64_e32 v[0:1], v[2:3], v[4:5]
	s_delay_alu instid0(VALU_DEP_1) | instskip(SKIP_1) | instid1(VALU_DEP_2)
	v_div_scale_f64 v[2:3], null, v[0:1], v[0:1], 1.0
	v_div_scale_f64 v[20:21], vcc_lo, 1.0, v[0:1], 1.0
	v_rcp_f64_e32 v[6:7], v[2:3]
	v_nop
	s_delay_alu instid0(TRANS32_DEP_1) | instskip(NEXT) | instid1(VALU_DEP_1)
	v_fma_f64 v[18:19], -v[2:3], v[6:7], 1.0
	v_fmac_f64_e32 v[6:7], v[6:7], v[18:19]
	s_delay_alu instid0(VALU_DEP_1) | instskip(NEXT) | instid1(VALU_DEP_1)
	v_fma_f64 v[18:19], -v[2:3], v[6:7], 1.0
	v_fmac_f64_e32 v[6:7], v[6:7], v[18:19]
	s_delay_alu instid0(VALU_DEP_1) | instskip(NEXT) | instid1(VALU_DEP_1)
	v_mul_f64_e32 v[18:19], v[20:21], v[6:7]
	v_fma_f64 v[2:3], -v[2:3], v[18:19], v[20:21]
	s_delay_alu instid0(VALU_DEP_1) | instskip(SKIP_1) | instid1(VALU_DEP_2)
	v_div_fmas_f64 v[2:3], v[2:3], v[6:7], v[18:19]
	v_fma_f64 v[6:7], v[4:5], 0, 1.0
	v_div_fixup_f64 v[0:1], v[2:3], v[0:1], 1.0
	v_add_f64_e64 v[2:3], -v[4:5], 0
	s_delay_alu instid0(VALU_DEP_2) | instskip(NEXT) | instid1(VALU_DEP_2)
	v_mul_f64_e32 v[4:5], v[6:7], v[0:1]
	v_mul_f64_e32 v[6:7], v[2:3], v[0:1]
.LBB201_11:                             ;   in Loop: Header=BB201_3 Depth=1
	s_or_b32 exec_lo, exec_lo, s15
	s_branch .LBB201_13
.LBB201_12:                             ;   in Loop: Header=BB201_3 Depth=1
	v_mov_b64_e32 v[6:7], 0
	v_mov_b64_e32 v[4:5], 1.0
.LBB201_13:                             ;   in Loop: Header=BB201_3 Depth=1
	ds_store_b128 v17, v[4:7]
.LBB201_14:                             ;   in Loop: Header=BB201_3 Depth=1
	s_or_b32 exec_lo, exec_lo, s14
	s_mul_u64 s[14:15], s[12:13], s[20:21]
	s_and_saveexec_b32 s18, s16
	s_cbranch_execz .LBB201_17
; %bb.15:                               ;   in Loop: Header=BB201_3 Depth=1
	v_add_nc_u64_e32 v[0:1], s[14:15], v[14:15]
	v_mov_b32_e32 v2, v16
	s_mov_b32 s22, s24
.LBB201_16:                             ;   Parent Loop BB201_3 Depth=1
                                        ; =>  This Inner Loop Header: Depth=2
	global_load_b128 v[4:7], v[0:1], off offset:-8
	s_wait_xcnt 0x0
	v_add_nc_u64_e32 v[0:1], 16, v[0:1]
	s_add_co_i32 s22, s22, -1
	s_delay_alu instid0(SALU_CYCLE_1) | instskip(SKIP_3) | instid1(VALU_DEP_2)
	s_cmp_lg_u32 s22, 0
	s_wait_loadcnt 0x0
	v_mul_f64_e32 v[18:19], s[6:7], v[6:7]
	v_mul_f64_e32 v[20:21], s[4:5], v[6:7]
	v_fma_f64 v[18:19], s[4:5], v[4:5], -v[18:19]
	s_delay_alu instid0(VALU_DEP_2)
	v_fmac_f64_e32 v[20:21], s[6:7], v[4:5]
	ds_store_b128 v2, v[18:21]
	v_add_nc_u32_e32 v2, 64, v2
	s_cbranch_scc1 .LBB201_16
.LBB201_17:                             ;   in Loop: Header=BB201_3 Depth=1
	s_or_b32 exec_lo, exec_lo, s18
	s_delay_alu instid0(SALU_CYCLE_1)
	s_and_not1_b32 vcc_lo, exec_lo, s27
	s_mov_b32 s18, -1
	s_wait_dscnt 0x0
	; wave barrier
	s_cbranch_vccnz .LBB201_38
; %bb.18:                               ;   in Loop: Header=BB201_3 Depth=1
	s_mov_b32 s22, 0
	s_mov_b32 s18, s25
	s_branch .LBB201_20
.LBB201_19:                             ;   in Loop: Header=BB201_20 Depth=2
	s_cmp_gt_i32 s18, -1
	s_cselect_b32 s23, -1, 0
	s_add_co_i32 s28, s22, 1
	s_cmp_lt_u32 s22, 2
	s_wait_xcnt 0x0
	s_cselect_b32 s22, -1, 0
	s_delay_alu instid0(SALU_CYCLE_1) | instskip(NEXT) | instid1(SALU_CYCLE_1)
	s_and_b32 s22, s23, s22
	s_and_b32 vcc_lo, exec_lo, s22
	s_mov_b32 s22, s28
	s_cbranch_vccz .LBB201_37
.LBB201_20:                             ;   Parent Loop BB201_3 Depth=1
                                        ; =>  This Loop Header: Depth=2
                                        ;       Child Loop BB201_23 Depth 3
                                        ;         Child Loop BB201_24 Depth 4
                                        ;         Child Loop BB201_26 Depth 4
                                        ;           Child Loop BB201_27 Depth 5
                                        ;         Child Loop BB201_31 Depth 4
                                        ;           Child Loop BB201_33 Depth 5
	s_load_b32 s23, s[10:11], s22 offset:0x0 scale_offset
	s_wait_kmcnt 0x0
	s_add_co_i32 s28, s23, -1
	s_delay_alu instid0(SALU_CYCLE_1)
	s_cmp_lt_i32 s18, s28
	s_cbranch_scc1 .LBB201_19
; %bb.21:                               ;   in Loop: Header=BB201_20 Depth=2
	s_lshl_b32 s31, s18, 6
	s_lshl_b32 s30, s23, 6
	v_add_nc_u32_e32 v4, s31, v16
	s_max_i32 s29, s23, 1
	s_sub_co_i32 s30, 0, s30
	s_add_co_i32 s31, s17, s31
	s_mul_i32 s33, s18, 0x50
	s_mul_i32 s34, s23, 0xffffffb0
	s_branch .LBB201_23
.LBB201_22:                             ;   in Loop: Header=BB201_23 Depth=3
	v_add_nc_u32_e32 v4, s30, v4
	s_sub_co_i32 s18, s18, s23
	s_add_co_i32 s31, s31, s30
	s_add_co_i32 s33, s33, s34
	s_cmp_lt_i32 s18, s28
	s_cbranch_scc1 .LBB201_19
.LBB201_23:                             ;   Parent Loop BB201_3 Depth=1
                                        ;     Parent Loop BB201_20 Depth=2
                                        ; =>    This Loop Header: Depth=3
                                        ;         Child Loop BB201_24 Depth 4
                                        ;         Child Loop BB201_26 Depth 4
                                        ;           Child Loop BB201_27 Depth 5
                                        ;         Child Loop BB201_31 Depth 4
                                        ;           Child Loop BB201_33 Depth 5
	v_dual_mov_b32 v0, v9 :: v_dual_mov_b32 v1, v4
	s_mov_b32 s35, s29
.LBB201_24:                             ;   Parent Loop BB201_3 Depth=1
                                        ;     Parent Loop BB201_20 Depth=2
                                        ;       Parent Loop BB201_23 Depth=3
                                        ; =>      This Inner Loop Header: Depth=4
	ds_load_b128 v[18:21], v1
	v_subrev_nc_u32_e32 v1, 64, v1
	s_add_co_i32 s35, s35, -1
	s_delay_alu instid0(SALU_CYCLE_1)
	s_cmp_eq_u32 s35, 0
	s_wait_dscnt 0x0
	ds_store_b128 v0, v[18:21]
	v_add_nc_u32_e32 v0, 16, v0
	s_cbranch_scc0 .LBB201_24
; %bb.25:                               ;   in Loop: Header=BB201_23 Depth=3
	s_cmp_le_i32 s25, s18
	s_mov_b32 s35, s31
	s_mov_b32 s36, s25
	s_cbranch_scc1 .LBB201_29
.LBB201_26:                             ;   Parent Loop BB201_3 Depth=1
                                        ;     Parent Loop BB201_20 Depth=2
                                        ;       Parent Loop BB201_23 Depth=3
                                        ; =>      This Loop Header: Depth=4
                                        ;           Child Loop BB201_27 Depth 5
	v_lshl_add_u32 v0, s36, 6, v16
	v_mov_b32_e32 v5, v9
	s_mov_b32 s37, s35
	s_mov_b32 s38, s29
	ds_load_b128 v[0:3], v0
.LBB201_27:                             ;   Parent Loop BB201_3 Depth=1
                                        ;     Parent Loop BB201_20 Depth=2
                                        ;       Parent Loop BB201_23 Depth=3
                                        ;         Parent Loop BB201_26 Depth=4
                                        ; =>        This Inner Loop Header: Depth=5
	v_mov_b32_e32 v6, s37
	s_add_co_i32 s38, s38, -1
	s_sub_co_i32 s37, s37, 64
	s_cmp_eq_u32 s38, 0
	ds_load_b128 v[18:21], v6
	s_wait_dscnt 0x0
	v_mul_f64_e32 v[6:7], v[2:3], v[20:21]
	v_mul_f64_e32 v[22:23], v[0:1], v[20:21]
	s_delay_alu instid0(VALU_DEP_2) | instskip(NEXT) | instid1(VALU_DEP_2)
	v_fma_f64 v[6:7], v[0:1], v[18:19], -v[6:7]
	v_fmac_f64_e32 v[22:23], v[2:3], v[18:19]
	ds_load_b128 v[18:21], v5
	s_wait_dscnt 0x0
	v_add_f64_e64 v[18:19], v[18:19], -v[6:7]
	v_add_f64_e64 v[20:21], v[20:21], -v[22:23]
	ds_store_b128 v5, v[18:21]
	v_add_nc_u32_e32 v5, 16, v5
	s_cbranch_scc0 .LBB201_27
; %bb.28:                               ;   in Loop: Header=BB201_26 Depth=4
	s_add_co_i32 s36, s36, -1
	s_add_co_i32 s35, s35, -16
	s_cmp_le_i32 s36, s18
	s_cbranch_scc0 .LBB201_26
.LBB201_29:                             ;   in Loop: Header=BB201_23 Depth=3
	s_lshl_b32 s35, s18, 6
	s_mov_b32 s36, 0
	s_mov_b32 s37, s33
	s_branch .LBB201_31
.LBB201_30:                             ;   in Loop: Header=BB201_31 Depth=4
	s_mulk_i32 s39, 0x50
	s_add_co_i32 s36, s36, 1
	v_mov_b32_e32 v6, s39
	s_sub_co_i32 s37, s37, 64
	s_cmp_eq_u32 s36, s29
	ds_load_b128 v[18:21], v6
	s_wait_dscnt 0x0
	v_mul_f64_e32 v[6:7], v[20:21], v[2:3]
	v_mul_f64_e32 v[24:25], v[18:19], v[2:3]
	s_delay_alu instid0(VALU_DEP_2) | instskip(NEXT) | instid1(VALU_DEP_2)
	v_fma_f64 v[22:23], v[18:19], v[0:1], -v[6:7]
	v_fmac_f64_e32 v[24:25], v[20:21], v[0:1]
	v_add_nc_u32_e32 v0, s38, v16
	ds_store_b128 v5, v[22:25]
	ds_store_b128 v0, v[22:25]
	s_cbranch_scc1 .LBB201_22
.LBB201_31:                             ;   Parent Loop BB201_3 Depth=1
                                        ;     Parent Loop BB201_20 Depth=2
                                        ;       Parent Loop BB201_23 Depth=3
                                        ; =>      This Loop Header: Depth=4
                                        ;           Child Loop BB201_33 Depth 5
	v_lshl_add_u32 v5, s36, 4, v9
	s_cmp_lg_u32 s36, 0
	s_cbranch_scc0 .LBB201_35
; %bb.32:                               ;   in Loop: Header=BB201_31 Depth=4
	ds_load_b128 v[0:3], v5
	v_mov_b32_e32 v6, v9
	s_sub_co_i32 s39, s18, s36
	s_mov_b32 s40, s37
	s_lshl_b32 s38, s39, 6
	s_mov_b32 s41, s36
.LBB201_33:                             ;   Parent Loop BB201_3 Depth=1
                                        ;     Parent Loop BB201_20 Depth=2
                                        ;       Parent Loop BB201_23 Depth=3
                                        ;         Parent Loop BB201_31 Depth=4
                                        ; =>        This Inner Loop Header: Depth=5
	v_mov_b32_e32 v7, s40
	s_add_co_i32 s41, s41, -1
	s_add_co_i32 s40, s40, -16
	s_cmp_eq_u32 s41, 0
	ds_load_b128 v[18:21], v6
	ds_load_b128 v[22:25], v7
	s_wait_dscnt 0x0
	v_dual_mul_f64 v[26:27], v[24:25], v[20:21] :: v_dual_add_nc_u32 v6, 16, v6
	v_mul_f64_e32 v[20:21], v[22:23], v[20:21]
	s_delay_alu instid0(VALU_DEP_2) | instskip(NEXT) | instid1(VALU_DEP_2)
	v_fma_f64 v[22:23], v[22:23], v[18:19], -v[26:27]
	v_fmac_f64_e32 v[20:21], v[24:25], v[18:19]
	s_delay_alu instid0(VALU_DEP_2) | instskip(NEXT) | instid1(VALU_DEP_2)
	v_add_f64_e64 v[0:1], v[0:1], -v[22:23]
	v_add_f64_e64 v[2:3], v[2:3], -v[20:21]
	ds_store_b128 v5, v[0:3]
	s_cbranch_scc0 .LBB201_33
; %bb.34:                               ;   in Loop: Header=BB201_31 Depth=4
	s_branch .LBB201_30
.LBB201_35:                             ;   in Loop: Header=BB201_31 Depth=4
                                        ; implicit-def: $vgpr0_vgpr1
                                        ; implicit-def: $sgpr39
                                        ; implicit-def: $sgpr38
	s_cbranch_execz .LBB201_30
; %bb.36:                               ;   in Loop: Header=BB201_31 Depth=4
	ds_load_b128 v[0:3], v9
	s_mov_b32 s38, s35
	s_mov_b32 s39, s18
	s_branch .LBB201_30
.LBB201_37:                             ;   in Loop: Header=BB201_3 Depth=1
	s_mov_b32 s18, 0
.LBB201_38:                             ;   in Loop: Header=BB201_3 Depth=1
	s_delay_alu instid0(SALU_CYCLE_1)
	s_and_b32 vcc_lo, exec_lo, s18
	s_cbranch_vccz .LBB201_59
; %bb.39:                               ;   in Loop: Header=BB201_3 Depth=1
	s_mov_b32 s22, 0
	s_mov_b32 s18, 0
	s_branch .LBB201_41
.LBB201_40:                             ;   in Loop: Header=BB201_41 Depth=2
	s_cmp_lt_i32 s18, s24
	s_cselect_b32 s23, -1, 0
	s_add_co_i32 s28, s22, 1
	s_cmp_lt_u32 s22, 2
	s_wait_xcnt 0x0
	s_cselect_b32 s22, -1, 0
	s_delay_alu instid0(SALU_CYCLE_1) | instskip(NEXT) | instid1(SALU_CYCLE_1)
	s_and_b32 s22, s23, s22
	s_and_not1_b32 vcc_lo, exec_lo, s22
	s_mov_b32 s22, s28
	s_cbranch_vccnz .LBB201_59
.LBB201_41:                             ;   Parent Loop BB201_3 Depth=1
                                        ; =>  This Loop Header: Depth=2
                                        ;       Child Loop BB201_44 Depth 3
                                        ;         Child Loop BB201_45 Depth 4
                                        ;         Child Loop BB201_48 Depth 4
                                        ;           Child Loop BB201_49 Depth 5
                                        ;         Child Loop BB201_53 Depth 4
                                        ;           Child Loop BB201_55 Depth 5
	s_load_b32 s23, s[10:11], s22 offset:0x0 scale_offset
	s_wait_kmcnt 0x0
	s_add_co_i32 s28, s23, -1
	s_delay_alu instid0(SALU_CYCLE_1) | instskip(NEXT) | instid1(SALU_CYCLE_1)
	s_add_co_i32 s29, s28, s18
	s_cmp_ge_i32 s29, s24
	s_cbranch_scc1 .LBB201_40
; %bb.42:                               ;   in Loop: Header=BB201_41 Depth=2
	v_lshl_add_u32 v4, s18, 6, v16
	s_max_i32 s29, s23, 1
	s_lshl_b32 s30, s23, 6
	s_lshl_b32 s31, s18, 4
	;; [unrolled: 1-line block ×3, first 2 shown]
	s_mul_i32 s34, s18, 0x50
	s_mul_i32 s35, s23, 0x50
	s_branch .LBB201_44
.LBB201_43:                             ;   in Loop: Header=BB201_44 Depth=3
	s_add_co_i32 s18, s18, s23
	v_add_nc_u32_e32 v4, s30, v4
	s_add_co_i32 s36, s28, s18
	s_add_co_i32 s31, s31, s33
	;; [unrolled: 1-line block ×3, first 2 shown]
	s_cmp_ge_i32 s36, s24
	s_cbranch_scc1 .LBB201_40
.LBB201_44:                             ;   Parent Loop BB201_3 Depth=1
                                        ;     Parent Loop BB201_41 Depth=2
                                        ; =>    This Loop Header: Depth=3
                                        ;         Child Loop BB201_45 Depth 4
                                        ;         Child Loop BB201_48 Depth 4
                                        ;           Child Loop BB201_49 Depth 5
                                        ;         Child Loop BB201_53 Depth 4
                                        ;           Child Loop BB201_55 Depth 5
	v_dual_mov_b32 v0, v9 :: v_dual_mov_b32 v1, v4
	s_mov_b32 s36, s29
.LBB201_45:                             ;   Parent Loop BB201_3 Depth=1
                                        ;     Parent Loop BB201_41 Depth=2
                                        ;       Parent Loop BB201_44 Depth=3
                                        ; =>      This Inner Loop Header: Depth=4
	ds_load_b128 v[18:21], v1
	v_add_nc_u32_e32 v1, 64, v1
	s_add_co_i32 s36, s36, -1
	s_delay_alu instid0(SALU_CYCLE_1)
	s_cmp_eq_u32 s36, 0
	s_wait_dscnt 0x0
	ds_store_b128 v0, v[18:21]
	v_add_nc_u32_e32 v0, 16, v0
	s_cbranch_scc0 .LBB201_45
; %bb.46:                               ;   in Loop: Header=BB201_44 Depth=3
	s_cmp_lt_i32 s18, 1
	s_cbranch_scc1 .LBB201_51
; %bb.47:                               ;   in Loop: Header=BB201_44 Depth=3
	s_mov_b32 s36, 0
	s_mov_b32 s37, s31
.LBB201_48:                             ;   Parent Loop BB201_3 Depth=1
                                        ;     Parent Loop BB201_41 Depth=2
                                        ;       Parent Loop BB201_44 Depth=3
                                        ; =>      This Loop Header: Depth=4
                                        ;           Child Loop BB201_49 Depth 5
	v_lshl_add_u32 v0, s36, 6, v16
	v_mov_b32_e32 v5, v9
	s_mov_b32 s38, s37
	s_mov_b32 s39, s29
	ds_load_b128 v[0:3], v0
.LBB201_49:                             ;   Parent Loop BB201_3 Depth=1
                                        ;     Parent Loop BB201_41 Depth=2
                                        ;       Parent Loop BB201_44 Depth=3
                                        ;         Parent Loop BB201_48 Depth=4
                                        ; =>        This Inner Loop Header: Depth=5
	v_mov_b32_e32 v6, s38
	s_add_co_i32 s39, s39, -1
	s_add_co_i32 s38, s38, 16
	s_cmp_eq_u32 s39, 0
	ds_load_b128 v[18:21], v6
	s_wait_dscnt 0x0
	v_mul_f64_e32 v[6:7], v[2:3], v[20:21]
	v_mul_f64_e32 v[22:23], v[0:1], v[20:21]
	s_delay_alu instid0(VALU_DEP_2) | instskip(NEXT) | instid1(VALU_DEP_2)
	v_fma_f64 v[6:7], v[0:1], v[18:19], -v[6:7]
	v_fmac_f64_e32 v[22:23], v[2:3], v[18:19]
	ds_load_b128 v[18:21], v5
	s_wait_dscnt 0x0
	v_add_f64_e64 v[18:19], v[18:19], -v[6:7]
	v_add_f64_e64 v[20:21], v[20:21], -v[22:23]
	ds_store_b128 v5, v[18:21]
	v_add_nc_u32_e32 v5, 16, v5
	s_cbranch_scc0 .LBB201_49
; %bb.50:                               ;   in Loop: Header=BB201_48 Depth=4
	s_add_co_i32 s36, s36, 1
	s_add_co_i32 s37, s37, 64
	s_cmp_eq_u32 s36, s18
	s_cbranch_scc0 .LBB201_48
.LBB201_51:                             ;   in Loop: Header=BB201_44 Depth=3
	s_mov_b32 s36, 0
	s_mov_b32 s37, s34
	s_branch .LBB201_53
.LBB201_52:                             ;   in Loop: Header=BB201_53 Depth=4
	s_add_co_i32 s38, s36, s18
	s_add_co_i32 s36, s36, 1
	s_mul_i32 s39, s38, 0x50
	s_add_co_i32 s37, s37, 16
	v_mov_b32_e32 v6, s39
	s_cmp_eq_u32 s36, s29
	ds_load_b128 v[18:21], v6
	s_wait_dscnt 0x0
	v_mul_f64_e32 v[6:7], v[20:21], v[2:3]
	v_mul_f64_e32 v[24:25], v[18:19], v[2:3]
	s_delay_alu instid0(VALU_DEP_2) | instskip(NEXT) | instid1(VALU_DEP_2)
	v_fma_f64 v[22:23], v[18:19], v[0:1], -v[6:7]
	v_fmac_f64_e32 v[24:25], v[20:21], v[0:1]
	v_lshl_add_u32 v0, s38, 6, v16
	ds_store_b128 v5, v[22:25]
	ds_store_b128 v0, v[22:25]
	s_cbranch_scc1 .LBB201_43
.LBB201_53:                             ;   Parent Loop BB201_3 Depth=1
                                        ;     Parent Loop BB201_41 Depth=2
                                        ;       Parent Loop BB201_44 Depth=3
                                        ; =>      This Loop Header: Depth=4
                                        ;           Child Loop BB201_55 Depth 5
	v_lshl_add_u32 v5, s36, 4, v9
	s_cmp_lg_u32 s36, 0
	s_cbranch_scc0 .LBB201_57
; %bb.54:                               ;   in Loop: Header=BB201_53 Depth=4
	ds_load_b128 v[0:3], v5
	v_mov_b32_e32 v6, v9
	s_mov_b32 s38, s37
	s_mov_b32 s39, s36
.LBB201_55:                             ;   Parent Loop BB201_3 Depth=1
                                        ;     Parent Loop BB201_41 Depth=2
                                        ;       Parent Loop BB201_44 Depth=3
                                        ;         Parent Loop BB201_53 Depth=4
                                        ; =>        This Inner Loop Header: Depth=5
	v_mov_b32_e32 v7, s38
	s_add_co_i32 s39, s39, -1
	s_add_co_i32 s38, s38, 64
	s_cmp_eq_u32 s39, 0
	ds_load_b128 v[18:21], v6
	ds_load_b128 v[22:25], v7
	s_wait_dscnt 0x0
	v_dual_mul_f64 v[26:27], v[24:25], v[20:21] :: v_dual_add_nc_u32 v6, 16, v6
	v_mul_f64_e32 v[20:21], v[22:23], v[20:21]
	s_delay_alu instid0(VALU_DEP_2) | instskip(NEXT) | instid1(VALU_DEP_2)
	v_fma_f64 v[22:23], v[22:23], v[18:19], -v[26:27]
	v_fmac_f64_e32 v[20:21], v[24:25], v[18:19]
	s_delay_alu instid0(VALU_DEP_2) | instskip(NEXT) | instid1(VALU_DEP_2)
	v_add_f64_e64 v[0:1], v[0:1], -v[22:23]
	v_add_f64_e64 v[2:3], v[2:3], -v[20:21]
	ds_store_b128 v5, v[0:3]
	s_cbranch_scc0 .LBB201_55
; %bb.56:                               ;   in Loop: Header=BB201_53 Depth=4
	s_branch .LBB201_52
.LBB201_57:                             ;   in Loop: Header=BB201_53 Depth=4
                                        ; implicit-def: $vgpr0_vgpr1
	s_cbranch_execz .LBB201_52
; %bb.58:                               ;   in Loop: Header=BB201_53 Depth=4
	ds_load_b128 v[0:3], v9
	s_branch .LBB201_52
.LBB201_59:                             ;   in Loop: Header=BB201_3 Depth=1
	s_wait_dscnt 0x0
	; wave barrier
	s_and_saveexec_b32 s18, s16
	s_cbranch_execz .LBB201_2
; %bb.60:                               ;   in Loop: Header=BB201_3 Depth=1
	v_add_nc_u64_e32 v[0:1], s[14:15], v[10:11]
	v_mov_b32_e32 v2, v16
	s_mov_b32 s14, s24
.LBB201_61:                             ;   Parent Loop BB201_3 Depth=1
                                        ; =>  This Inner Loop Header: Depth=2
	ds_load_2addr_b64 v[4:7], v2 offset1:1
	v_add_nc_u32_e32 v2, 64, v2
	s_add_co_i32 s14, s14, -1
	s_delay_alu instid0(SALU_CYCLE_1)
	s_cmp_lg_u32 s14, 0
	s_wait_dscnt 0x0
	global_store_b128 v[0:1], v[4:7], off
	s_wait_xcnt 0x0
	v_add_nc_u64_e32 v[0:1], 16, v[0:1]
	s_cbranch_scc1 .LBB201_61
	s_branch .LBB201_2
.LBB201_62:
	s_endpgm
	.section	.rodata,"a",@progbits
	.p2align	6, 0x0
	.amdhsa_kernel _ZL38rocblas_trsm_small_left_device_sharedBILi4ELi4ELb1E19rocblas_complex_numIdES1_PKS1_PS1_Ev13rocblas_fill_18rocblas_operation_17rocblas_diagonal_iiT3_T4_lilT5_lili
		.amdhsa_group_segment_fixed_size 768
		.amdhsa_private_segment_fixed_size 0
		.amdhsa_kernarg_size 368
		.amdhsa_user_sgpr_count 4
		.amdhsa_user_sgpr_dispatch_ptr 1
		.amdhsa_user_sgpr_queue_ptr 0
		.amdhsa_user_sgpr_kernarg_segment_ptr 1
		.amdhsa_user_sgpr_dispatch_id 0
		.amdhsa_user_sgpr_kernarg_preload_length 0
		.amdhsa_user_sgpr_kernarg_preload_offset 0
		.amdhsa_user_sgpr_private_segment_size 0
		.amdhsa_wavefront_size32 1
		.amdhsa_uses_dynamic_stack 0
		.amdhsa_enable_private_segment 0
		.amdhsa_system_sgpr_workgroup_id_x 1
		.amdhsa_system_sgpr_workgroup_id_y 0
		.amdhsa_system_sgpr_workgroup_id_z 1
		.amdhsa_system_sgpr_workgroup_info 0
		.amdhsa_system_vgpr_workitem_id 2
		.amdhsa_next_free_vgpr 28
		.amdhsa_next_free_sgpr 42
		.amdhsa_named_barrier_count 0
		.amdhsa_reserve_vcc 1
		.amdhsa_float_round_mode_32 0
		.amdhsa_float_round_mode_16_64 0
		.amdhsa_float_denorm_mode_32 3
		.amdhsa_float_denorm_mode_16_64 3
		.amdhsa_fp16_overflow 0
		.amdhsa_memory_ordered 1
		.amdhsa_forward_progress 1
		.amdhsa_inst_pref_size 21
		.amdhsa_round_robin_scheduling 0
		.amdhsa_exception_fp_ieee_invalid_op 0
		.amdhsa_exception_fp_denorm_src 0
		.amdhsa_exception_fp_ieee_div_zero 0
		.amdhsa_exception_fp_ieee_overflow 0
		.amdhsa_exception_fp_ieee_underflow 0
		.amdhsa_exception_fp_ieee_inexact 0
		.amdhsa_exception_int_div_zero 0
	.end_amdhsa_kernel
	.section	.text._ZL38rocblas_trsm_small_left_device_sharedBILi4ELi4ELb1E19rocblas_complex_numIdES1_PKS1_PS1_Ev13rocblas_fill_18rocblas_operation_17rocblas_diagonal_iiT3_T4_lilT5_lili,"axG",@progbits,_ZL38rocblas_trsm_small_left_device_sharedBILi4ELi4ELb1E19rocblas_complex_numIdES1_PKS1_PS1_Ev13rocblas_fill_18rocblas_operation_17rocblas_diagonal_iiT3_T4_lilT5_lili,comdat
.Lfunc_end201:
	.size	_ZL38rocblas_trsm_small_left_device_sharedBILi4ELi4ELb1E19rocblas_complex_numIdES1_PKS1_PS1_Ev13rocblas_fill_18rocblas_operation_17rocblas_diagonal_iiT3_T4_lilT5_lili, .Lfunc_end201-_ZL38rocblas_trsm_small_left_device_sharedBILi4ELi4ELb1E19rocblas_complex_numIdES1_PKS1_PS1_Ev13rocblas_fill_18rocblas_operation_17rocblas_diagonal_iiT3_T4_lilT5_lili
                                        ; -- End function
	.set _ZL38rocblas_trsm_small_left_device_sharedBILi4ELi4ELb1E19rocblas_complex_numIdES1_PKS1_PS1_Ev13rocblas_fill_18rocblas_operation_17rocblas_diagonal_iiT3_T4_lilT5_lili.num_vgpr, 28
	.set _ZL38rocblas_trsm_small_left_device_sharedBILi4ELi4ELb1E19rocblas_complex_numIdES1_PKS1_PS1_Ev13rocblas_fill_18rocblas_operation_17rocblas_diagonal_iiT3_T4_lilT5_lili.num_agpr, 0
	.set _ZL38rocblas_trsm_small_left_device_sharedBILi4ELi4ELb1E19rocblas_complex_numIdES1_PKS1_PS1_Ev13rocblas_fill_18rocblas_operation_17rocblas_diagonal_iiT3_T4_lilT5_lili.numbered_sgpr, 42
	.set _ZL38rocblas_trsm_small_left_device_sharedBILi4ELi4ELb1E19rocblas_complex_numIdES1_PKS1_PS1_Ev13rocblas_fill_18rocblas_operation_17rocblas_diagonal_iiT3_T4_lilT5_lili.num_named_barrier, 0
	.set _ZL38rocblas_trsm_small_left_device_sharedBILi4ELi4ELb1E19rocblas_complex_numIdES1_PKS1_PS1_Ev13rocblas_fill_18rocblas_operation_17rocblas_diagonal_iiT3_T4_lilT5_lili.private_seg_size, 0
	.set _ZL38rocblas_trsm_small_left_device_sharedBILi4ELi4ELb1E19rocblas_complex_numIdES1_PKS1_PS1_Ev13rocblas_fill_18rocblas_operation_17rocblas_diagonal_iiT3_T4_lilT5_lili.uses_vcc, 1
	.set _ZL38rocblas_trsm_small_left_device_sharedBILi4ELi4ELb1E19rocblas_complex_numIdES1_PKS1_PS1_Ev13rocblas_fill_18rocblas_operation_17rocblas_diagonal_iiT3_T4_lilT5_lili.uses_flat_scratch, 0
	.set _ZL38rocblas_trsm_small_left_device_sharedBILi4ELi4ELb1E19rocblas_complex_numIdES1_PKS1_PS1_Ev13rocblas_fill_18rocblas_operation_17rocblas_diagonal_iiT3_T4_lilT5_lili.has_dyn_sized_stack, 0
	.set _ZL38rocblas_trsm_small_left_device_sharedBILi4ELi4ELb1E19rocblas_complex_numIdES1_PKS1_PS1_Ev13rocblas_fill_18rocblas_operation_17rocblas_diagonal_iiT3_T4_lilT5_lili.has_recursion, 0
	.set _ZL38rocblas_trsm_small_left_device_sharedBILi4ELi4ELb1E19rocblas_complex_numIdES1_PKS1_PS1_Ev13rocblas_fill_18rocblas_operation_17rocblas_diagonal_iiT3_T4_lilT5_lili.has_indirect_call, 0
	.section	.AMDGPU.csdata,"",@progbits
; Kernel info:
; codeLenInByte = 2620
; TotalNumSgprs: 44
; NumVgprs: 28
; ScratchSize: 0
; MemoryBound: 0
; FloatMode: 240
; IeeeMode: 1
; LDSByteSize: 768 bytes/workgroup (compile time only)
; SGPRBlocks: 0
; VGPRBlocks: 1
; NumSGPRsForWavesPerEU: 44
; NumVGPRsForWavesPerEU: 28
; NamedBarCnt: 0
; Occupancy: 16
; WaveLimiterHint : 0
; COMPUTE_PGM_RSRC2:SCRATCH_EN: 0
; COMPUTE_PGM_RSRC2:USER_SGPR: 4
; COMPUTE_PGM_RSRC2:TRAP_HANDLER: 0
; COMPUTE_PGM_RSRC2:TGID_X_EN: 1
; COMPUTE_PGM_RSRC2:TGID_Y_EN: 0
; COMPUTE_PGM_RSRC2:TGID_Z_EN: 1
; COMPUTE_PGM_RSRC2:TIDIG_COMP_CNT: 2
	.section	.text._ZL30rocblas_trsm_small_left_deviceILi4ELi4ELb1E19rocblas_complex_numIdES1_PKS1_PS1_Ev13rocblas_fill_18rocblas_operation_17rocblas_diagonal_iiT3_T4_lilT5_lili,"axG",@progbits,_ZL30rocblas_trsm_small_left_deviceILi4ELi4ELb1E19rocblas_complex_numIdES1_PKS1_PS1_Ev13rocblas_fill_18rocblas_operation_17rocblas_diagonal_iiT3_T4_lilT5_lili,comdat
	.globl	_ZL30rocblas_trsm_small_left_deviceILi4ELi4ELb1E19rocblas_complex_numIdES1_PKS1_PS1_Ev13rocblas_fill_18rocblas_operation_17rocblas_diagonal_iiT3_T4_lilT5_lili ; -- Begin function _ZL30rocblas_trsm_small_left_deviceILi4ELi4ELb1E19rocblas_complex_numIdES1_PKS1_PS1_Ev13rocblas_fill_18rocblas_operation_17rocblas_diagonal_iiT3_T4_lilT5_lili
	.p2align	8
	.type	_ZL30rocblas_trsm_small_left_deviceILi4ELi4ELb1E19rocblas_complex_numIdES1_PKS1_PS1_Ev13rocblas_fill_18rocblas_operation_17rocblas_diagonal_iiT3_T4_lilT5_lili,@function
_ZL30rocblas_trsm_small_left_deviceILi4ELi4ELb1E19rocblas_complex_numIdES1_PKS1_PS1_Ev13rocblas_fill_18rocblas_operation_17rocblas_diagonal_iiT3_T4_lilT5_lili: ; @_ZL30rocblas_trsm_small_left_deviceILi4ELi4ELb1E19rocblas_complex_numIdES1_PKS1_PS1_Ev13rocblas_fill_18rocblas_operation_17rocblas_diagonal_iiT3_T4_lilT5_lili
; %bb.0:
	s_load_b32 s30, s[2:3], 0x68
	s_bfe_u32 s4, ttmp6, 0x40014
	s_lshr_b32 s5, ttmp7, 16
	s_add_co_i32 s4, s4, 1
	s_bfe_u32 s6, ttmp6, 0x40008
	s_mul_i32 s4, s5, s4
	s_getreg_b32 s7, hwreg(HW_REG_IB_STS2, 6, 4)
	s_add_co_i32 s6, s6, s4
	s_cmp_eq_u32 s7, 0
	s_mov_b32 s23, 0
	s_cselect_b32 s20, s5, s6
	s_wait_kmcnt 0x0
	s_cmp_ge_u32 s20, s30
	s_cbranch_scc1 .LBB202_58
; %bb.1:
	s_clause 0x1
	s_load_b32 s26, s[2:3], 0x38
	s_load_b96 s[4:6], s[2:3], 0x50
	s_load_b64 s[28:29], s[0:1], 0x4
	s_clause 0x3
	s_load_b128 s[12:15], s[2:3], 0x4
	s_load_b32 s8, s[2:3], 0x70
	s_load_b64 s[24:25], s[2:3], 0x60
	s_load_b128 s[16:19], s[2:3], 0x40
	v_and_b32_e32 v4, 0x3ff, v0
	v_bfe_u32 v1, v0, 10, 10
	v_bfe_u32 v0, v0, 20, 10
	s_delay_alu instid0(VALU_DEP_3) | instskip(SKIP_1) | instid1(VALU_DEP_1)
	v_dual_mov_b32 v9, 0 :: v_dual_lshlrev_b32 v6, 6, v4
	v_lshlrev_b32_e32 v8, 4, v4
	v_add_nc_u32_e32 v18, v8, v6
	s_wait_kmcnt 0x0
	s_ashr_i32 s27, s26, 31
	s_ashr_i32 s9, s6, 31
	s_lshr_b32 s1, s28, 16
	s_cmp_eq_u32 s12, 0x71
	s_mul_i32 s1, s1, s29
	s_cselect_b32 s0, -1, 0
	s_lshl_b64 s[36:37], s[4:5], 4
	s_bfe_u32 s4, ttmp6, 0x4000c
	s_min_i32 s31, s14, 4
	s_add_co_i32 s4, s4, 1
	s_and_b32 s5, ttmp6, 15
	s_mul_i32 s4, ttmp9, s4
	s_add_co_i32 s14, s8, -1
	s_add_co_i32 s33, s31, -1
	s_add_co_i32 s5, s5, s4
	s_cmp_eq_u32 s7, 0
	s_mov_b32 s8, s6
	s_cselect_b32 s21, ttmp9, s5
	v_mul_u32_u24_e32 v1, s29, v1
	s_lshl_b32 s22, s21, 2
	v_mul_u32_u24_e32 v5, s1, v4
	v_or_b32_e32 v2, s22, v4
	v_cmp_gt_i32_e64 s1, s31, v4
	s_delay_alu instid0(VALU_DEP_3) | instskip(NEXT) | instid1(VALU_DEP_3)
	v_add3_u32 v5, v5, v1, v0
	v_ashrrev_i32_e32 v3, 31, v2
	s_delay_alu instid0(VALU_DEP_1)
	v_mul_u64_e32 v[2:3], s[8:9], v[2:3]
	s_load_b256 s[4:11], s[2:3], 0x18
	s_wait_xcnt 0x0
	s_sub_co_i32 s2, s15, s22
	s_cmp_ge_u32 s21, s14
	s_cselect_b32 s2, s2, 4
	s_cmp_lg_u32 s13, 0x84
	v_cmp_gt_i32_e64 s2, s2, v4
	s_cselect_b32 s3, -1, 0
	s_cmp_lg_u32 s12, 0x6f
	s_get_pc_i64 s[12:13]
	s_add_nc_u64 s[12:13], s[12:13], __const._ZL30rocblas_trsm_small_left_deviceILi4ELi4ELb1E19rocblas_complex_numIdES1_PKS1_PS1_Ev13rocblas_fill_18rocblas_operation_17rocblas_diagonal_iiT3_T4_lilT5_lili.step_sizes@rel64+4
	s_cselect_b32 s34, -1, 0
	s_lshl_b32 s35, s31, 4
	s_lshl_b64 s[14:15], s[24:25], 4
	s_add_co_i32 s35, s35, -16
	s_wait_kmcnt 0x0
	s_lshl_b64 s[10:11], s[10:11], 4
	s_delay_alu instid0(SALU_CYCLE_1)
	s_add_nc_u64 s[8:9], s[8:9], s[10:11]
	s_add_nc_u64 s[10:11], s[18:19], s[36:37]
	v_add_nc_u64_e32 v[0:1], s[8:9], v[8:9]
	v_lshl_add_u32 v9, v5, 6, 0x100
	s_lshl_b64 s[8:9], s[16:17], 4
	s_mov_b32 s36, 0
	v_lshl_add_u64 v[10:11], v[2:3], 4, s[10:11]
	s_delay_alu instid0(VALU_DEP_3) | instskip(SKIP_1) | instid1(VALU_DEP_2)
	v_add_nc_u64_e32 v[12:13], 8, v[0:1]
	s_lshl_b64 s[10:11], s[26:27], 4
	v_add_nc_u64_e32 v[14:15], 8, v[10:11]
	s_branch .LBB202_4
.LBB202_2:                              ;   in Loop: Header=BB202_4 Depth=1
	s_add_co_i32 s20, s20, 0x10000
	s_delay_alu instid0(SALU_CYCLE_1) | instskip(SKIP_1) | instid1(SALU_CYCLE_1)
	s_cmp_ge_u32 s20, s30
	s_cselect_b32 s16, -1, 0
	s_or_not1_b32 s16, s16, exec_lo
.LBB202_3:                              ;   in Loop: Header=BB202_4 Depth=1
	s_wait_xcnt 0x0
	s_or_b32 exec_lo, exec_lo, s37
	s_delay_alu instid0(SALU_CYCLE_1) | instskip(NEXT) | instid1(SALU_CYCLE_1)
	s_and_b32 s16, exec_lo, s16
	s_or_b32 s36, s16, s36
	s_delay_alu instid0(SALU_CYCLE_1)
	s_and_not1_b32 exec_lo, exec_lo, s36
	s_cbranch_execz .LBB202_58
.LBB202_4:                              ; =>This Loop Header: Depth=1
                                        ;     Child Loop BB202_6 Depth 2
                                        ;     Child Loop BB202_19 Depth 2
                                        ;       Child Loop BB202_22 Depth 3
                                        ;         Child Loop BB202_23 Depth 4
                                        ;         Child Loop BB202_25 Depth 4
                                        ;           Child Loop BB202_26 Depth 5
                                        ;         Child Loop BB202_30 Depth 4
                                        ;           Child Loop BB202_32 Depth 5
                                        ;     Child Loop BB202_40 Depth 2
                                        ;       Child Loop BB202_43 Depth 3
                                        ;         Child Loop BB202_44 Depth 4
                                        ;         Child Loop BB202_47 Depth 4
                                        ;           Child Loop BB202_48 Depth 5
                                        ;         Child Loop BB202_52 Depth 4
                                        ;           Child Loop BB202_54 Depth 5
	s_mov_b32 s21, s23
	s_and_saveexec_b32 s16, s1
	s_cbranch_execz .LBB202_15
; %bb.5:                                ;   in Loop: Header=BB202_4 Depth=1
	v_mad_nc_u64_u32 v[0:1], s8, s20, v[12:13]
	v_mov_b32_e32 v2, v8
	s_mov_b32 s17, s31
	s_delay_alu instid0(VALU_DEP_2)
	v_mad_u32 v1, s9, s20, v1
.LBB202_6:                              ;   Parent Loop BB202_4 Depth=1
                                        ; =>  This Inner Loop Header: Depth=2
	global_load_b128 v[4:7], v[0:1], off offset:-8
	s_wait_xcnt 0x0
	v_add_nc_u64_e32 v[0:1], s[10:11], v[0:1]
	s_add_co_i32 s17, s17, -1
	s_delay_alu instid0(SALU_CYCLE_1) | instskip(SKIP_2) | instid1(VALU_DEP_1)
	s_cmp_eq_u32 s17, 0
	s_wait_loadcnt 0x0
	v_xor_b32_e32 v3, 0x80000000, v7
	v_cndmask_b32_e64 v7, v7, v3, s0
	ds_store_b128 v2, v[4:7]
	v_add_nc_u32_e32 v2, 64, v2
	s_cbranch_scc0 .LBB202_6
; %bb.7:                                ;   in Loop: Header=BB202_4 Depth=1
	s_and_b32 vcc_lo, exec_lo, s3
	s_cbranch_vccz .LBB202_13
; %bb.8:                                ;   in Loop: Header=BB202_4 Depth=1
	ds_load_b128 v[0:3], v18
                                        ; implicit-def: $vgpr6_vgpr7
	s_wait_dscnt 0x0
	v_cmp_ngt_f64_e64 s17, |v[0:1]|, |v[2:3]|
	s_and_saveexec_b32 s18, s17
	s_delay_alu instid0(SALU_CYCLE_1)
	s_xor_b32 s17, exec_lo, s18
	s_cbranch_execz .LBB202_10
; %bb.9:                                ;   in Loop: Header=BB202_4 Depth=1
	v_div_scale_f64 v[4:5], null, v[2:3], v[2:3], v[0:1]
	v_div_scale_f64 v[20:21], vcc_lo, v[0:1], v[2:3], v[0:1]
	s_delay_alu instid0(VALU_DEP_2) | instskip(SKIP_1) | instid1(TRANS32_DEP_1)
	v_rcp_f64_e32 v[6:7], v[4:5]
	v_nop
	v_fma_f64 v[16:17], -v[4:5], v[6:7], 1.0
	s_delay_alu instid0(VALU_DEP_1) | instskip(NEXT) | instid1(VALU_DEP_1)
	v_fmac_f64_e32 v[6:7], v[6:7], v[16:17]
	v_fma_f64 v[16:17], -v[4:5], v[6:7], 1.0
	s_delay_alu instid0(VALU_DEP_1) | instskip(NEXT) | instid1(VALU_DEP_1)
	v_fmac_f64_e32 v[6:7], v[6:7], v[16:17]
	v_mul_f64_e32 v[16:17], v[20:21], v[6:7]
	s_delay_alu instid0(VALU_DEP_1) | instskip(NEXT) | instid1(VALU_DEP_1)
	v_fma_f64 v[4:5], -v[4:5], v[16:17], v[20:21]
	v_div_fmas_f64 v[4:5], v[4:5], v[6:7], v[16:17]
	s_delay_alu instid0(VALU_DEP_1) | instskip(NEXT) | instid1(VALU_DEP_1)
	v_div_fixup_f64 v[4:5], v[4:5], v[2:3], v[0:1]
	v_fmac_f64_e32 v[2:3], v[0:1], v[4:5]
	s_delay_alu instid0(VALU_DEP_1) | instskip(SKIP_1) | instid1(VALU_DEP_2)
	v_div_scale_f64 v[0:1], null, v[2:3], v[2:3], 1.0
	v_div_scale_f64 v[20:21], vcc_lo, 1.0, v[2:3], 1.0
	v_rcp_f64_e32 v[6:7], v[0:1]
	v_nop
	s_delay_alu instid0(TRANS32_DEP_1) | instskip(NEXT) | instid1(VALU_DEP_1)
	v_fma_f64 v[16:17], -v[0:1], v[6:7], 1.0
	v_fmac_f64_e32 v[6:7], v[6:7], v[16:17]
	s_delay_alu instid0(VALU_DEP_1) | instskip(NEXT) | instid1(VALU_DEP_1)
	v_fma_f64 v[16:17], -v[0:1], v[6:7], 1.0
	v_fmac_f64_e32 v[6:7], v[6:7], v[16:17]
	s_delay_alu instid0(VALU_DEP_1) | instskip(NEXT) | instid1(VALU_DEP_1)
	v_mul_f64_e32 v[16:17], v[20:21], v[6:7]
	v_fma_f64 v[0:1], -v[0:1], v[16:17], v[20:21]
	s_delay_alu instid0(VALU_DEP_1) | instskip(SKIP_1) | instid1(VALU_DEP_2)
	v_div_fmas_f64 v[0:1], v[0:1], v[6:7], v[16:17]
	v_add_f64_e32 v[6:7], 0, v[4:5]
	v_div_fixup_f64 v[0:1], v[0:1], v[2:3], 1.0
	v_fma_f64 v[2:3], v[4:5], 0, -1.0
	s_delay_alu instid0(VALU_DEP_2) | instskip(NEXT) | instid1(VALU_DEP_2)
	v_mul_f64_e32 v[4:5], v[6:7], v[0:1]
	v_mul_f64_e32 v[6:7], v[2:3], v[0:1]
                                        ; implicit-def: $vgpr0_vgpr1
.LBB202_10:                             ;   in Loop: Header=BB202_4 Depth=1
	s_and_not1_saveexec_b32 s17, s17
	s_cbranch_execz .LBB202_12
; %bb.11:                               ;   in Loop: Header=BB202_4 Depth=1
	v_div_scale_f64 v[4:5], null, v[0:1], v[0:1], v[2:3]
	v_div_scale_f64 v[20:21], vcc_lo, v[2:3], v[0:1], v[2:3]
	s_delay_alu instid0(VALU_DEP_2) | instskip(SKIP_1) | instid1(TRANS32_DEP_1)
	v_rcp_f64_e32 v[6:7], v[4:5]
	v_nop
	v_fma_f64 v[16:17], -v[4:5], v[6:7], 1.0
	s_delay_alu instid0(VALU_DEP_1) | instskip(NEXT) | instid1(VALU_DEP_1)
	v_fmac_f64_e32 v[6:7], v[6:7], v[16:17]
	v_fma_f64 v[16:17], -v[4:5], v[6:7], 1.0
	s_delay_alu instid0(VALU_DEP_1) | instskip(NEXT) | instid1(VALU_DEP_1)
	v_fmac_f64_e32 v[6:7], v[6:7], v[16:17]
	v_mul_f64_e32 v[16:17], v[20:21], v[6:7]
	s_delay_alu instid0(VALU_DEP_1) | instskip(NEXT) | instid1(VALU_DEP_1)
	v_fma_f64 v[4:5], -v[4:5], v[16:17], v[20:21]
	v_div_fmas_f64 v[4:5], v[4:5], v[6:7], v[16:17]
	s_delay_alu instid0(VALU_DEP_1) | instskip(NEXT) | instid1(VALU_DEP_1)
	v_div_fixup_f64 v[4:5], v[4:5], v[0:1], v[2:3]
	v_fmac_f64_e32 v[0:1], v[2:3], v[4:5]
	s_delay_alu instid0(VALU_DEP_1) | instskip(SKIP_1) | instid1(VALU_DEP_2)
	v_div_scale_f64 v[2:3], null, v[0:1], v[0:1], 1.0
	v_div_scale_f64 v[20:21], vcc_lo, 1.0, v[0:1], 1.0
	v_rcp_f64_e32 v[6:7], v[2:3]
	v_nop
	s_delay_alu instid0(TRANS32_DEP_1) | instskip(NEXT) | instid1(VALU_DEP_1)
	v_fma_f64 v[16:17], -v[2:3], v[6:7], 1.0
	v_fmac_f64_e32 v[6:7], v[6:7], v[16:17]
	s_delay_alu instid0(VALU_DEP_1) | instskip(NEXT) | instid1(VALU_DEP_1)
	v_fma_f64 v[16:17], -v[2:3], v[6:7], 1.0
	v_fmac_f64_e32 v[6:7], v[6:7], v[16:17]
	s_delay_alu instid0(VALU_DEP_1) | instskip(NEXT) | instid1(VALU_DEP_1)
	v_mul_f64_e32 v[16:17], v[20:21], v[6:7]
	v_fma_f64 v[2:3], -v[2:3], v[16:17], v[20:21]
	s_delay_alu instid0(VALU_DEP_1) | instskip(SKIP_1) | instid1(VALU_DEP_2)
	v_div_fmas_f64 v[2:3], v[2:3], v[6:7], v[16:17]
	v_fma_f64 v[6:7], v[4:5], 0, 1.0
	v_div_fixup_f64 v[0:1], v[2:3], v[0:1], 1.0
	v_add_f64_e64 v[2:3], -v[4:5], 0
	s_delay_alu instid0(VALU_DEP_2) | instskip(NEXT) | instid1(VALU_DEP_2)
	v_mul_f64_e32 v[4:5], v[6:7], v[0:1]
	v_mul_f64_e32 v[6:7], v[2:3], v[0:1]
.LBB202_12:                             ;   in Loop: Header=BB202_4 Depth=1
	s_or_b32 exec_lo, exec_lo, s17
	s_branch .LBB202_14
.LBB202_13:                             ;   in Loop: Header=BB202_4 Depth=1
	v_mov_b64_e32 v[6:7], 0
	v_mov_b64_e32 v[4:5], 1.0
.LBB202_14:                             ;   in Loop: Header=BB202_4 Depth=1
	ds_store_b128 v18, v[4:7]
.LBB202_15:                             ;   in Loop: Header=BB202_4 Depth=1
	s_or_b32 exec_lo, exec_lo, s16
	s_mov_b32 s16, -1
	s_wait_dscnt 0x0
	; wave barrier
	s_and_saveexec_b32 s37, s2
	s_cbranch_execz .LBB202_3
; %bb.16:                               ;   in Loop: Header=BB202_4 Depth=1
	s_mul_u64 s[16:17], s[24:25], s[20:21]
	s_and_not1_b32 vcc_lo, exec_lo, s34
	v_lshl_add_u64 v[4:5], s[16:17], 4, v[10:11]
	s_mul_u64 s[16:17], s[14:15], s[20:21]
	s_mov_b32 s18, -1
	s_cbranch_vccnz .LBB202_37
; %bb.17:                               ;   in Loop: Header=BB202_4 Depth=1
	v_add_nc_u64_e32 v[6:7], s[16:17], v[14:15]
	s_mov_b32 s21, 0
	s_mov_b32 s18, s33
	s_branch .LBB202_19
.LBB202_18:                             ;   in Loop: Header=BB202_19 Depth=2
	s_cmp_gt_i32 s18, -1
	s_cselect_b32 s19, -1, 0
	s_add_co_i32 s22, s21, 1
	s_cmp_lt_u32 s21, 2
	s_wait_xcnt 0x0
	s_cselect_b32 s21, -1, 0
	s_delay_alu instid0(SALU_CYCLE_1)
	s_and_b32 s19, s19, s21
	s_mov_b32 s21, s22
	s_and_b32 vcc_lo, exec_lo, s19
	s_cbranch_vccz .LBB202_36
.LBB202_19:                             ;   Parent Loop BB202_4 Depth=1
                                        ; =>  This Loop Header: Depth=2
                                        ;       Child Loop BB202_22 Depth 3
                                        ;         Child Loop BB202_23 Depth 4
                                        ;         Child Loop BB202_25 Depth 4
                                        ;           Child Loop BB202_26 Depth 5
                                        ;         Child Loop BB202_30 Depth 4
                                        ;           Child Loop BB202_32 Depth 5
	s_load_b32 s22, s[12:13], s21 offset:0x0 scale_offset
	s_wait_kmcnt 0x0
	s_add_co_i32 s38, s22, -1
	s_delay_alu instid0(SALU_CYCLE_1)
	s_cmp_lt_i32 s18, s38
	s_cbranch_scc1 .LBB202_18
; %bb.20:                               ;   in Loop: Header=BB202_19 Depth=2
	s_lshl_b32 s19, s18, 6
	s_lshl_b32 s26, s22, 6
	s_max_i32 s39, s22, 1
	s_add_co_i32 s40, s35, s19
	s_sub_co_i32 s41, 0, s26
	s_mul_i32 s42, s18, 0x50
	s_mul_i32 s43, s22, 0xffffffb0
	s_branch .LBB202_22
.LBB202_21:                             ;   in Loop: Header=BB202_22 Depth=3
	s_sub_co_i32 s18, s18, s22
	s_add_co_i32 s40, s40, s41
	s_add_co_i32 s42, s42, s43
	s_cmp_lt_i32 s18, s38
	s_cbranch_scc1 .LBB202_18
.LBB202_22:                             ;   Parent Loop BB202_4 Depth=1
                                        ;     Parent Loop BB202_19 Depth=2
                                        ; =>    This Loop Header: Depth=3
                                        ;         Child Loop BB202_23 Depth 4
                                        ;         Child Loop BB202_25 Depth 4
                                        ;           Child Loop BB202_26 Depth 5
                                        ;         Child Loop BB202_30 Depth 4
                                        ;           Child Loop BB202_32 Depth 5
	s_ashr_i32 s19, s18, 31
	v_mov_b32_e32 v2, v9
	s_wait_xcnt 0x0
	v_lshl_add_u64 v[0:1], s[18:19], 4, v[6:7]
	s_mov_b32 s26, s39
.LBB202_23:                             ;   Parent Loop BB202_4 Depth=1
                                        ;     Parent Loop BB202_19 Depth=2
                                        ;       Parent Loop BB202_22 Depth=3
                                        ; =>      This Inner Loop Header: Depth=4
	global_load_b128 v[20:23], v[0:1], off offset:-8
	s_wait_xcnt 0x0
	v_add_nc_u64_e32 v[0:1], -16, v[0:1]
	s_add_co_i32 s26, s26, -1
	s_delay_alu instid0(SALU_CYCLE_1) | instskip(SKIP_3) | instid1(VALU_DEP_2)
	s_cmp_eq_u32 s26, 0
	s_wait_loadcnt 0x0
	v_mul_f64_e32 v[16:17], s[6:7], v[22:23]
	v_mul_f64_e32 v[24:25], s[4:5], v[22:23]
	v_fma_f64 v[22:23], s[4:5], v[20:21], -v[16:17]
	s_delay_alu instid0(VALU_DEP_2)
	v_fmac_f64_e32 v[24:25], s[6:7], v[20:21]
	ds_store_b128 v2, v[22:25]
	v_add_nc_u32_e32 v2, 16, v2
	s_cbranch_scc0 .LBB202_23
; %bb.24:                               ;   in Loop: Header=BB202_22 Depth=3
	s_cmp_le_i32 s33, s18
	s_mov_b32 s28, s40
	s_mov_b32 s26, s33
	s_cbranch_scc1 .LBB202_28
.LBB202_25:                             ;   Parent Loop BB202_4 Depth=1
                                        ;     Parent Loop BB202_19 Depth=2
                                        ;       Parent Loop BB202_22 Depth=3
                                        ; =>      This Loop Header: Depth=4
                                        ;           Child Loop BB202_26 Depth 5
	s_ashr_i32 s27, s26, 31
	v_mov_b32_e32 v16, v9
	s_wait_xcnt 0x0
	v_lshl_add_u64 v[0:1], s[26:27], 4, v[4:5]
	s_mov_b32 s27, s28
	s_mov_b32 s29, s39
	global_load_b128 v[0:3], v[0:1], off
.LBB202_26:                             ;   Parent Loop BB202_4 Depth=1
                                        ;     Parent Loop BB202_19 Depth=2
                                        ;       Parent Loop BB202_22 Depth=3
                                        ;         Parent Loop BB202_25 Depth=4
                                        ; =>        This Inner Loop Header: Depth=5
	v_mov_b32_e32 v17, s27
	s_add_co_i32 s29, s29, -1
	s_sub_co_i32 s27, s27, 64
	s_cmp_eq_u32 s29, 0
	ds_load_b128 v[20:23], v17
	s_wait_loadcnt_dscnt 0x0
	v_mul_f64_e32 v[24:25], v[2:3], v[22:23]
	v_mul_f64_e32 v[26:27], v[0:1], v[22:23]
	s_delay_alu instid0(VALU_DEP_2) | instskip(NEXT) | instid1(VALU_DEP_2)
	v_fma_f64 v[24:25], v[0:1], v[20:21], -v[24:25]
	v_fmac_f64_e32 v[26:27], v[2:3], v[20:21]
	ds_load_b128 v[20:23], v16
	s_wait_dscnt 0x0
	v_add_f64_e64 v[20:21], v[20:21], -v[24:25]
	v_add_f64_e64 v[22:23], v[22:23], -v[26:27]
	ds_store_b128 v16, v[20:23]
	v_add_nc_u32_e32 v16, 16, v16
	s_cbranch_scc0 .LBB202_26
; %bb.27:                               ;   in Loop: Header=BB202_25 Depth=4
	s_add_co_i32 s26, s26, -1
	s_add_co_i32 s28, s28, -16
	s_cmp_le_i32 s26, s18
	s_cbranch_scc0 .LBB202_25
.LBB202_28:                             ;   in Loop: Header=BB202_22 Depth=3
	s_mov_b32 s44, 0
	s_mov_b32 s45, s42
	s_branch .LBB202_30
.LBB202_29:                             ;   in Loop: Header=BB202_30 Depth=4
	s_mulk_i32 s28, 0x50
	s_add_co_i32 s44, s44, 1
	v_mov_b32_e32 v17, s28
	s_sub_co_i32 s45, s45, 64
	s_cmp_eq_u32 s44, s39
	ds_load_b128 v[20:23], v17
	s_wait_dscnt 0x0
	s_wait_xcnt 0x0
	v_mul_f64_e32 v[24:25], v[22:23], v[2:3]
	v_mul_f64_e32 v[26:27], v[20:21], v[2:3]
	s_delay_alu instid0(VALU_DEP_2) | instskip(NEXT) | instid1(VALU_DEP_2)
	v_fma_f64 v[24:25], v[20:21], v[0:1], -v[24:25]
	v_fmac_f64_e32 v[26:27], v[22:23], v[0:1]
	v_lshl_add_u64 v[0:1], s[26:27], 4, v[4:5]
	ds_store_b128 v16, v[24:27]
	global_store_b128 v[0:1], v[24:27], off
	s_cbranch_scc1 .LBB202_21
.LBB202_30:                             ;   Parent Loop BB202_4 Depth=1
                                        ;     Parent Loop BB202_19 Depth=2
                                        ;       Parent Loop BB202_22 Depth=3
                                        ; =>      This Loop Header: Depth=4
                                        ;           Child Loop BB202_32 Depth 5
	v_lshl_add_u32 v16, s44, 4, v9
	s_cmp_lg_u32 s44, 0
	s_cbranch_scc0 .LBB202_34
; %bb.31:                               ;   in Loop: Header=BB202_30 Depth=4
	s_wait_xcnt 0x0
	ds_load_b128 v[0:3], v16
	v_mov_b32_e32 v17, v9
	s_mov_b32 s26, s45
	s_mov_b32 s27, s44
.LBB202_32:                             ;   Parent Loop BB202_4 Depth=1
                                        ;     Parent Loop BB202_19 Depth=2
                                        ;       Parent Loop BB202_22 Depth=3
                                        ;         Parent Loop BB202_30 Depth=4
                                        ; =>        This Inner Loop Header: Depth=5
	v_mov_b32_e32 v19, s26
	s_add_co_i32 s27, s27, -1
	s_add_co_i32 s26, s26, -16
	s_cmp_eq_u32 s27, 0
	ds_load_b128 v[20:23], v17
	ds_load_b128 v[24:27], v19
	s_wait_dscnt 0x0
	v_dual_mul_f64 v[28:29], v[26:27], v[22:23] :: v_dual_add_nc_u32 v17, 16, v17
	v_mul_f64_e32 v[22:23], v[24:25], v[22:23]
	s_delay_alu instid0(VALU_DEP_2) | instskip(NEXT) | instid1(VALU_DEP_2)
	v_fma_f64 v[24:25], v[24:25], v[20:21], -v[28:29]
	v_fmac_f64_e32 v[22:23], v[26:27], v[20:21]
	s_delay_alu instid0(VALU_DEP_2) | instskip(NEXT) | instid1(VALU_DEP_2)
	v_add_f64_e64 v[0:1], v[0:1], -v[24:25]
	v_add_f64_e64 v[2:3], v[2:3], -v[22:23]
	ds_store_b128 v16, v[0:3]
	s_cbranch_scc0 .LBB202_32
; %bb.33:                               ;   in Loop: Header=BB202_30 Depth=4
	s_sub_co_i32 s28, s18, s44
	s_delay_alu instid0(SALU_CYCLE_1) | instskip(NEXT) | instid1(SALU_CYCLE_1)
	s_ashr_i32 s29, s28, 31
	s_mov_b64 s[26:27], s[28:29]
	s_branch .LBB202_29
.LBB202_34:                             ;   in Loop: Header=BB202_30 Depth=4
                                        ; implicit-def: $vgpr0_vgpr1
                                        ; implicit-def: $sgpr28
                                        ; implicit-def: $sgpr26_sgpr27
	s_cbranch_execz .LBB202_29
; %bb.35:                               ;   in Loop: Header=BB202_30 Depth=4
	s_wait_xcnt 0x0
	ds_load_b128 v[0:3], v9
	s_mov_b64 s[26:27], s[18:19]
	s_mov_b32 s28, s18
	s_branch .LBB202_29
.LBB202_36:                             ;   in Loop: Header=BB202_4 Depth=1
	s_mov_b32 s18, 0
.LBB202_37:                             ;   in Loop: Header=BB202_4 Depth=1
	s_delay_alu instid0(SALU_CYCLE_1)
	s_and_b32 vcc_lo, exec_lo, s18
	s_cbranch_vccz .LBB202_2
; %bb.38:                               ;   in Loop: Header=BB202_4 Depth=1
	v_add_nc_u64_e32 v[6:7], s[16:17], v[14:15]
	s_mov_b32 s16, 0
	s_mov_b32 s21, 0
	s_branch .LBB202_40
.LBB202_39:                             ;   in Loop: Header=BB202_40 Depth=2
	s_cmp_lt_i32 s16, s31
	s_cselect_b32 s17, -1, 0
	s_add_co_i32 s18, s21, 1
	s_cmp_lt_u32 s21, 2
	s_mov_b32 s21, s18
	s_cselect_b32 s19, -1, 0
	s_delay_alu instid0(SALU_CYCLE_1) | instskip(NEXT) | instid1(SALU_CYCLE_1)
	s_and_b32 s17, s17, s19
	s_and_not1_b32 vcc_lo, exec_lo, s17
	s_cbranch_vccnz .LBB202_2
.LBB202_40:                             ;   Parent Loop BB202_4 Depth=1
                                        ; =>  This Loop Header: Depth=2
                                        ;       Child Loop BB202_43 Depth 3
                                        ;         Child Loop BB202_44 Depth 4
                                        ;         Child Loop BB202_47 Depth 4
                                        ;           Child Loop BB202_48 Depth 5
                                        ;         Child Loop BB202_52 Depth 4
                                        ;           Child Loop BB202_54 Depth 5
	s_load_b32 s18, s[12:13], s21 offset:0x0 scale_offset
	s_wait_kmcnt 0x0
	s_add_co_i32 s28, s18, -1
	s_delay_alu instid0(SALU_CYCLE_1) | instskip(NEXT) | instid1(SALU_CYCLE_1)
	s_add_co_i32 s17, s28, s16
	s_cmp_ge_i32 s17, s31
	s_cbranch_scc1 .LBB202_39
; %bb.41:                               ;   in Loop: Header=BB202_40 Depth=2
	s_ashr_i32 s17, s16, 31
	s_ashr_i32 s19, s18, 31
	v_lshl_add_u64 v[16:17], s[16:17], 4, v[6:7]
	s_max_i32 s29, s18, 1
	s_lshl_b64 s[26:27], s[18:19], 4
	s_lshl_b32 s17, s16, 4
	s_lshl_b32 s19, s18, 4
	s_mul_i32 s38, s16, 0x50
	s_mul_i32 s39, s18, 0x50
	s_branch .LBB202_43
.LBB202_42:                             ;   in Loop: Header=BB202_43 Depth=3
	v_add_nc_u64_e32 v[16:17], s[26:27], v[16:17]
	s_add_co_i32 s16, s16, s18
	s_add_co_i32 s17, s17, s19
	;; [unrolled: 1-line block ×4, first 2 shown]
	s_cmp_ge_i32 s22, s31
	s_cbranch_scc1 .LBB202_39
.LBB202_43:                             ;   Parent Loop BB202_4 Depth=1
                                        ;     Parent Loop BB202_40 Depth=2
                                        ; =>    This Loop Header: Depth=3
                                        ;         Child Loop BB202_44 Depth 4
                                        ;         Child Loop BB202_47 Depth 4
                                        ;           Child Loop BB202_48 Depth 5
                                        ;         Child Loop BB202_52 Depth 4
                                        ;           Child Loop BB202_54 Depth 5
	s_wait_xcnt 0x0
	v_mov_b64_e32 v[0:1], v[16:17]
	v_mov_b32_e32 v2, v9
	s_mov_b32 s22, s29
.LBB202_44:                             ;   Parent Loop BB202_4 Depth=1
                                        ;     Parent Loop BB202_40 Depth=2
                                        ;       Parent Loop BB202_43 Depth=3
                                        ; =>      This Inner Loop Header: Depth=4
	global_load_b128 v[20:23], v[0:1], off offset:-8
	s_wait_xcnt 0x0
	v_add_nc_u64_e32 v[0:1], 16, v[0:1]
	s_add_co_i32 s22, s22, -1
	s_delay_alu instid0(SALU_CYCLE_1) | instskip(SKIP_3) | instid1(VALU_DEP_2)
	s_cmp_eq_u32 s22, 0
	s_wait_loadcnt 0x0
	v_mul_f64_e32 v[26:27], s[6:7], v[22:23]
	v_mul_f64_e32 v[24:25], s[4:5], v[22:23]
	v_fma_f64 v[22:23], s[4:5], v[20:21], -v[26:27]
	s_delay_alu instid0(VALU_DEP_2)
	v_fmac_f64_e32 v[24:25], s[6:7], v[20:21]
	ds_store_b128 v2, v[22:25]
	v_add_nc_u32_e32 v2, 16, v2
	s_cbranch_scc0 .LBB202_44
; %bb.45:                               ;   in Loop: Header=BB202_43 Depth=3
	s_cmp_lt_i32 s16, 1
	s_cbranch_scc1 .LBB202_50
; %bb.46:                               ;   in Loop: Header=BB202_43 Depth=3
	s_mov_b32 s22, 0
	s_mov_b32 s40, s17
.LBB202_47:                             ;   Parent Loop BB202_4 Depth=1
                                        ;     Parent Loop BB202_40 Depth=2
                                        ;       Parent Loop BB202_43 Depth=3
                                        ; =>      This Loop Header: Depth=4
                                        ;           Child Loop BB202_48 Depth 5
	s_wait_xcnt 0x0
	v_lshl_add_u64 v[0:1], s[22:23], 4, v[4:5]
	v_mov_b32_e32 v19, v9
	s_mov_b32 s41, s40
	s_mov_b32 s42, s29
	global_load_b128 v[0:3], v[0:1], off
.LBB202_48:                             ;   Parent Loop BB202_4 Depth=1
                                        ;     Parent Loop BB202_40 Depth=2
                                        ;       Parent Loop BB202_43 Depth=3
                                        ;         Parent Loop BB202_47 Depth=4
                                        ; =>        This Inner Loop Header: Depth=5
	v_mov_b32_e32 v20, s41
	s_add_co_i32 s42, s42, -1
	s_add_co_i32 s41, s41, 16
	s_cmp_eq_u32 s42, 0
	ds_load_b128 v[20:23], v20
	s_wait_loadcnt_dscnt 0x0
	v_mul_f64_e32 v[24:25], v[2:3], v[22:23]
	v_mul_f64_e32 v[26:27], v[0:1], v[22:23]
	s_delay_alu instid0(VALU_DEP_2) | instskip(NEXT) | instid1(VALU_DEP_2)
	v_fma_f64 v[24:25], v[0:1], v[20:21], -v[24:25]
	v_fmac_f64_e32 v[26:27], v[2:3], v[20:21]
	ds_load_b128 v[20:23], v19
	s_wait_dscnt 0x0
	v_add_f64_e64 v[20:21], v[20:21], -v[24:25]
	v_add_f64_e64 v[22:23], v[22:23], -v[26:27]
	ds_store_b128 v19, v[20:23]
	v_add_nc_u32_e32 v19, 16, v19
	s_cbranch_scc0 .LBB202_48
; %bb.49:                               ;   in Loop: Header=BB202_47 Depth=4
	s_add_co_i32 s22, s22, 1
	s_add_co_i32 s40, s40, 64
	s_cmp_eq_u32 s22, s16
	s_cbranch_scc0 .LBB202_47
.LBB202_50:                             ;   in Loop: Header=BB202_43 Depth=3
	s_mov_b32 s22, 0
	s_mov_b32 s40, s38
	s_branch .LBB202_52
.LBB202_51:                             ;   in Loop: Header=BB202_52 Depth=4
	s_add_co_i32 s42, s22, s16
	s_add_co_i32 s22, s22, 1
	s_mul_i32 s41, s42, 0x50
	s_ashr_i32 s43, s42, 31
	v_mov_b32_e32 v20, s41
	s_add_co_i32 s40, s40, 16
	s_cmp_eq_u32 s22, s29
	ds_load_b128 v[20:23], v20
	s_wait_dscnt 0x0
	s_wait_xcnt 0x0
	v_mul_f64_e32 v[24:25], v[22:23], v[2:3]
	v_mul_f64_e32 v[26:27], v[20:21], v[2:3]
	s_delay_alu instid0(VALU_DEP_2) | instskip(NEXT) | instid1(VALU_DEP_2)
	v_fma_f64 v[24:25], v[20:21], v[0:1], -v[24:25]
	v_fmac_f64_e32 v[26:27], v[22:23], v[0:1]
	s_wait_xcnt 0x0
	v_lshl_add_u64 v[0:1], s[42:43], 4, v[4:5]
	ds_store_b128 v19, v[24:27]
	global_store_b128 v[0:1], v[24:27], off
	s_cbranch_scc1 .LBB202_42
.LBB202_52:                             ;   Parent Loop BB202_4 Depth=1
                                        ;     Parent Loop BB202_40 Depth=2
                                        ;       Parent Loop BB202_43 Depth=3
                                        ; =>      This Loop Header: Depth=4
                                        ;           Child Loop BB202_54 Depth 5
	v_lshl_add_u32 v19, s22, 4, v9
	s_cmp_lg_u32 s22, 0
	s_cbranch_scc0 .LBB202_56
; %bb.53:                               ;   in Loop: Header=BB202_52 Depth=4
	s_wait_xcnt 0x0
	ds_load_b128 v[0:3], v19
	v_mov_b32_e32 v20, v9
	s_mov_b32 s41, s40
	s_mov_b32 s42, s22
.LBB202_54:                             ;   Parent Loop BB202_4 Depth=1
                                        ;     Parent Loop BB202_40 Depth=2
                                        ;       Parent Loop BB202_43 Depth=3
                                        ;         Parent Loop BB202_52 Depth=4
                                        ; =>        This Inner Loop Header: Depth=5
	v_mov_b32_e32 v21, s41
	s_add_co_i32 s42, s42, -1
	s_add_co_i32 s41, s41, 64
	s_cmp_eq_u32 s42, 0
	ds_load_b128 v[22:25], v20
	ds_load_b128 v[26:29], v21
	v_add_nc_u32_e32 v20, 16, v20
	s_wait_dscnt 0x0
	v_mul_f64_e32 v[30:31], v[28:29], v[24:25]
	v_mul_f64_e32 v[24:25], v[26:27], v[24:25]
	s_delay_alu instid0(VALU_DEP_2) | instskip(NEXT) | instid1(VALU_DEP_2)
	v_fma_f64 v[26:27], v[26:27], v[22:23], -v[30:31]
	v_fmac_f64_e32 v[24:25], v[28:29], v[22:23]
	s_delay_alu instid0(VALU_DEP_2) | instskip(NEXT) | instid1(VALU_DEP_2)
	v_add_f64_e64 v[0:1], v[0:1], -v[26:27]
	v_add_f64_e64 v[2:3], v[2:3], -v[24:25]
	ds_store_b128 v19, v[0:3]
	s_cbranch_scc0 .LBB202_54
; %bb.55:                               ;   in Loop: Header=BB202_52 Depth=4
	s_branch .LBB202_51
.LBB202_56:                             ;   in Loop: Header=BB202_52 Depth=4
                                        ; implicit-def: $vgpr0_vgpr1
	s_cbranch_execz .LBB202_51
; %bb.57:                               ;   in Loop: Header=BB202_52 Depth=4
	s_wait_xcnt 0x0
	ds_load_b128 v[0:3], v9
	s_branch .LBB202_51
.LBB202_58:
	s_endpgm
	.section	.rodata,"a",@progbits
	.p2align	6, 0x0
	.amdhsa_kernel _ZL30rocblas_trsm_small_left_deviceILi4ELi4ELb1E19rocblas_complex_numIdES1_PKS1_PS1_Ev13rocblas_fill_18rocblas_operation_17rocblas_diagonal_iiT3_T4_lilT5_lili
		.amdhsa_group_segment_fixed_size 512
		.amdhsa_private_segment_fixed_size 0
		.amdhsa_kernarg_size 368
		.amdhsa_user_sgpr_count 4
		.amdhsa_user_sgpr_dispatch_ptr 1
		.amdhsa_user_sgpr_queue_ptr 0
		.amdhsa_user_sgpr_kernarg_segment_ptr 1
		.amdhsa_user_sgpr_dispatch_id 0
		.amdhsa_user_sgpr_kernarg_preload_length 0
		.amdhsa_user_sgpr_kernarg_preload_offset 0
		.amdhsa_user_sgpr_private_segment_size 0
		.amdhsa_wavefront_size32 1
		.amdhsa_uses_dynamic_stack 0
		.amdhsa_enable_private_segment 0
		.amdhsa_system_sgpr_workgroup_id_x 1
		.amdhsa_system_sgpr_workgroup_id_y 0
		.amdhsa_system_sgpr_workgroup_id_z 1
		.amdhsa_system_sgpr_workgroup_info 0
		.amdhsa_system_vgpr_workitem_id 2
		.amdhsa_next_free_vgpr 32
		.amdhsa_next_free_sgpr 46
		.amdhsa_named_barrier_count 0
		.amdhsa_reserve_vcc 1
		.amdhsa_float_round_mode_32 0
		.amdhsa_float_round_mode_16_64 0
		.amdhsa_float_denorm_mode_32 3
		.amdhsa_float_denorm_mode_16_64 3
		.amdhsa_fp16_overflow 0
		.amdhsa_memory_ordered 1
		.amdhsa_forward_progress 1
		.amdhsa_inst_pref_size 21
		.amdhsa_round_robin_scheduling 0
		.amdhsa_exception_fp_ieee_invalid_op 0
		.amdhsa_exception_fp_denorm_src 0
		.amdhsa_exception_fp_ieee_div_zero 0
		.amdhsa_exception_fp_ieee_overflow 0
		.amdhsa_exception_fp_ieee_underflow 0
		.amdhsa_exception_fp_ieee_inexact 0
		.amdhsa_exception_int_div_zero 0
	.end_amdhsa_kernel
	.section	.text._ZL30rocblas_trsm_small_left_deviceILi4ELi4ELb1E19rocblas_complex_numIdES1_PKS1_PS1_Ev13rocblas_fill_18rocblas_operation_17rocblas_diagonal_iiT3_T4_lilT5_lili,"axG",@progbits,_ZL30rocblas_trsm_small_left_deviceILi4ELi4ELb1E19rocblas_complex_numIdES1_PKS1_PS1_Ev13rocblas_fill_18rocblas_operation_17rocblas_diagonal_iiT3_T4_lilT5_lili,comdat
.Lfunc_end202:
	.size	_ZL30rocblas_trsm_small_left_deviceILi4ELi4ELb1E19rocblas_complex_numIdES1_PKS1_PS1_Ev13rocblas_fill_18rocblas_operation_17rocblas_diagonal_iiT3_T4_lilT5_lili, .Lfunc_end202-_ZL30rocblas_trsm_small_left_deviceILi4ELi4ELb1E19rocblas_complex_numIdES1_PKS1_PS1_Ev13rocblas_fill_18rocblas_operation_17rocblas_diagonal_iiT3_T4_lilT5_lili
                                        ; -- End function
	.set _ZL30rocblas_trsm_small_left_deviceILi4ELi4ELb1E19rocblas_complex_numIdES1_PKS1_PS1_Ev13rocblas_fill_18rocblas_operation_17rocblas_diagonal_iiT3_T4_lilT5_lili.num_vgpr, 32
	.set _ZL30rocblas_trsm_small_left_deviceILi4ELi4ELb1E19rocblas_complex_numIdES1_PKS1_PS1_Ev13rocblas_fill_18rocblas_operation_17rocblas_diagonal_iiT3_T4_lilT5_lili.num_agpr, 0
	.set _ZL30rocblas_trsm_small_left_deviceILi4ELi4ELb1E19rocblas_complex_numIdES1_PKS1_PS1_Ev13rocblas_fill_18rocblas_operation_17rocblas_diagonal_iiT3_T4_lilT5_lili.numbered_sgpr, 46
	.set _ZL30rocblas_trsm_small_left_deviceILi4ELi4ELb1E19rocblas_complex_numIdES1_PKS1_PS1_Ev13rocblas_fill_18rocblas_operation_17rocblas_diagonal_iiT3_T4_lilT5_lili.num_named_barrier, 0
	.set _ZL30rocblas_trsm_small_left_deviceILi4ELi4ELb1E19rocblas_complex_numIdES1_PKS1_PS1_Ev13rocblas_fill_18rocblas_operation_17rocblas_diagonal_iiT3_T4_lilT5_lili.private_seg_size, 0
	.set _ZL30rocblas_trsm_small_left_deviceILi4ELi4ELb1E19rocblas_complex_numIdES1_PKS1_PS1_Ev13rocblas_fill_18rocblas_operation_17rocblas_diagonal_iiT3_T4_lilT5_lili.uses_vcc, 1
	.set _ZL30rocblas_trsm_small_left_deviceILi4ELi4ELb1E19rocblas_complex_numIdES1_PKS1_PS1_Ev13rocblas_fill_18rocblas_operation_17rocblas_diagonal_iiT3_T4_lilT5_lili.uses_flat_scratch, 0
	.set _ZL30rocblas_trsm_small_left_deviceILi4ELi4ELb1E19rocblas_complex_numIdES1_PKS1_PS1_Ev13rocblas_fill_18rocblas_operation_17rocblas_diagonal_iiT3_T4_lilT5_lili.has_dyn_sized_stack, 0
	.set _ZL30rocblas_trsm_small_left_deviceILi4ELi4ELb1E19rocblas_complex_numIdES1_PKS1_PS1_Ev13rocblas_fill_18rocblas_operation_17rocblas_diagonal_iiT3_T4_lilT5_lili.has_recursion, 0
	.set _ZL30rocblas_trsm_small_left_deviceILi4ELi4ELb1E19rocblas_complex_numIdES1_PKS1_PS1_Ev13rocblas_fill_18rocblas_operation_17rocblas_diagonal_iiT3_T4_lilT5_lili.has_indirect_call, 0
	.section	.AMDGPU.csdata,"",@progbits
; Kernel info:
; codeLenInByte = 2628
; TotalNumSgprs: 48
; NumVgprs: 32
; ScratchSize: 0
; MemoryBound: 0
; FloatMode: 240
; IeeeMode: 1
; LDSByteSize: 512 bytes/workgroup (compile time only)
; SGPRBlocks: 0
; VGPRBlocks: 1
; NumSGPRsForWavesPerEU: 48
; NumVGPRsForWavesPerEU: 32
; NamedBarCnt: 0
; Occupancy: 16
; WaveLimiterHint : 0
; COMPUTE_PGM_RSRC2:SCRATCH_EN: 0
; COMPUTE_PGM_RSRC2:USER_SGPR: 4
; COMPUTE_PGM_RSRC2:TRAP_HANDLER: 0
; COMPUTE_PGM_RSRC2:TGID_X_EN: 1
; COMPUTE_PGM_RSRC2:TGID_Y_EN: 0
; COMPUTE_PGM_RSRC2:TGID_Z_EN: 1
; COMPUTE_PGM_RSRC2:TIDIG_COMP_CNT: 2
	.section	.text._ZL31rocblas_trsm_small_right_deviceI19rocblas_complex_numIdES1_PKS1_PS1_Li4EEv13rocblas_fill_18rocblas_operation_17rocblas_diagonal_iiT0_T1_lilT2_lili,"axG",@progbits,_ZL31rocblas_trsm_small_right_deviceI19rocblas_complex_numIdES1_PKS1_PS1_Li4EEv13rocblas_fill_18rocblas_operation_17rocblas_diagonal_iiT0_T1_lilT2_lili,comdat
	.globl	_ZL31rocblas_trsm_small_right_deviceI19rocblas_complex_numIdES1_PKS1_PS1_Li4EEv13rocblas_fill_18rocblas_operation_17rocblas_diagonal_iiT0_T1_lilT2_lili ; -- Begin function _ZL31rocblas_trsm_small_right_deviceI19rocblas_complex_numIdES1_PKS1_PS1_Li4EEv13rocblas_fill_18rocblas_operation_17rocblas_diagonal_iiT0_T1_lilT2_lili
	.p2align	8
	.type	_ZL31rocblas_trsm_small_right_deviceI19rocblas_complex_numIdES1_PKS1_PS1_Li4EEv13rocblas_fill_18rocblas_operation_17rocblas_diagonal_iiT0_T1_lilT2_lili,@function
_ZL31rocblas_trsm_small_right_deviceI19rocblas_complex_numIdES1_PKS1_PS1_Li4EEv13rocblas_fill_18rocblas_operation_17rocblas_diagonal_iiT0_T1_lilT2_lili: ; @_ZL31rocblas_trsm_small_right_deviceI19rocblas_complex_numIdES1_PKS1_PS1_Li4EEv13rocblas_fill_18rocblas_operation_17rocblas_diagonal_iiT0_T1_lilT2_lili
; %bb.0:
	s_load_b32 s3, s[0:1], 0x68
	s_bfe_u32 s2, ttmp6, 0x40014
	s_lshr_b32 s5, ttmp7, 16
	s_add_co_i32 s2, s2, 1
	s_bfe_u32 s6, ttmp6, 0x40008
	s_mul_i32 s2, s5, s2
	s_getreg_b32 s4, hwreg(HW_REG_IB_STS2, 6, 4)
	s_add_co_i32 s6, s6, s2
	s_cmp_eq_u32 s4, 0
	s_mov_b32 s25, 0
	s_cselect_b32 s24, s5, s6
	s_wait_kmcnt 0x0
	s_cmp_ge_u32 s24, s3
	s_cbranch_scc1 .LBB203_131
; %bb.1:
	s_clause 0x6
	s_load_b32 s26, s[0:1], 0x38
	s_load_b96 s[20:22], s[0:1], 0x50
	s_load_b128 s[16:19], s[0:1], 0x0
	s_load_b32 s33, s[0:1], 0x10
	s_load_b32 s5, s[0:1], 0x70
	s_load_b64 s[28:29], s[0:1], 0x60
	s_load_b128 s[12:15], s[0:1], 0x40
	v_dual_lshlrev_b32 v26, 4, v0 :: v_dual_lshlrev_b32 v1, 6, v0
	s_delay_alu instid0(VALU_DEP_1) | instskip(NEXT) | instid1(VALU_DEP_2)
	v_or_b32_e32 v34, 0x100, v26
	v_dual_mov_b32 v1, 0x3ff00000 :: v_dual_add_nc_u32 v40, v26, v1
	s_wait_kmcnt 0x0
	s_ashr_i32 s27, s26, 31
	s_ashr_i32 s23, s22, 31
	s_cmp_lg_u32 s16, 0x7a
	s_cselect_b32 s36, -1, 0
	s_cmp_eq_u32 s17, 0x71
	s_cselect_b32 s2, -1, 0
	s_bfe_u32 s6, ttmp6, 0x4000c
	s_min_i32 s34, s33, 4
	s_add_co_i32 s6, s6, 1
	s_add_co_i32 s31, s5, -1
	s_and_b32 s5, ttmp6, 15
	s_mul_i32 s6, ttmp9, s6
	s_add_co_i32 s35, s34, -1
	s_add_co_i32 s5, s5, s6
	s_cmp_eq_u32 s4, 0
	s_cselect_b32 s30, ttmp9, s5
	s_load_b256 s[4:11], s[0:1], 0x18
	s_lshl_b32 s37, s30, 2
	s_wait_xcnt 0x0
	s_sub_co_i32 s0, s19, s37
	s_cmp_ge_u32 s30, s31
	s_cselect_b32 s19, s0, 4
	s_ashr_i32 s31, s30, 31
	v_cmp_gt_i32_e32 vcc_lo, s19, v0
	s_lshl_b64 s[30:31], s[30:31], 6
	s_cmp_eq_u32 s18, 0x84
	v_cmp_gt_i32_e64 s0, s34, v0
	s_cselect_b32 s1, -1, 0
	s_cmp_gt_i32 s33, 0
	v_mov_b32_e32 v0, 0
	s_cselect_b32 s38, -1, 0
	s_cmp_lg_u32 s17, 0x6f
	s_cselect_b32 s17, -1, 0
	s_cmp_lg_u32 s16, 0x79
	v_mov_b32_e32 v27, v0
	s_cselect_b32 s16, -1, 0
	s_or_b32 s18, s36, s17
	s_or_b32 s19, s16, s17
	s_cmp_gt_i32 s33, 3
	v_cndmask_b32_e64 v35, 0, 1, s16
	s_cselect_b32 s37, -1, 0
	s_add_co_i32 s43, s34, -3
	s_lshl_b32 s16, s35, 6
	s_lshl_b32 s40, s43, 6
	s_add_co_i32 s17, s34, -2
	v_add_nc_u32_e32 v38, s40, v34
	s_add_co_i32 s57, s34, -4
	s_lshl_b32 s39, s17, 6
	s_delay_alu instid0(SALU_CYCLE_1)
	v_dual_add_nc_u32 v36, s16, v34 :: v_dual_add_nc_u32 v37, s39, v34
	s_lshl_b32 s16, s57, 6
	s_wait_kmcnt 0x0
	s_lshl_b64 s[10:11], s[10:11], 4
	v_add_nc_u32_e32 v39, s16, v34
	s_add_nc_u64 s[8:9], s[8:9], s[10:11]
	s_lshl_b64 s[10:11], s[20:21], 4
	v_add_nc_u64_e32 v[2:3], s[8:9], v[26:27]
	s_add_nc_u64 s[8:9], s[30:31], s[10:11]
	s_lshl_b32 s31, s34, 6
	s_add_nc_u64 s[8:9], s[14:15], s[8:9]
	s_mul_i32 s36, s35, 0x50
	v_add_nc_u64_e32 v[28:29], s[8:9], v[26:27]
	s_lshl_b32 s41, s35, 4
	v_add_nc_u64_e32 v[30:31], 8, v[2:3]
	v_or_b32_e32 v2, s31, v26
	s_sub_co_i32 s45, s36, s41
	s_lshl_b32 s41, s17, 4
	s_add_co_i32 s44, s36, 0xffffffb0
	v_add_nc_u64_e32 v[32:33], 8, v[28:29]
	s_lshl_b32 s43, s43, 4
	s_sub_co_i32 s47, s44, s41
	s_lshl_b32 s17, s34, 4
	v_add_nc_u32_e32 v27, 0xc0, v2
	s_add_co_i32 s46, s47, s43
	s_add_co_i32 s47, s47, s17
	s_lshl_b32 s30, s57, 4
	s_and_b32 s38, vcc_lo, s38
	s_add_co_i32 s42, s45, s41
	s_add_co_i32 s45, s45, s43
	;; [unrolled: 1-line block ×3, first 2 shown]
	s_sub_co_i32 s49, s47, 64
	s_add_co_i32 s50, s47, 0xffffff80
	s_add_co_i32 s51, s36, 0xffffff10
	s_add_co_i32 s52, s34, -5
	s_add_co_i32 s53, s47, -16
	s_add_co_i32 s54, s47, 0xffffffb0
	s_add_co_i32 s55, s47, 0xffffffa0
	;; [unrolled: 1-line block ×5, first 2 shown]
	s_lshl_b64 s[8:9], s[12:13], 4
	s_lshl_b64 s[10:11], s[26:27], 4
	s_lshl_b64 s[12:13], s[28:29], 4
	s_lshl_b64 s[14:15], s[22:23], 4
	s_sub_co_i32 s22, s31, 64
	s_add_co_i32 s23, s17, -16
	s_add_co_i32 s26, s16, s30
	s_branch .LBB203_3
.LBB203_2:                              ;   in Loop: Header=BB203_3 Depth=1
	s_or_b32 exec_lo, exec_lo, s27
	s_add_co_i32 s24, s24, 0x10000
	s_delay_alu instid0(SALU_CYCLE_1)
	s_cmp_lt_u32 s24, s3
	s_cbranch_scc0 .LBB203_131
.LBB203_3:                              ; =>This Loop Header: Depth=1
                                        ;     Child Loop BB203_5 Depth 2
                                        ;     Child Loop BB203_10 Depth 2
	;; [unrolled: 1-line block ×3, first 2 shown]
                                        ;       Child Loop BB203_36 Depth 3
                                        ;     Child Loop BB203_64 Depth 2
                                        ;       Child Loop BB203_65 Depth 3
                                        ;     Child Loop BB203_93 Depth 2
	;; [unrolled: 2-line block ×4, first 2 shown]
	s_and_saveexec_b32 s16, s0
	s_cbranch_execz .LBB203_8
; %bb.4:                                ;   in Loop: Header=BB203_3 Depth=1
	v_mad_nc_u64_u32 v[2:3], s8, s24, v[30:31]
	v_mov_b32_e32 v4, v26
	s_mov_b32 s17, s34
	s_delay_alu instid0(VALU_DEP_2)
	v_mad_u32 v3, s9, s24, v3
.LBB203_5:                              ;   Parent Loop BB203_3 Depth=1
                                        ; =>  This Inner Loop Header: Depth=2
	global_load_b128 v[6:9], v[2:3], off offset:-8
	s_wait_xcnt 0x0
	v_add_nc_u64_e32 v[2:3], s[10:11], v[2:3]
	s_add_co_i32 s17, s17, -1
	s_delay_alu instid0(SALU_CYCLE_1) | instskip(SKIP_2) | instid1(VALU_DEP_1)
	s_cmp_eq_u32 s17, 0
	s_wait_loadcnt 0x0
	v_xor_b32_e32 v5, 0x80000000, v9
	v_cndmask_b32_e64 v9, v9, v5, s2
	ds_store_b128 v4, v[6:9]
	v_add_nc_u32_e32 v4, 64, v4
	s_cbranch_scc0 .LBB203_5
; %bb.6:                                ;   in Loop: Header=BB203_3 Depth=1
	s_and_b32 vcc_lo, exec_lo, s1
	s_cbranch_vccz .LBB203_8
; %bb.7:                                ;   in Loop: Header=BB203_3 Depth=1
	v_dual_mov_b32 v2, v0 :: v_dual_mov_b32 v3, v0
	ds_store_b128 v40, v[0:3]
.LBB203_8:                              ;   in Loop: Header=BB203_3 Depth=1
	s_or_b32 exec_lo, exec_lo, s16
	s_mul_u64 s[16:17], s[12:13], s[24:25]
	s_and_saveexec_b32 s27, s38
	s_cbranch_execz .LBB203_11
; %bb.9:                                ;   in Loop: Header=BB203_3 Depth=1
	v_add_nc_u64_e32 v[2:3], s[16:17], v[32:33]
	v_mov_b32_e32 v4, v34
	s_mov_b32 s28, s33
.LBB203_10:                             ;   Parent Loop BB203_3 Depth=1
                                        ; =>  This Inner Loop Header: Depth=2
	global_load_b128 v[6:9], v[2:3], off offset:-8
	s_wait_xcnt 0x0
	v_add_nc_u64_e32 v[2:3], s[14:15], v[2:3]
	s_add_co_i32 s28, s28, -1
	s_delay_alu instid0(SALU_CYCLE_1) | instskip(SKIP_3) | instid1(VALU_DEP_2)
	s_cmp_lg_u32 s28, 0
	s_wait_loadcnt 0x0
	v_mul_f64_e32 v[12:13], s[6:7], v[8:9]
	v_mul_f64_e32 v[10:11], s[4:5], v[8:9]
	v_fma_f64 v[8:9], s[4:5], v[6:7], -v[12:13]
	s_delay_alu instid0(VALU_DEP_2)
	v_fmac_f64_e32 v[10:11], s[6:7], v[6:7]
	ds_store_b128 v4, v[8:11]
	v_add_nc_u32_e32 v4, 64, v4
	s_cbranch_scc1 .LBB203_10
.LBB203_11:                             ;   in Loop: Header=BB203_3 Depth=1
	s_or_b32 exec_lo, exec_lo, s27
	s_delay_alu instid0(SALU_CYCLE_1)
	s_and_b32 vcc_lo, exec_lo, s19
	s_mov_b32 s27, -1
	s_wait_dscnt 0x0
	; wave barrier
	s_cbranch_vccz .LBB203_100
; %bb.12:                               ;   in Loop: Header=BB203_3 Depth=1
	s_and_b32 vcc_lo, exec_lo, s18
	s_cbranch_vccz .LBB203_71
; %bb.13:                               ;   in Loop: Header=BB203_3 Depth=1
	v_cmp_ne_u32_e32 vcc_lo, 1, v35
	s_cbranch_vccnz .LBB203_42
; %bb.14:                               ;   in Loop: Header=BB203_3 Depth=1
	s_and_not1_b32 vcc_lo, exec_lo, s37
	s_mov_b32 s27, 0
	s_cbranch_vccnz .LBB203_32
; %bb.15:                               ;   in Loop: Header=BB203_3 Depth=1
	ds_load_b128 v[18:21], v0
	ds_load_b128 v[22:25], v34
	ds_load_b128 v[14:17], v34 offset:64
	ds_load_b128 v[10:13], v34 offset:128
	;; [unrolled: 1-line block ×3, first 2 shown]
                                        ; implicit-def: $vgpr8_vgpr9
	s_wait_dscnt 0x4
	v_cmp_ngt_f64_e64 s27, |v[18:19]|, |v[20:21]|
	s_and_b32 vcc_lo, exec_lo, s27
	s_mov_b32 s27, -1
	s_cbranch_vccz .LBB203_17
; %bb.16:                               ;   in Loop: Header=BB203_3 Depth=1
	v_div_scale_f64 v[6:7], null, v[20:21], v[20:21], v[18:19]
	v_div_scale_f64 v[44:45], vcc_lo, v[18:19], v[20:21], v[18:19]
	s_mov_b32 s27, 0
	v_rcp_f64_e32 v[8:9], v[6:7]
	v_nop
	s_delay_alu instid0(TRANS32_DEP_1) | instskip(NEXT) | instid1(VALU_DEP_1)
	v_fma_f64 v[42:43], -v[6:7], v[8:9], 1.0
	v_fmac_f64_e32 v[8:9], v[8:9], v[42:43]
	s_delay_alu instid0(VALU_DEP_1) | instskip(NEXT) | instid1(VALU_DEP_1)
	v_fma_f64 v[42:43], -v[6:7], v[8:9], 1.0
	v_fmac_f64_e32 v[8:9], v[8:9], v[42:43]
	s_delay_alu instid0(VALU_DEP_1) | instskip(NEXT) | instid1(VALU_DEP_1)
	v_mul_f64_e32 v[42:43], v[44:45], v[8:9]
	v_fma_f64 v[6:7], -v[6:7], v[42:43], v[44:45]
	s_delay_alu instid0(VALU_DEP_1) | instskip(NEXT) | instid1(VALU_DEP_1)
	v_div_fmas_f64 v[6:7], v[6:7], v[8:9], v[42:43]
	v_div_fixup_f64 v[6:7], v[6:7], v[20:21], v[18:19]
	s_delay_alu instid0(VALU_DEP_1) | instskip(NEXT) | instid1(VALU_DEP_1)
	v_fma_f64 v[8:9], v[18:19], v[6:7], v[20:21]
	v_div_scale_f64 v[42:43], null, v[8:9], v[8:9], 1.0
	v_div_scale_f64 v[48:49], vcc_lo, 1.0, v[8:9], 1.0
	s_delay_alu instid0(VALU_DEP_2) | instskip(SKIP_1) | instid1(TRANS32_DEP_1)
	v_rcp_f64_e32 v[44:45], v[42:43]
	v_nop
	v_fma_f64 v[46:47], -v[42:43], v[44:45], 1.0
	s_delay_alu instid0(VALU_DEP_1) | instskip(NEXT) | instid1(VALU_DEP_1)
	v_fmac_f64_e32 v[44:45], v[44:45], v[46:47]
	v_fma_f64 v[46:47], -v[42:43], v[44:45], 1.0
	s_delay_alu instid0(VALU_DEP_1) | instskip(NEXT) | instid1(VALU_DEP_1)
	v_fmac_f64_e32 v[44:45], v[44:45], v[46:47]
	v_mul_f64_e32 v[46:47], v[48:49], v[44:45]
	s_delay_alu instid0(VALU_DEP_1) | instskip(NEXT) | instid1(VALU_DEP_1)
	v_fma_f64 v[42:43], -v[42:43], v[46:47], v[48:49]
	v_div_fmas_f64 v[42:43], v[42:43], v[44:45], v[46:47]
	s_wait_dscnt 0x3
	v_fma_f64 v[44:45], v[22:23], v[6:7], v[24:25]
	s_delay_alu instid0(VALU_DEP_2) | instskip(SKIP_1) | instid1(VALU_DEP_2)
	v_div_fixup_f64 v[8:9], v[42:43], v[8:9], 1.0
	v_fma_f64 v[42:43], v[24:25], v[6:7], -v[22:23]
	v_mul_f64_e32 v[6:7], v[44:45], v[8:9]
	s_delay_alu instid0(VALU_DEP_2)
	v_mul_f64_e32 v[8:9], v[42:43], v[8:9]
.LBB203_17:                             ;   in Loop: Header=BB203_3 Depth=1
	s_and_not1_b32 vcc_lo, exec_lo, s27
	s_cbranch_vccnz .LBB203_19
; %bb.18:                               ;   in Loop: Header=BB203_3 Depth=1
	v_div_scale_f64 v[6:7], null, v[18:19], v[18:19], v[20:21]
	v_div_scale_f64 v[44:45], vcc_lo, v[20:21], v[18:19], v[20:21]
	s_delay_alu instid0(VALU_DEP_2) | instskip(SKIP_1) | instid1(TRANS32_DEP_1)
	v_rcp_f64_e32 v[8:9], v[6:7]
	v_nop
	v_fma_f64 v[42:43], -v[6:7], v[8:9], 1.0
	s_delay_alu instid0(VALU_DEP_1) | instskip(NEXT) | instid1(VALU_DEP_1)
	v_fmac_f64_e32 v[8:9], v[8:9], v[42:43]
	v_fma_f64 v[42:43], -v[6:7], v[8:9], 1.0
	s_delay_alu instid0(VALU_DEP_1) | instskip(NEXT) | instid1(VALU_DEP_1)
	v_fmac_f64_e32 v[8:9], v[8:9], v[42:43]
	v_mul_f64_e32 v[42:43], v[44:45], v[8:9]
	s_delay_alu instid0(VALU_DEP_1) | instskip(NEXT) | instid1(VALU_DEP_1)
	v_fma_f64 v[6:7], -v[6:7], v[42:43], v[44:45]
	v_div_fmas_f64 v[6:7], v[6:7], v[8:9], v[42:43]
	s_delay_alu instid0(VALU_DEP_1) | instskip(NEXT) | instid1(VALU_DEP_1)
	v_div_fixup_f64 v[6:7], v[6:7], v[18:19], v[20:21]
	v_fmac_f64_e32 v[18:19], v[20:21], v[6:7]
	s_delay_alu instid0(VALU_DEP_1) | instskip(SKIP_1) | instid1(VALU_DEP_2)
	v_div_scale_f64 v[8:9], null, v[18:19], v[18:19], 1.0
	v_div_scale_f64 v[44:45], vcc_lo, 1.0, v[18:19], 1.0
	v_rcp_f64_e32 v[20:21], v[8:9]
	v_nop
	s_delay_alu instid0(TRANS32_DEP_1) | instskip(NEXT) | instid1(VALU_DEP_1)
	v_fma_f64 v[42:43], -v[8:9], v[20:21], 1.0
	v_fmac_f64_e32 v[20:21], v[20:21], v[42:43]
	s_delay_alu instid0(VALU_DEP_1) | instskip(NEXT) | instid1(VALU_DEP_1)
	v_fma_f64 v[42:43], -v[8:9], v[20:21], 1.0
	v_fmac_f64_e32 v[20:21], v[20:21], v[42:43]
	s_delay_alu instid0(VALU_DEP_1) | instskip(NEXT) | instid1(VALU_DEP_1)
	v_mul_f64_e32 v[42:43], v[44:45], v[20:21]
	v_fma_f64 v[8:9], -v[8:9], v[42:43], v[44:45]
	s_delay_alu instid0(VALU_DEP_1) | instskip(SKIP_2) | instid1(VALU_DEP_2)
	v_div_fmas_f64 v[8:9], v[8:9], v[20:21], v[42:43]
	s_wait_dscnt 0x3
	v_fma_f64 v[20:21], v[24:25], v[6:7], v[22:23]
	v_div_fixup_f64 v[8:9], v[8:9], v[18:19], 1.0
	v_fma_f64 v[18:19], -v[22:23], v[6:7], v[24:25]
	s_delay_alu instid0(VALU_DEP_2) | instskip(NEXT) | instid1(VALU_DEP_2)
	v_mul_f64_e32 v[6:7], v[20:21], v[8:9]
	v_mul_f64_e32 v[8:9], v[18:19], v[8:9]
.LBB203_19:                             ;   in Loop: Header=BB203_3 Depth=1
	s_wait_dscnt 0x3
	ds_load_b128 v[22:25], v0 offset:16
	ds_load_b128 v[18:21], v0 offset:80
	ds_store_b128 v34, v[6:9]
	s_wait_dscnt 0x2
	v_mul_f64_e32 v[42:43], v[8:9], v[24:25]
	v_mul_f64_e32 v[24:25], v[6:7], v[24:25]
	s_wait_dscnt 0x1
	v_cmp_ngt_f64_e64 s27, |v[18:19]|, |v[20:21]|
	s_delay_alu instid0(VALU_DEP_3) | instskip(NEXT) | instid1(VALU_DEP_3)
	v_fma_f64 v[42:43], v[6:7], v[22:23], -v[42:43]
	v_fmac_f64_e32 v[24:25], v[8:9], v[22:23]
	s_and_b32 vcc_lo, exec_lo, s27
	s_mov_b32 s27, -1
	s_delay_alu instid0(VALU_DEP_2) | instskip(NEXT) | instid1(VALU_DEP_2)
	v_add_f64_e64 v[22:23], v[14:15], -v[42:43]
	v_add_f64_e64 v[24:25], v[16:17], -v[24:25]
                                        ; implicit-def: $vgpr16_vgpr17
	s_cbranch_vccz .LBB203_21
; %bb.20:                               ;   in Loop: Header=BB203_3 Depth=1
	v_div_scale_f64 v[14:15], null, v[20:21], v[20:21], v[18:19]
	v_div_scale_f64 v[44:45], vcc_lo, v[18:19], v[20:21], v[18:19]
	s_mov_b32 s27, 0
	v_rcp_f64_e32 v[16:17], v[14:15]
	v_nop
	s_delay_alu instid0(TRANS32_DEP_1) | instskip(NEXT) | instid1(VALU_DEP_1)
	v_fma_f64 v[42:43], -v[14:15], v[16:17], 1.0
	v_fmac_f64_e32 v[16:17], v[16:17], v[42:43]
	s_delay_alu instid0(VALU_DEP_1) | instskip(NEXT) | instid1(VALU_DEP_1)
	v_fma_f64 v[42:43], -v[14:15], v[16:17], 1.0
	v_fmac_f64_e32 v[16:17], v[16:17], v[42:43]
	s_delay_alu instid0(VALU_DEP_1) | instskip(NEXT) | instid1(VALU_DEP_1)
	v_mul_f64_e32 v[42:43], v[44:45], v[16:17]
	v_fma_f64 v[14:15], -v[14:15], v[42:43], v[44:45]
	s_delay_alu instid0(VALU_DEP_1) | instskip(NEXT) | instid1(VALU_DEP_1)
	v_div_fmas_f64 v[14:15], v[14:15], v[16:17], v[42:43]
	v_div_fixup_f64 v[14:15], v[14:15], v[20:21], v[18:19]
	s_delay_alu instid0(VALU_DEP_1) | instskip(NEXT) | instid1(VALU_DEP_1)
	v_fma_f64 v[16:17], v[18:19], v[14:15], v[20:21]
	v_div_scale_f64 v[42:43], null, v[16:17], v[16:17], 1.0
	v_div_scale_f64 v[48:49], vcc_lo, 1.0, v[16:17], 1.0
	s_delay_alu instid0(VALU_DEP_2) | instskip(SKIP_1) | instid1(TRANS32_DEP_1)
	v_rcp_f64_e32 v[44:45], v[42:43]
	v_nop
	v_fma_f64 v[46:47], -v[42:43], v[44:45], 1.0
	s_delay_alu instid0(VALU_DEP_1) | instskip(NEXT) | instid1(VALU_DEP_1)
	v_fmac_f64_e32 v[44:45], v[44:45], v[46:47]
	v_fma_f64 v[46:47], -v[42:43], v[44:45], 1.0
	s_delay_alu instid0(VALU_DEP_1) | instskip(NEXT) | instid1(VALU_DEP_1)
	v_fmac_f64_e32 v[44:45], v[44:45], v[46:47]
	v_mul_f64_e32 v[46:47], v[48:49], v[44:45]
	s_delay_alu instid0(VALU_DEP_1) | instskip(NEXT) | instid1(VALU_DEP_1)
	v_fma_f64 v[42:43], -v[42:43], v[46:47], v[48:49]
	v_div_fmas_f64 v[42:43], v[42:43], v[44:45], v[46:47]
	v_fma_f64 v[44:45], v[14:15], v[22:23], v[24:25]
	s_delay_alu instid0(VALU_DEP_2) | instskip(SKIP_1) | instid1(VALU_DEP_2)
	v_div_fixup_f64 v[16:17], v[42:43], v[16:17], 1.0
	v_fma_f64 v[42:43], v[14:15], v[24:25], -v[22:23]
	v_mul_f64_e32 v[14:15], v[44:45], v[16:17]
	s_delay_alu instid0(VALU_DEP_2)
	v_mul_f64_e32 v[16:17], v[42:43], v[16:17]
.LBB203_21:                             ;   in Loop: Header=BB203_3 Depth=1
	s_and_not1_b32 vcc_lo, exec_lo, s27
	s_cbranch_vccnz .LBB203_23
; %bb.22:                               ;   in Loop: Header=BB203_3 Depth=1
	v_div_scale_f64 v[14:15], null, v[18:19], v[18:19], v[20:21]
	v_div_scale_f64 v[44:45], vcc_lo, v[20:21], v[18:19], v[20:21]
	s_delay_alu instid0(VALU_DEP_2) | instskip(SKIP_1) | instid1(TRANS32_DEP_1)
	v_rcp_f64_e32 v[16:17], v[14:15]
	v_nop
	v_fma_f64 v[42:43], -v[14:15], v[16:17], 1.0
	s_delay_alu instid0(VALU_DEP_1) | instskip(NEXT) | instid1(VALU_DEP_1)
	v_fmac_f64_e32 v[16:17], v[16:17], v[42:43]
	v_fma_f64 v[42:43], -v[14:15], v[16:17], 1.0
	s_delay_alu instid0(VALU_DEP_1) | instskip(NEXT) | instid1(VALU_DEP_1)
	v_fmac_f64_e32 v[16:17], v[16:17], v[42:43]
	v_mul_f64_e32 v[42:43], v[44:45], v[16:17]
	s_delay_alu instid0(VALU_DEP_1) | instskip(NEXT) | instid1(VALU_DEP_1)
	v_fma_f64 v[14:15], -v[14:15], v[42:43], v[44:45]
	v_div_fmas_f64 v[14:15], v[14:15], v[16:17], v[42:43]
	s_delay_alu instid0(VALU_DEP_1) | instskip(NEXT) | instid1(VALU_DEP_1)
	v_div_fixup_f64 v[14:15], v[14:15], v[18:19], v[20:21]
	v_fmac_f64_e32 v[18:19], v[20:21], v[14:15]
	s_delay_alu instid0(VALU_DEP_1) | instskip(SKIP_1) | instid1(VALU_DEP_2)
	v_div_scale_f64 v[16:17], null, v[18:19], v[18:19], 1.0
	v_div_scale_f64 v[44:45], vcc_lo, 1.0, v[18:19], 1.0
	v_rcp_f64_e32 v[20:21], v[16:17]
	v_nop
	s_delay_alu instid0(TRANS32_DEP_1) | instskip(NEXT) | instid1(VALU_DEP_1)
	v_fma_f64 v[42:43], -v[16:17], v[20:21], 1.0
	v_fmac_f64_e32 v[20:21], v[20:21], v[42:43]
	s_delay_alu instid0(VALU_DEP_1) | instskip(NEXT) | instid1(VALU_DEP_1)
	v_fma_f64 v[42:43], -v[16:17], v[20:21], 1.0
	v_fmac_f64_e32 v[20:21], v[20:21], v[42:43]
	s_delay_alu instid0(VALU_DEP_1) | instskip(NEXT) | instid1(VALU_DEP_1)
	v_mul_f64_e32 v[42:43], v[44:45], v[20:21]
	v_fma_f64 v[16:17], -v[16:17], v[42:43], v[44:45]
	s_delay_alu instid0(VALU_DEP_1) | instskip(SKIP_1) | instid1(VALU_DEP_2)
	v_div_fmas_f64 v[16:17], v[16:17], v[20:21], v[42:43]
	v_fma_f64 v[20:21], v[14:15], v[24:25], v[22:23]
	v_div_fixup_f64 v[16:17], v[16:17], v[18:19], 1.0
	v_fma_f64 v[18:19], -v[14:15], v[22:23], v[24:25]
	s_delay_alu instid0(VALU_DEP_2) | instskip(NEXT) | instid1(VALU_DEP_2)
	v_mul_f64_e32 v[14:15], v[20:21], v[16:17]
	v_mul_f64_e32 v[16:17], v[18:19], v[16:17]
.LBB203_23:                             ;   in Loop: Header=BB203_3 Depth=1
	ds_load_b128 v[18:21], v0 offset:32
	ds_load_b128 v[22:25], v0 offset:96
	ds_store_b128 v34, v[14:17] offset:64
	s_wait_dscnt 0x2
	v_mul_f64_e32 v[42:43], v[8:9], v[20:21]
	v_mul_f64_e32 v[20:21], v[6:7], v[20:21]
	s_wait_dscnt 0x1
	v_mul_f64_e32 v[44:45], v[16:17], v[24:25]
	v_mul_f64_e32 v[24:25], v[14:15], v[24:25]
	s_delay_alu instid0(VALU_DEP_4) | instskip(NEXT) | instid1(VALU_DEP_4)
	v_fma_f64 v[42:43], v[6:7], v[18:19], -v[42:43]
	v_fmac_f64_e32 v[20:21], v[8:9], v[18:19]
	s_delay_alu instid0(VALU_DEP_4) | instskip(NEXT) | instid1(VALU_DEP_4)
	v_fma_f64 v[18:19], v[14:15], v[22:23], -v[44:45]
	v_fmac_f64_e32 v[24:25], v[16:17], v[22:23]
	s_delay_alu instid0(VALU_DEP_4) | instskip(NEXT) | instid1(VALU_DEP_4)
	v_add_f64_e64 v[22:23], v[10:11], -v[42:43]
	v_add_f64_e64 v[20:21], v[12:13], -v[20:21]
	ds_load_b128 v[10:13], v0 offset:160
	s_wait_dscnt 0x0
	v_cmp_ngt_f64_e64 s27, |v[10:11]|, |v[12:13]|
	v_add_f64_e64 v[22:23], v[22:23], -v[18:19]
	v_add_f64_e64 v[24:25], v[20:21], -v[24:25]
                                        ; implicit-def: $vgpr20_vgpr21
	s_and_b32 vcc_lo, exec_lo, s27
	s_mov_b32 s27, -1
	s_cbranch_vccz .LBB203_25
; %bb.24:                               ;   in Loop: Header=BB203_3 Depth=1
	v_div_scale_f64 v[18:19], null, v[12:13], v[12:13], v[10:11]
	v_div_scale_f64 v[44:45], vcc_lo, v[10:11], v[12:13], v[10:11]
	s_mov_b32 s27, 0
	v_rcp_f64_e32 v[20:21], v[18:19]
	v_nop
	s_delay_alu instid0(TRANS32_DEP_1) | instskip(NEXT) | instid1(VALU_DEP_1)
	v_fma_f64 v[42:43], -v[18:19], v[20:21], 1.0
	v_fmac_f64_e32 v[20:21], v[20:21], v[42:43]
	s_delay_alu instid0(VALU_DEP_1) | instskip(NEXT) | instid1(VALU_DEP_1)
	v_fma_f64 v[42:43], -v[18:19], v[20:21], 1.0
	v_fmac_f64_e32 v[20:21], v[20:21], v[42:43]
	s_delay_alu instid0(VALU_DEP_1) | instskip(NEXT) | instid1(VALU_DEP_1)
	v_mul_f64_e32 v[42:43], v[44:45], v[20:21]
	v_fma_f64 v[18:19], -v[18:19], v[42:43], v[44:45]
	s_delay_alu instid0(VALU_DEP_1) | instskip(NEXT) | instid1(VALU_DEP_1)
	v_div_fmas_f64 v[18:19], v[18:19], v[20:21], v[42:43]
	v_div_fixup_f64 v[18:19], v[18:19], v[12:13], v[10:11]
	s_delay_alu instid0(VALU_DEP_1) | instskip(NEXT) | instid1(VALU_DEP_1)
	v_fma_f64 v[20:21], v[10:11], v[18:19], v[12:13]
	v_div_scale_f64 v[42:43], null, v[20:21], v[20:21], 1.0
	v_div_scale_f64 v[48:49], vcc_lo, 1.0, v[20:21], 1.0
	s_delay_alu instid0(VALU_DEP_2) | instskip(SKIP_1) | instid1(TRANS32_DEP_1)
	v_rcp_f64_e32 v[44:45], v[42:43]
	v_nop
	v_fma_f64 v[46:47], -v[42:43], v[44:45], 1.0
	s_delay_alu instid0(VALU_DEP_1) | instskip(NEXT) | instid1(VALU_DEP_1)
	v_fmac_f64_e32 v[44:45], v[44:45], v[46:47]
	v_fma_f64 v[46:47], -v[42:43], v[44:45], 1.0
	s_delay_alu instid0(VALU_DEP_1) | instskip(NEXT) | instid1(VALU_DEP_1)
	v_fmac_f64_e32 v[44:45], v[44:45], v[46:47]
	v_mul_f64_e32 v[46:47], v[48:49], v[44:45]
	s_delay_alu instid0(VALU_DEP_1) | instskip(NEXT) | instid1(VALU_DEP_1)
	v_fma_f64 v[42:43], -v[42:43], v[46:47], v[48:49]
	v_div_fmas_f64 v[42:43], v[42:43], v[44:45], v[46:47]
	v_fma_f64 v[44:45], v[18:19], v[22:23], v[24:25]
	s_delay_alu instid0(VALU_DEP_2) | instskip(SKIP_1) | instid1(VALU_DEP_2)
	v_div_fixup_f64 v[20:21], v[42:43], v[20:21], 1.0
	v_fma_f64 v[42:43], v[18:19], v[24:25], -v[22:23]
	v_mul_f64_e32 v[18:19], v[44:45], v[20:21]
	s_delay_alu instid0(VALU_DEP_2)
	v_mul_f64_e32 v[20:21], v[42:43], v[20:21]
.LBB203_25:                             ;   in Loop: Header=BB203_3 Depth=1
	s_and_not1_b32 vcc_lo, exec_lo, s27
	s_cbranch_vccnz .LBB203_27
; %bb.26:                               ;   in Loop: Header=BB203_3 Depth=1
	v_div_scale_f64 v[18:19], null, v[10:11], v[10:11], v[12:13]
	v_div_scale_f64 v[44:45], vcc_lo, v[12:13], v[10:11], v[12:13]
	s_delay_alu instid0(VALU_DEP_2) | instskip(SKIP_1) | instid1(TRANS32_DEP_1)
	v_rcp_f64_e32 v[20:21], v[18:19]
	v_nop
	v_fma_f64 v[42:43], -v[18:19], v[20:21], 1.0
	s_delay_alu instid0(VALU_DEP_1) | instskip(NEXT) | instid1(VALU_DEP_1)
	v_fmac_f64_e32 v[20:21], v[20:21], v[42:43]
	v_fma_f64 v[42:43], -v[18:19], v[20:21], 1.0
	s_delay_alu instid0(VALU_DEP_1) | instskip(NEXT) | instid1(VALU_DEP_1)
	v_fmac_f64_e32 v[20:21], v[20:21], v[42:43]
	v_mul_f64_e32 v[42:43], v[44:45], v[20:21]
	s_delay_alu instid0(VALU_DEP_1) | instskip(NEXT) | instid1(VALU_DEP_1)
	v_fma_f64 v[18:19], -v[18:19], v[42:43], v[44:45]
	v_div_fmas_f64 v[18:19], v[18:19], v[20:21], v[42:43]
	s_delay_alu instid0(VALU_DEP_1) | instskip(NEXT) | instid1(VALU_DEP_1)
	v_div_fixup_f64 v[18:19], v[18:19], v[10:11], v[12:13]
	v_fmac_f64_e32 v[10:11], v[12:13], v[18:19]
	s_delay_alu instid0(VALU_DEP_1) | instskip(SKIP_1) | instid1(VALU_DEP_2)
	v_div_scale_f64 v[12:13], null, v[10:11], v[10:11], 1.0
	v_div_scale_f64 v[44:45], vcc_lo, 1.0, v[10:11], 1.0
	v_rcp_f64_e32 v[20:21], v[12:13]
	v_nop
	s_delay_alu instid0(TRANS32_DEP_1) | instskip(NEXT) | instid1(VALU_DEP_1)
	v_fma_f64 v[42:43], -v[12:13], v[20:21], 1.0
	v_fmac_f64_e32 v[20:21], v[20:21], v[42:43]
	s_delay_alu instid0(VALU_DEP_1) | instskip(NEXT) | instid1(VALU_DEP_1)
	v_fma_f64 v[42:43], -v[12:13], v[20:21], 1.0
	v_fmac_f64_e32 v[20:21], v[20:21], v[42:43]
	s_delay_alu instid0(VALU_DEP_1) | instskip(NEXT) | instid1(VALU_DEP_1)
	v_mul_f64_e32 v[42:43], v[44:45], v[20:21]
	v_fma_f64 v[12:13], -v[12:13], v[42:43], v[44:45]
	s_delay_alu instid0(VALU_DEP_1) | instskip(SKIP_1) | instid1(VALU_DEP_2)
	v_div_fmas_f64 v[12:13], v[12:13], v[20:21], v[42:43]
	v_fma_f64 v[20:21], v[18:19], v[24:25], v[22:23]
	v_div_fixup_f64 v[10:11], v[12:13], v[10:11], 1.0
	v_fma_f64 v[12:13], -v[18:19], v[22:23], v[24:25]
	s_delay_alu instid0(VALU_DEP_2) | instskip(NEXT) | instid1(VALU_DEP_2)
	v_mul_f64_e32 v[18:19], v[20:21], v[10:11]
	v_mul_f64_e32 v[20:21], v[12:13], v[10:11]
.LBB203_27:                             ;   in Loop: Header=BB203_3 Depth=1
	ds_load_b128 v[10:13], v0 offset:48
	ds_load_b128 v[22:25], v0 offset:112
	s_wait_dscnt 0x1
	v_mul_f64_e32 v[42:43], v[8:9], v[12:13]
	v_mul_f64_e32 v[44:45], v[6:7], v[12:13]
	s_wait_dscnt 0x0
	v_mul_f64_e32 v[46:47], v[16:17], v[24:25]
	v_mul_f64_e32 v[24:25], v[14:15], v[24:25]
	s_delay_alu instid0(VALU_DEP_4) | instskip(NEXT) | instid1(VALU_DEP_4)
	v_fma_f64 v[42:43], v[6:7], v[10:11], -v[42:43]
	v_fmac_f64_e32 v[44:45], v[8:9], v[10:11]
	ds_load_b128 v[10:13], v0 offset:176
	ds_load_b128 v[6:9], v0 offset:240
	v_fma_f64 v[14:15], v[14:15], v[22:23], -v[46:47]
	v_fmac_f64_e32 v[24:25], v[16:17], v[22:23]
	ds_store_b128 v34, v[18:21] offset:128
	s_wait_dscnt 0x2
	v_mul_f64_e32 v[48:49], v[20:21], v[12:13]
	v_mul_f64_e32 v[12:13], v[18:19], v[12:13]
	s_wait_dscnt 0x1
	v_cmp_ngt_f64_e64 s27, |v[6:7]|, |v[8:9]|
	v_add_f64_e64 v[2:3], v[2:3], -v[42:43]
	v_add_f64_e64 v[4:5], v[4:5], -v[44:45]
	v_fma_f64 v[16:17], v[18:19], v[10:11], -v[48:49]
	v_fmac_f64_e32 v[12:13], v[20:21], v[10:11]
	s_and_b32 vcc_lo, exec_lo, s27
	s_mov_b32 s27, -1
	s_delay_alu instid0(VALU_DEP_4) | instskip(NEXT) | instid1(VALU_DEP_4)
	v_add_f64_e64 v[2:3], v[2:3], -v[14:15]
	v_add_f64_e64 v[4:5], v[4:5], -v[24:25]
	s_delay_alu instid0(VALU_DEP_2) | instskip(NEXT) | instid1(VALU_DEP_2)
	v_add_f64_e64 v[10:11], v[2:3], -v[16:17]
	v_add_f64_e64 v[12:13], v[4:5], -v[12:13]
                                        ; implicit-def: $vgpr4_vgpr5
	s_cbranch_vccz .LBB203_29
; %bb.28:                               ;   in Loop: Header=BB203_3 Depth=1
	v_div_scale_f64 v[2:3], null, v[8:9], v[8:9], v[6:7]
	v_div_scale_f64 v[16:17], vcc_lo, v[6:7], v[8:9], v[6:7]
	s_mov_b32 s27, 0
	v_rcp_f64_e32 v[4:5], v[2:3]
	v_nop
	s_delay_alu instid0(TRANS32_DEP_1) | instskip(NEXT) | instid1(VALU_DEP_1)
	v_fma_f64 v[14:15], -v[2:3], v[4:5], 1.0
	v_fmac_f64_e32 v[4:5], v[4:5], v[14:15]
	s_delay_alu instid0(VALU_DEP_1) | instskip(NEXT) | instid1(VALU_DEP_1)
	v_fma_f64 v[14:15], -v[2:3], v[4:5], 1.0
	v_fmac_f64_e32 v[4:5], v[4:5], v[14:15]
	s_delay_alu instid0(VALU_DEP_1) | instskip(NEXT) | instid1(VALU_DEP_1)
	v_mul_f64_e32 v[14:15], v[16:17], v[4:5]
	v_fma_f64 v[2:3], -v[2:3], v[14:15], v[16:17]
	s_delay_alu instid0(VALU_DEP_1) | instskip(NEXT) | instid1(VALU_DEP_1)
	v_div_fmas_f64 v[2:3], v[2:3], v[4:5], v[14:15]
	v_div_fixup_f64 v[2:3], v[2:3], v[8:9], v[6:7]
	s_delay_alu instid0(VALU_DEP_1) | instskip(NEXT) | instid1(VALU_DEP_1)
	v_fma_f64 v[4:5], v[6:7], v[2:3], v[8:9]
	v_div_scale_f64 v[14:15], null, v[4:5], v[4:5], 1.0
	v_div_scale_f64 v[20:21], vcc_lo, 1.0, v[4:5], 1.0
	s_delay_alu instid0(VALU_DEP_2) | instskip(SKIP_1) | instid1(TRANS32_DEP_1)
	v_rcp_f64_e32 v[16:17], v[14:15]
	v_nop
	v_fma_f64 v[18:19], -v[14:15], v[16:17], 1.0
	s_delay_alu instid0(VALU_DEP_1) | instskip(NEXT) | instid1(VALU_DEP_1)
	v_fmac_f64_e32 v[16:17], v[16:17], v[18:19]
	v_fma_f64 v[18:19], -v[14:15], v[16:17], 1.0
	s_delay_alu instid0(VALU_DEP_1) | instskip(NEXT) | instid1(VALU_DEP_1)
	v_fmac_f64_e32 v[16:17], v[16:17], v[18:19]
	v_mul_f64_e32 v[18:19], v[20:21], v[16:17]
	s_delay_alu instid0(VALU_DEP_1) | instskip(NEXT) | instid1(VALU_DEP_1)
	v_fma_f64 v[14:15], -v[14:15], v[18:19], v[20:21]
	v_div_fmas_f64 v[14:15], v[14:15], v[16:17], v[18:19]
	v_fma_f64 v[16:17], v[2:3], v[10:11], v[12:13]
	s_delay_alu instid0(VALU_DEP_2) | instskip(SKIP_1) | instid1(VALU_DEP_2)
	v_div_fixup_f64 v[4:5], v[14:15], v[4:5], 1.0
	v_fma_f64 v[14:15], v[2:3], v[12:13], -v[10:11]
	v_mul_f64_e32 v[2:3], v[16:17], v[4:5]
	s_delay_alu instid0(VALU_DEP_2)
	v_mul_f64_e32 v[4:5], v[14:15], v[4:5]
.LBB203_29:                             ;   in Loop: Header=BB203_3 Depth=1
	s_and_not1_b32 vcc_lo, exec_lo, s27
	s_cbranch_vccnz .LBB203_31
; %bb.30:                               ;   in Loop: Header=BB203_3 Depth=1
	v_div_scale_f64 v[2:3], null, v[6:7], v[6:7], v[8:9]
	v_div_scale_f64 v[16:17], vcc_lo, v[8:9], v[6:7], v[8:9]
	s_delay_alu instid0(VALU_DEP_2) | instskip(SKIP_1) | instid1(TRANS32_DEP_1)
	v_rcp_f64_e32 v[4:5], v[2:3]
	v_nop
	v_fma_f64 v[14:15], -v[2:3], v[4:5], 1.0
	s_delay_alu instid0(VALU_DEP_1) | instskip(NEXT) | instid1(VALU_DEP_1)
	v_fmac_f64_e32 v[4:5], v[4:5], v[14:15]
	v_fma_f64 v[14:15], -v[2:3], v[4:5], 1.0
	s_delay_alu instid0(VALU_DEP_1) | instskip(NEXT) | instid1(VALU_DEP_1)
	v_fmac_f64_e32 v[4:5], v[4:5], v[14:15]
	v_mul_f64_e32 v[14:15], v[16:17], v[4:5]
	s_delay_alu instid0(VALU_DEP_1) | instskip(NEXT) | instid1(VALU_DEP_1)
	v_fma_f64 v[2:3], -v[2:3], v[14:15], v[16:17]
	v_div_fmas_f64 v[2:3], v[2:3], v[4:5], v[14:15]
	s_delay_alu instid0(VALU_DEP_1) | instskip(NEXT) | instid1(VALU_DEP_1)
	v_div_fixup_f64 v[2:3], v[2:3], v[6:7], v[8:9]
	v_fmac_f64_e32 v[6:7], v[8:9], v[2:3]
	s_delay_alu instid0(VALU_DEP_1) | instskip(SKIP_1) | instid1(VALU_DEP_2)
	v_div_scale_f64 v[4:5], null, v[6:7], v[6:7], 1.0
	v_div_scale_f64 v[16:17], vcc_lo, 1.0, v[6:7], 1.0
	v_rcp_f64_e32 v[8:9], v[4:5]
	v_nop
	s_delay_alu instid0(TRANS32_DEP_1) | instskip(NEXT) | instid1(VALU_DEP_1)
	v_fma_f64 v[14:15], -v[4:5], v[8:9], 1.0
	v_fmac_f64_e32 v[8:9], v[8:9], v[14:15]
	s_delay_alu instid0(VALU_DEP_1) | instskip(NEXT) | instid1(VALU_DEP_1)
	v_fma_f64 v[14:15], -v[4:5], v[8:9], 1.0
	v_fmac_f64_e32 v[8:9], v[8:9], v[14:15]
	s_delay_alu instid0(VALU_DEP_1) | instskip(NEXT) | instid1(VALU_DEP_1)
	v_mul_f64_e32 v[14:15], v[16:17], v[8:9]
	v_fma_f64 v[4:5], -v[4:5], v[14:15], v[16:17]
	s_delay_alu instid0(VALU_DEP_1) | instskip(SKIP_1) | instid1(VALU_DEP_2)
	v_div_fmas_f64 v[4:5], v[4:5], v[8:9], v[14:15]
	v_fma_f64 v[8:9], v[2:3], v[12:13], v[10:11]
	v_div_fixup_f64 v[4:5], v[4:5], v[6:7], 1.0
	v_fma_f64 v[6:7], -v[2:3], v[10:11], v[12:13]
	s_delay_alu instid0(VALU_DEP_2) | instskip(NEXT) | instid1(VALU_DEP_2)
	v_mul_f64_e32 v[2:3], v[8:9], v[4:5]
	v_mul_f64_e32 v[4:5], v[6:7], v[4:5]
.LBB203_31:                             ;   in Loop: Header=BB203_3 Depth=1
	s_mov_b32 s27, 4
	ds_store_b128 v34, v[2:5] offset:192
.LBB203_32:                             ;   in Loop: Header=BB203_3 Depth=1
	s_cmp_ge_i32 s27, s34
	s_cbranch_scc1 .LBB203_41
; %bb.33:                               ;   in Loop: Header=BB203_3 Depth=1
	s_lshl_b32 s28, s27, 4
	s_branch .LBB203_35
.LBB203_34:                             ;   in Loop: Header=BB203_35 Depth=2
	s_add_co_i32 s27, s27, 1
	s_add_co_i32 s28, s28, 16
	s_cmp_ge_i32 s27, s34
	ds_store_b128 v14, v[10:13]
	s_cbranch_scc1 .LBB203_41
.LBB203_35:                             ;   Parent Loop BB203_3 Depth=1
                                        ; =>  This Loop Header: Depth=2
                                        ;       Child Loop BB203_36 Depth 3
	s_lshl_b32 s29, s27, 6
	s_cmp_eq_u32 s27, 0
	v_dual_add_nc_u32 v14, s29, v34 :: v_dual_mov_b32 v6, v34
	s_mov_b32 s30, s28
	s_mov_b32 s31, s27
	ds_load_b128 v[2:5], v14
	s_cbranch_scc1 .LBB203_37
.LBB203_36:                             ;   Parent Loop BB203_3 Depth=1
                                        ;     Parent Loop BB203_35 Depth=2
                                        ; =>    This Inner Loop Header: Depth=3
	v_mov_b32_e32 v7, s30
	s_add_co_i32 s31, s31, -1
	s_add_co_i32 s30, s30, 64
	s_cmp_eq_u32 s31, 0
	ds_load_b128 v[8:11], v6
	ds_load_b128 v[16:19], v7
	v_add_nc_u32_e32 v6, 64, v6
	s_wait_dscnt 0x0
	v_mul_f64_e32 v[12:13], v[18:19], v[10:11]
	v_mul_f64_e32 v[10:11], v[16:17], v[10:11]
	s_delay_alu instid0(VALU_DEP_2) | instskip(NEXT) | instid1(VALU_DEP_2)
	v_fma_f64 v[12:13], v[16:17], v[8:9], -v[12:13]
	v_fmac_f64_e32 v[10:11], v[18:19], v[8:9]
	s_delay_alu instid0(VALU_DEP_2) | instskip(NEXT) | instid1(VALU_DEP_2)
	v_add_f64_e64 v[2:3], v[2:3], -v[12:13]
	v_add_f64_e64 v[4:5], v[4:5], -v[10:11]
	s_cbranch_scc0 .LBB203_36
.LBB203_37:                             ;   in Loop: Header=BB203_35 Depth=2
	s_lshl_b32 s30, s27, 4
                                        ; implicit-def: $vgpr10_vgpr11
	s_delay_alu instid0(SALU_CYCLE_1) | instskip(NEXT) | instid1(SALU_CYCLE_1)
	s_add_co_i32 s29, s30, s29
	v_mov_b32_e32 v6, s29
	ds_load_b128 v[6:9], v6
	s_wait_dscnt 0x0
	v_cmp_ngt_f64_e64 s29, |v[6:7]|, |v[8:9]|
	s_and_b32 vcc_lo, exec_lo, s29
	s_mov_b32 s29, -1
	s_cbranch_vccz .LBB203_39
; %bb.38:                               ;   in Loop: Header=BB203_35 Depth=2
	v_div_scale_f64 v[10:11], null, v[8:9], v[8:9], v[6:7]
	v_div_scale_f64 v[18:19], vcc_lo, v[6:7], v[8:9], v[6:7]
	s_mov_b32 s29, 0
	v_rcp_f64_e32 v[12:13], v[10:11]
	v_nop
	s_delay_alu instid0(TRANS32_DEP_1) | instskip(NEXT) | instid1(VALU_DEP_1)
	v_fma_f64 v[16:17], -v[10:11], v[12:13], 1.0
	v_fmac_f64_e32 v[12:13], v[12:13], v[16:17]
	s_delay_alu instid0(VALU_DEP_1) | instskip(NEXT) | instid1(VALU_DEP_1)
	v_fma_f64 v[16:17], -v[10:11], v[12:13], 1.0
	v_fmac_f64_e32 v[12:13], v[12:13], v[16:17]
	s_delay_alu instid0(VALU_DEP_1) | instskip(NEXT) | instid1(VALU_DEP_1)
	v_mul_f64_e32 v[16:17], v[18:19], v[12:13]
	v_fma_f64 v[10:11], -v[10:11], v[16:17], v[18:19]
	s_delay_alu instid0(VALU_DEP_1) | instskip(NEXT) | instid1(VALU_DEP_1)
	v_div_fmas_f64 v[10:11], v[10:11], v[12:13], v[16:17]
	v_div_fixup_f64 v[10:11], v[10:11], v[8:9], v[6:7]
	s_delay_alu instid0(VALU_DEP_1) | instskip(NEXT) | instid1(VALU_DEP_1)
	v_fma_f64 v[12:13], v[6:7], v[10:11], v[8:9]
	v_div_scale_f64 v[16:17], null, v[12:13], v[12:13], 1.0
	v_div_scale_f64 v[22:23], vcc_lo, 1.0, v[12:13], 1.0
	s_delay_alu instid0(VALU_DEP_2) | instskip(SKIP_1) | instid1(TRANS32_DEP_1)
	v_rcp_f64_e32 v[18:19], v[16:17]
	v_nop
	v_fma_f64 v[20:21], -v[16:17], v[18:19], 1.0
	s_delay_alu instid0(VALU_DEP_1) | instskip(NEXT) | instid1(VALU_DEP_1)
	v_fmac_f64_e32 v[18:19], v[18:19], v[20:21]
	v_fma_f64 v[20:21], -v[16:17], v[18:19], 1.0
	s_delay_alu instid0(VALU_DEP_1) | instskip(NEXT) | instid1(VALU_DEP_1)
	v_fmac_f64_e32 v[18:19], v[18:19], v[20:21]
	v_mul_f64_e32 v[20:21], v[22:23], v[18:19]
	s_delay_alu instid0(VALU_DEP_1) | instskip(NEXT) | instid1(VALU_DEP_1)
	v_fma_f64 v[16:17], -v[16:17], v[20:21], v[22:23]
	v_div_fmas_f64 v[16:17], v[16:17], v[18:19], v[20:21]
	v_fma_f64 v[18:19], v[2:3], v[10:11], v[4:5]
	s_delay_alu instid0(VALU_DEP_2) | instskip(SKIP_1) | instid1(VALU_DEP_2)
	v_div_fixup_f64 v[12:13], v[16:17], v[12:13], 1.0
	v_fma_f64 v[16:17], v[4:5], v[10:11], -v[2:3]
	v_mul_f64_e32 v[10:11], v[18:19], v[12:13]
	s_delay_alu instid0(VALU_DEP_2)
	v_mul_f64_e32 v[12:13], v[16:17], v[12:13]
.LBB203_39:                             ;   in Loop: Header=BB203_35 Depth=2
	s_and_not1_b32 vcc_lo, exec_lo, s29
	s_cbranch_vccnz .LBB203_34
; %bb.40:                               ;   in Loop: Header=BB203_35 Depth=2
	v_div_scale_f64 v[10:11], null, v[6:7], v[6:7], v[8:9]
	v_div_scale_f64 v[18:19], vcc_lo, v[8:9], v[6:7], v[8:9]
	s_delay_alu instid0(VALU_DEP_2) | instskip(SKIP_1) | instid1(TRANS32_DEP_1)
	v_rcp_f64_e32 v[12:13], v[10:11]
	v_nop
	v_fma_f64 v[16:17], -v[10:11], v[12:13], 1.0
	s_delay_alu instid0(VALU_DEP_1) | instskip(NEXT) | instid1(VALU_DEP_1)
	v_fmac_f64_e32 v[12:13], v[12:13], v[16:17]
	v_fma_f64 v[16:17], -v[10:11], v[12:13], 1.0
	s_delay_alu instid0(VALU_DEP_1) | instskip(NEXT) | instid1(VALU_DEP_1)
	v_fmac_f64_e32 v[12:13], v[12:13], v[16:17]
	v_mul_f64_e32 v[16:17], v[18:19], v[12:13]
	s_delay_alu instid0(VALU_DEP_1) | instskip(NEXT) | instid1(VALU_DEP_1)
	v_fma_f64 v[10:11], -v[10:11], v[16:17], v[18:19]
	v_div_fmas_f64 v[10:11], v[10:11], v[12:13], v[16:17]
	s_delay_alu instid0(VALU_DEP_1) | instskip(NEXT) | instid1(VALU_DEP_1)
	v_div_fixup_f64 v[10:11], v[10:11], v[6:7], v[8:9]
	v_fmac_f64_e32 v[6:7], v[8:9], v[10:11]
	s_delay_alu instid0(VALU_DEP_1) | instskip(SKIP_1) | instid1(VALU_DEP_2)
	v_div_scale_f64 v[8:9], null, v[6:7], v[6:7], 1.0
	v_div_scale_f64 v[18:19], vcc_lo, 1.0, v[6:7], 1.0
	v_rcp_f64_e32 v[12:13], v[8:9]
	v_nop
	s_delay_alu instid0(TRANS32_DEP_1) | instskip(NEXT) | instid1(VALU_DEP_1)
	v_fma_f64 v[16:17], -v[8:9], v[12:13], 1.0
	v_fmac_f64_e32 v[12:13], v[12:13], v[16:17]
	s_delay_alu instid0(VALU_DEP_1) | instskip(NEXT) | instid1(VALU_DEP_1)
	v_fma_f64 v[16:17], -v[8:9], v[12:13], 1.0
	v_fmac_f64_e32 v[12:13], v[12:13], v[16:17]
	s_delay_alu instid0(VALU_DEP_1) | instskip(NEXT) | instid1(VALU_DEP_1)
	v_mul_f64_e32 v[16:17], v[18:19], v[12:13]
	v_fma_f64 v[8:9], -v[8:9], v[16:17], v[18:19]
	s_delay_alu instid0(VALU_DEP_1) | instskip(SKIP_2) | instid1(VALU_DEP_3)
	v_div_fmas_f64 v[8:9], v[8:9], v[12:13], v[16:17]
	v_fma_f64 v[12:13], v[4:5], v[10:11], v[2:3]
	v_fma_f64 v[2:3], -v[2:3], v[10:11], v[4:5]
	v_div_fixup_f64 v[6:7], v[8:9], v[6:7], 1.0
	s_delay_alu instid0(VALU_DEP_1) | instskip(NEXT) | instid1(VALU_DEP_3)
	v_mul_f64_e32 v[10:11], v[12:13], v[6:7]
	v_mul_f64_e32 v[12:13], v[2:3], v[6:7]
	s_branch .LBB203_34
.LBB203_41:                             ;   in Loop: Header=BB203_3 Depth=1
	s_mov_b32 s27, 0
.LBB203_42:                             ;   in Loop: Header=BB203_3 Depth=1
	s_delay_alu instid0(SALU_CYCLE_1)
	s_and_b32 vcc_lo, exec_lo, s27
	s_cbranch_vccz .LBB203_70
; %bb.43:                               ;   in Loop: Header=BB203_3 Depth=1
	s_and_b32 vcc_lo, exec_lo, s37
	s_mov_b32 s27, s35
	s_cbranch_vccz .LBB203_61
; %bb.44:                               ;   in Loop: Header=BB203_3 Depth=1
	v_mov_b32_e32 v2, s36
                                        ; implicit-def: $vgpr8_vgpr9
	ds_load_b128 v[18:21], v2
	ds_load_b128 v[22:25], v36
	;; [unrolled: 1-line block ×5, first 2 shown]
	s_wait_dscnt 0x4
	v_cmp_ngt_f64_e64 s27, |v[18:19]|, |v[20:21]|
	s_and_b32 vcc_lo, exec_lo, s27
	s_mov_b32 s27, -1
	s_cbranch_vccz .LBB203_46
; %bb.45:                               ;   in Loop: Header=BB203_3 Depth=1
	v_div_scale_f64 v[6:7], null, v[20:21], v[20:21], v[18:19]
	v_div_scale_f64 v[44:45], vcc_lo, v[18:19], v[20:21], v[18:19]
	s_mov_b32 s27, 0
	v_rcp_f64_e32 v[8:9], v[6:7]
	v_nop
	s_delay_alu instid0(TRANS32_DEP_1) | instskip(NEXT) | instid1(VALU_DEP_1)
	v_fma_f64 v[42:43], -v[6:7], v[8:9], 1.0
	v_fmac_f64_e32 v[8:9], v[8:9], v[42:43]
	s_delay_alu instid0(VALU_DEP_1) | instskip(NEXT) | instid1(VALU_DEP_1)
	v_fma_f64 v[42:43], -v[6:7], v[8:9], 1.0
	v_fmac_f64_e32 v[8:9], v[8:9], v[42:43]
	s_delay_alu instid0(VALU_DEP_1) | instskip(NEXT) | instid1(VALU_DEP_1)
	v_mul_f64_e32 v[42:43], v[44:45], v[8:9]
	v_fma_f64 v[6:7], -v[6:7], v[42:43], v[44:45]
	s_delay_alu instid0(VALU_DEP_1) | instskip(NEXT) | instid1(VALU_DEP_1)
	v_div_fmas_f64 v[6:7], v[6:7], v[8:9], v[42:43]
	v_div_fixup_f64 v[6:7], v[6:7], v[20:21], v[18:19]
	s_delay_alu instid0(VALU_DEP_1) | instskip(NEXT) | instid1(VALU_DEP_1)
	v_fma_f64 v[8:9], v[18:19], v[6:7], v[20:21]
	v_div_scale_f64 v[42:43], null, v[8:9], v[8:9], 1.0
	v_div_scale_f64 v[48:49], vcc_lo, 1.0, v[8:9], 1.0
	s_delay_alu instid0(VALU_DEP_2) | instskip(SKIP_1) | instid1(TRANS32_DEP_1)
	v_rcp_f64_e32 v[44:45], v[42:43]
	v_nop
	v_fma_f64 v[46:47], -v[42:43], v[44:45], 1.0
	s_delay_alu instid0(VALU_DEP_1) | instskip(NEXT) | instid1(VALU_DEP_1)
	v_fmac_f64_e32 v[44:45], v[44:45], v[46:47]
	v_fma_f64 v[46:47], -v[42:43], v[44:45], 1.0
	s_delay_alu instid0(VALU_DEP_1) | instskip(NEXT) | instid1(VALU_DEP_1)
	v_fmac_f64_e32 v[44:45], v[44:45], v[46:47]
	v_mul_f64_e32 v[46:47], v[48:49], v[44:45]
	s_delay_alu instid0(VALU_DEP_1) | instskip(NEXT) | instid1(VALU_DEP_1)
	v_fma_f64 v[42:43], -v[42:43], v[46:47], v[48:49]
	v_div_fmas_f64 v[42:43], v[42:43], v[44:45], v[46:47]
	s_wait_dscnt 0x3
	v_fma_f64 v[44:45], v[22:23], v[6:7], v[24:25]
	s_delay_alu instid0(VALU_DEP_2) | instskip(SKIP_1) | instid1(VALU_DEP_2)
	v_div_fixup_f64 v[8:9], v[42:43], v[8:9], 1.0
	v_fma_f64 v[42:43], v[24:25], v[6:7], -v[22:23]
	v_mul_f64_e32 v[6:7], v[44:45], v[8:9]
	s_delay_alu instid0(VALU_DEP_2)
	v_mul_f64_e32 v[8:9], v[42:43], v[8:9]
.LBB203_46:                             ;   in Loop: Header=BB203_3 Depth=1
	s_and_not1_b32 vcc_lo, exec_lo, s27
	s_cbranch_vccnz .LBB203_48
; %bb.47:                               ;   in Loop: Header=BB203_3 Depth=1
	v_div_scale_f64 v[6:7], null, v[18:19], v[18:19], v[20:21]
	v_div_scale_f64 v[44:45], vcc_lo, v[20:21], v[18:19], v[20:21]
	s_delay_alu instid0(VALU_DEP_2) | instskip(SKIP_1) | instid1(TRANS32_DEP_1)
	v_rcp_f64_e32 v[8:9], v[6:7]
	v_nop
	v_fma_f64 v[42:43], -v[6:7], v[8:9], 1.0
	s_delay_alu instid0(VALU_DEP_1) | instskip(NEXT) | instid1(VALU_DEP_1)
	v_fmac_f64_e32 v[8:9], v[8:9], v[42:43]
	v_fma_f64 v[42:43], -v[6:7], v[8:9], 1.0
	s_delay_alu instid0(VALU_DEP_1) | instskip(NEXT) | instid1(VALU_DEP_1)
	v_fmac_f64_e32 v[8:9], v[8:9], v[42:43]
	v_mul_f64_e32 v[42:43], v[44:45], v[8:9]
	s_delay_alu instid0(VALU_DEP_1) | instskip(NEXT) | instid1(VALU_DEP_1)
	v_fma_f64 v[6:7], -v[6:7], v[42:43], v[44:45]
	v_div_fmas_f64 v[6:7], v[6:7], v[8:9], v[42:43]
	s_delay_alu instid0(VALU_DEP_1) | instskip(NEXT) | instid1(VALU_DEP_1)
	v_div_fixup_f64 v[6:7], v[6:7], v[18:19], v[20:21]
	v_fmac_f64_e32 v[18:19], v[20:21], v[6:7]
	s_delay_alu instid0(VALU_DEP_1) | instskip(SKIP_1) | instid1(VALU_DEP_2)
	v_div_scale_f64 v[8:9], null, v[18:19], v[18:19], 1.0
	v_div_scale_f64 v[44:45], vcc_lo, 1.0, v[18:19], 1.0
	v_rcp_f64_e32 v[20:21], v[8:9]
	v_nop
	s_delay_alu instid0(TRANS32_DEP_1) | instskip(NEXT) | instid1(VALU_DEP_1)
	v_fma_f64 v[42:43], -v[8:9], v[20:21], 1.0
	v_fmac_f64_e32 v[20:21], v[20:21], v[42:43]
	s_delay_alu instid0(VALU_DEP_1) | instskip(NEXT) | instid1(VALU_DEP_1)
	v_fma_f64 v[42:43], -v[8:9], v[20:21], 1.0
	v_fmac_f64_e32 v[20:21], v[20:21], v[42:43]
	s_delay_alu instid0(VALU_DEP_1) | instskip(NEXT) | instid1(VALU_DEP_1)
	v_mul_f64_e32 v[42:43], v[44:45], v[20:21]
	v_fma_f64 v[8:9], -v[8:9], v[42:43], v[44:45]
	s_delay_alu instid0(VALU_DEP_1) | instskip(SKIP_2) | instid1(VALU_DEP_2)
	v_div_fmas_f64 v[8:9], v[8:9], v[20:21], v[42:43]
	s_wait_dscnt 0x3
	v_fma_f64 v[20:21], v[24:25], v[6:7], v[22:23]
	v_div_fixup_f64 v[8:9], v[8:9], v[18:19], 1.0
	v_fma_f64 v[18:19], -v[22:23], v[6:7], v[24:25]
	s_delay_alu instid0(VALU_DEP_2) | instskip(NEXT) | instid1(VALU_DEP_2)
	v_mul_f64_e32 v[6:7], v[20:21], v[8:9]
	v_mul_f64_e32 v[8:9], v[18:19], v[8:9]
.LBB203_48:                             ;   in Loop: Header=BB203_3 Depth=1
	v_mov_b32_e32 v18, s42
	ds_store_b128 v36, v[6:9]
	s_wait_dscnt 0x4
	ds_load_b128 v[22:25], v18
	s_wait_dscnt 0x0
	v_dual_mul_f64 v[42:43], v[8:9], v[24:25] :: v_dual_mov_b32 v18, s44
	v_mul_f64_e32 v[24:25], v[6:7], v[24:25]
	ds_load_b128 v[18:21], v18
	s_wait_dscnt 0x0
	v_cmp_ngt_f64_e64 s27, |v[18:19]|, |v[20:21]|
	v_fma_f64 v[42:43], v[6:7], v[22:23], -v[42:43]
	v_fmac_f64_e32 v[24:25], v[8:9], v[22:23]
	s_and_b32 vcc_lo, exec_lo, s27
	s_mov_b32 s27, -1
	s_delay_alu instid0(VALU_DEP_2) | instskip(NEXT) | instid1(VALU_DEP_2)
	v_add_f64_e64 v[22:23], v[14:15], -v[42:43]
	v_add_f64_e64 v[24:25], v[16:17], -v[24:25]
                                        ; implicit-def: $vgpr16_vgpr17
	s_cbranch_vccz .LBB203_50
; %bb.49:                               ;   in Loop: Header=BB203_3 Depth=1
	v_div_scale_f64 v[14:15], null, v[20:21], v[20:21], v[18:19]
	v_div_scale_f64 v[44:45], vcc_lo, v[18:19], v[20:21], v[18:19]
	s_mov_b32 s27, 0
	v_rcp_f64_e32 v[16:17], v[14:15]
	v_nop
	s_delay_alu instid0(TRANS32_DEP_1) | instskip(NEXT) | instid1(VALU_DEP_1)
	v_fma_f64 v[42:43], -v[14:15], v[16:17], 1.0
	v_fmac_f64_e32 v[16:17], v[16:17], v[42:43]
	s_delay_alu instid0(VALU_DEP_1) | instskip(NEXT) | instid1(VALU_DEP_1)
	v_fma_f64 v[42:43], -v[14:15], v[16:17], 1.0
	v_fmac_f64_e32 v[16:17], v[16:17], v[42:43]
	s_delay_alu instid0(VALU_DEP_1) | instskip(NEXT) | instid1(VALU_DEP_1)
	v_mul_f64_e32 v[42:43], v[44:45], v[16:17]
	v_fma_f64 v[14:15], -v[14:15], v[42:43], v[44:45]
	s_delay_alu instid0(VALU_DEP_1) | instskip(NEXT) | instid1(VALU_DEP_1)
	v_div_fmas_f64 v[14:15], v[14:15], v[16:17], v[42:43]
	v_div_fixup_f64 v[14:15], v[14:15], v[20:21], v[18:19]
	s_delay_alu instid0(VALU_DEP_1) | instskip(NEXT) | instid1(VALU_DEP_1)
	v_fma_f64 v[16:17], v[18:19], v[14:15], v[20:21]
	v_div_scale_f64 v[42:43], null, v[16:17], v[16:17], 1.0
	v_div_scale_f64 v[48:49], vcc_lo, 1.0, v[16:17], 1.0
	s_delay_alu instid0(VALU_DEP_2) | instskip(SKIP_1) | instid1(TRANS32_DEP_1)
	v_rcp_f64_e32 v[44:45], v[42:43]
	v_nop
	v_fma_f64 v[46:47], -v[42:43], v[44:45], 1.0
	s_delay_alu instid0(VALU_DEP_1) | instskip(NEXT) | instid1(VALU_DEP_1)
	v_fmac_f64_e32 v[44:45], v[44:45], v[46:47]
	v_fma_f64 v[46:47], -v[42:43], v[44:45], 1.0
	s_delay_alu instid0(VALU_DEP_1) | instskip(NEXT) | instid1(VALU_DEP_1)
	v_fmac_f64_e32 v[44:45], v[44:45], v[46:47]
	v_mul_f64_e32 v[46:47], v[48:49], v[44:45]
	s_delay_alu instid0(VALU_DEP_1) | instskip(NEXT) | instid1(VALU_DEP_1)
	v_fma_f64 v[42:43], -v[42:43], v[46:47], v[48:49]
	v_div_fmas_f64 v[42:43], v[42:43], v[44:45], v[46:47]
	v_fma_f64 v[44:45], v[14:15], v[22:23], v[24:25]
	s_delay_alu instid0(VALU_DEP_2) | instskip(SKIP_1) | instid1(VALU_DEP_2)
	v_div_fixup_f64 v[16:17], v[42:43], v[16:17], 1.0
	v_fma_f64 v[42:43], v[14:15], v[24:25], -v[22:23]
	v_mul_f64_e32 v[14:15], v[44:45], v[16:17]
	s_delay_alu instid0(VALU_DEP_2)
	v_mul_f64_e32 v[16:17], v[42:43], v[16:17]
.LBB203_50:                             ;   in Loop: Header=BB203_3 Depth=1
	s_and_not1_b32 vcc_lo, exec_lo, s27
	s_cbranch_vccnz .LBB203_52
; %bb.51:                               ;   in Loop: Header=BB203_3 Depth=1
	v_div_scale_f64 v[14:15], null, v[18:19], v[18:19], v[20:21]
	v_div_scale_f64 v[44:45], vcc_lo, v[20:21], v[18:19], v[20:21]
	s_delay_alu instid0(VALU_DEP_2) | instskip(SKIP_1) | instid1(TRANS32_DEP_1)
	v_rcp_f64_e32 v[16:17], v[14:15]
	v_nop
	v_fma_f64 v[42:43], -v[14:15], v[16:17], 1.0
	s_delay_alu instid0(VALU_DEP_1) | instskip(NEXT) | instid1(VALU_DEP_1)
	v_fmac_f64_e32 v[16:17], v[16:17], v[42:43]
	v_fma_f64 v[42:43], -v[14:15], v[16:17], 1.0
	s_delay_alu instid0(VALU_DEP_1) | instskip(NEXT) | instid1(VALU_DEP_1)
	v_fmac_f64_e32 v[16:17], v[16:17], v[42:43]
	v_mul_f64_e32 v[42:43], v[44:45], v[16:17]
	s_delay_alu instid0(VALU_DEP_1) | instskip(NEXT) | instid1(VALU_DEP_1)
	v_fma_f64 v[14:15], -v[14:15], v[42:43], v[44:45]
	v_div_fmas_f64 v[14:15], v[14:15], v[16:17], v[42:43]
	s_delay_alu instid0(VALU_DEP_1) | instskip(NEXT) | instid1(VALU_DEP_1)
	v_div_fixup_f64 v[14:15], v[14:15], v[18:19], v[20:21]
	v_fmac_f64_e32 v[18:19], v[20:21], v[14:15]
	s_delay_alu instid0(VALU_DEP_1) | instskip(SKIP_1) | instid1(VALU_DEP_2)
	v_div_scale_f64 v[16:17], null, v[18:19], v[18:19], 1.0
	v_div_scale_f64 v[44:45], vcc_lo, 1.0, v[18:19], 1.0
	v_rcp_f64_e32 v[20:21], v[16:17]
	v_nop
	s_delay_alu instid0(TRANS32_DEP_1) | instskip(NEXT) | instid1(VALU_DEP_1)
	v_fma_f64 v[42:43], -v[16:17], v[20:21], 1.0
	v_fmac_f64_e32 v[20:21], v[20:21], v[42:43]
	s_delay_alu instid0(VALU_DEP_1) | instskip(NEXT) | instid1(VALU_DEP_1)
	v_fma_f64 v[42:43], -v[16:17], v[20:21], 1.0
	v_fmac_f64_e32 v[20:21], v[20:21], v[42:43]
	s_delay_alu instid0(VALU_DEP_1) | instskip(NEXT) | instid1(VALU_DEP_1)
	v_mul_f64_e32 v[42:43], v[44:45], v[20:21]
	v_fma_f64 v[16:17], -v[16:17], v[42:43], v[44:45]
	s_delay_alu instid0(VALU_DEP_1) | instskip(SKIP_1) | instid1(VALU_DEP_2)
	v_div_fmas_f64 v[16:17], v[16:17], v[20:21], v[42:43]
	v_fma_f64 v[20:21], v[14:15], v[24:25], v[22:23]
	v_div_fixup_f64 v[16:17], v[16:17], v[18:19], 1.0
	v_fma_f64 v[18:19], -v[14:15], v[22:23], v[24:25]
	s_delay_alu instid0(VALU_DEP_2) | instskip(NEXT) | instid1(VALU_DEP_2)
	v_mul_f64_e32 v[14:15], v[20:21], v[16:17]
	v_mul_f64_e32 v[16:17], v[18:19], v[16:17]
.LBB203_52:                             ;   in Loop: Header=BB203_3 Depth=1
	v_dual_mov_b32 v18, s45 :: v_dual_mov_b32 v22, s46
	ds_store_b128 v37, v[14:17]
	ds_load_b128 v[18:21], v18
	ds_load_b128 v[22:25], v22
	s_wait_dscnt 0x1
	v_mul_f64_e32 v[42:43], v[8:9], v[20:21]
	v_mul_f64_e32 v[20:21], v[6:7], v[20:21]
	s_wait_dscnt 0x0
	v_mul_f64_e32 v[44:45], v[16:17], v[24:25]
	v_mul_f64_e32 v[24:25], v[14:15], v[24:25]
	s_delay_alu instid0(VALU_DEP_4) | instskip(NEXT) | instid1(VALU_DEP_4)
	v_fma_f64 v[42:43], v[6:7], v[18:19], -v[42:43]
	v_fmac_f64_e32 v[20:21], v[8:9], v[18:19]
	s_delay_alu instid0(VALU_DEP_4) | instskip(NEXT) | instid1(VALU_DEP_4)
	v_fma_f64 v[18:19], v[14:15], v[22:23], -v[44:45]
	v_fmac_f64_e32 v[24:25], v[16:17], v[22:23]
	s_delay_alu instid0(VALU_DEP_4) | instskip(NEXT) | instid1(VALU_DEP_4)
	v_add_f64_e64 v[22:23], v[10:11], -v[42:43]
	v_dual_add_f64 v[20:21], v[12:13], -v[20:21] :: v_dual_mov_b32 v10, s48
	ds_load_b128 v[10:13], v10
	s_wait_dscnt 0x0
	v_cmp_ngt_f64_e64 s27, |v[10:11]|, |v[12:13]|
	v_add_f64_e64 v[22:23], v[22:23], -v[18:19]
	v_add_f64_e64 v[24:25], v[20:21], -v[24:25]
                                        ; implicit-def: $vgpr20_vgpr21
	s_and_b32 vcc_lo, exec_lo, s27
	s_mov_b32 s27, -1
	s_cbranch_vccz .LBB203_54
; %bb.53:                               ;   in Loop: Header=BB203_3 Depth=1
	v_div_scale_f64 v[18:19], null, v[12:13], v[12:13], v[10:11]
	v_div_scale_f64 v[44:45], vcc_lo, v[10:11], v[12:13], v[10:11]
	s_mov_b32 s27, 0
	v_rcp_f64_e32 v[20:21], v[18:19]
	v_nop
	s_delay_alu instid0(TRANS32_DEP_1) | instskip(NEXT) | instid1(VALU_DEP_1)
	v_fma_f64 v[42:43], -v[18:19], v[20:21], 1.0
	v_fmac_f64_e32 v[20:21], v[20:21], v[42:43]
	s_delay_alu instid0(VALU_DEP_1) | instskip(NEXT) | instid1(VALU_DEP_1)
	v_fma_f64 v[42:43], -v[18:19], v[20:21], 1.0
	v_fmac_f64_e32 v[20:21], v[20:21], v[42:43]
	s_delay_alu instid0(VALU_DEP_1) | instskip(NEXT) | instid1(VALU_DEP_1)
	v_mul_f64_e32 v[42:43], v[44:45], v[20:21]
	v_fma_f64 v[18:19], -v[18:19], v[42:43], v[44:45]
	s_delay_alu instid0(VALU_DEP_1) | instskip(NEXT) | instid1(VALU_DEP_1)
	v_div_fmas_f64 v[18:19], v[18:19], v[20:21], v[42:43]
	v_div_fixup_f64 v[18:19], v[18:19], v[12:13], v[10:11]
	s_delay_alu instid0(VALU_DEP_1) | instskip(NEXT) | instid1(VALU_DEP_1)
	v_fma_f64 v[20:21], v[10:11], v[18:19], v[12:13]
	v_div_scale_f64 v[42:43], null, v[20:21], v[20:21], 1.0
	v_div_scale_f64 v[48:49], vcc_lo, 1.0, v[20:21], 1.0
	s_delay_alu instid0(VALU_DEP_2) | instskip(SKIP_1) | instid1(TRANS32_DEP_1)
	v_rcp_f64_e32 v[44:45], v[42:43]
	v_nop
	v_fma_f64 v[46:47], -v[42:43], v[44:45], 1.0
	s_delay_alu instid0(VALU_DEP_1) | instskip(NEXT) | instid1(VALU_DEP_1)
	v_fmac_f64_e32 v[44:45], v[44:45], v[46:47]
	v_fma_f64 v[46:47], -v[42:43], v[44:45], 1.0
	s_delay_alu instid0(VALU_DEP_1) | instskip(NEXT) | instid1(VALU_DEP_1)
	v_fmac_f64_e32 v[44:45], v[44:45], v[46:47]
	v_mul_f64_e32 v[46:47], v[48:49], v[44:45]
	s_delay_alu instid0(VALU_DEP_1) | instskip(NEXT) | instid1(VALU_DEP_1)
	v_fma_f64 v[42:43], -v[42:43], v[46:47], v[48:49]
	v_div_fmas_f64 v[42:43], v[42:43], v[44:45], v[46:47]
	v_fma_f64 v[44:45], v[18:19], v[22:23], v[24:25]
	s_delay_alu instid0(VALU_DEP_2) | instskip(SKIP_1) | instid1(VALU_DEP_2)
	v_div_fixup_f64 v[20:21], v[42:43], v[20:21], 1.0
	v_fma_f64 v[42:43], v[18:19], v[24:25], -v[22:23]
	v_mul_f64_e32 v[18:19], v[44:45], v[20:21]
	s_delay_alu instid0(VALU_DEP_2)
	v_mul_f64_e32 v[20:21], v[42:43], v[20:21]
.LBB203_54:                             ;   in Loop: Header=BB203_3 Depth=1
	s_and_not1_b32 vcc_lo, exec_lo, s27
	s_cbranch_vccnz .LBB203_56
; %bb.55:                               ;   in Loop: Header=BB203_3 Depth=1
	v_div_scale_f64 v[18:19], null, v[10:11], v[10:11], v[12:13]
	v_div_scale_f64 v[44:45], vcc_lo, v[12:13], v[10:11], v[12:13]
	s_delay_alu instid0(VALU_DEP_2) | instskip(SKIP_1) | instid1(TRANS32_DEP_1)
	v_rcp_f64_e32 v[20:21], v[18:19]
	v_nop
	v_fma_f64 v[42:43], -v[18:19], v[20:21], 1.0
	s_delay_alu instid0(VALU_DEP_1) | instskip(NEXT) | instid1(VALU_DEP_1)
	v_fmac_f64_e32 v[20:21], v[20:21], v[42:43]
	v_fma_f64 v[42:43], -v[18:19], v[20:21], 1.0
	s_delay_alu instid0(VALU_DEP_1) | instskip(NEXT) | instid1(VALU_DEP_1)
	v_fmac_f64_e32 v[20:21], v[20:21], v[42:43]
	v_mul_f64_e32 v[42:43], v[44:45], v[20:21]
	s_delay_alu instid0(VALU_DEP_1) | instskip(NEXT) | instid1(VALU_DEP_1)
	v_fma_f64 v[18:19], -v[18:19], v[42:43], v[44:45]
	v_div_fmas_f64 v[18:19], v[18:19], v[20:21], v[42:43]
	s_delay_alu instid0(VALU_DEP_1) | instskip(NEXT) | instid1(VALU_DEP_1)
	v_div_fixup_f64 v[18:19], v[18:19], v[10:11], v[12:13]
	v_fmac_f64_e32 v[10:11], v[12:13], v[18:19]
	s_delay_alu instid0(VALU_DEP_1) | instskip(SKIP_1) | instid1(VALU_DEP_2)
	v_div_scale_f64 v[12:13], null, v[10:11], v[10:11], 1.0
	v_div_scale_f64 v[44:45], vcc_lo, 1.0, v[10:11], 1.0
	v_rcp_f64_e32 v[20:21], v[12:13]
	v_nop
	s_delay_alu instid0(TRANS32_DEP_1) | instskip(NEXT) | instid1(VALU_DEP_1)
	v_fma_f64 v[42:43], -v[12:13], v[20:21], 1.0
	v_fmac_f64_e32 v[20:21], v[20:21], v[42:43]
	s_delay_alu instid0(VALU_DEP_1) | instskip(NEXT) | instid1(VALU_DEP_1)
	v_fma_f64 v[42:43], -v[12:13], v[20:21], 1.0
	v_fmac_f64_e32 v[20:21], v[20:21], v[42:43]
	s_delay_alu instid0(VALU_DEP_1) | instskip(NEXT) | instid1(VALU_DEP_1)
	v_mul_f64_e32 v[42:43], v[44:45], v[20:21]
	v_fma_f64 v[12:13], -v[12:13], v[42:43], v[44:45]
	s_delay_alu instid0(VALU_DEP_1) | instskip(SKIP_1) | instid1(VALU_DEP_2)
	v_div_fmas_f64 v[12:13], v[12:13], v[20:21], v[42:43]
	v_fma_f64 v[20:21], v[18:19], v[24:25], v[22:23]
	v_div_fixup_f64 v[10:11], v[12:13], v[10:11], 1.0
	v_fma_f64 v[12:13], -v[18:19], v[22:23], v[24:25]
	s_delay_alu instid0(VALU_DEP_2) | instskip(NEXT) | instid1(VALU_DEP_2)
	v_mul_f64_e32 v[18:19], v[20:21], v[10:11]
	v_mul_f64_e32 v[20:21], v[12:13], v[10:11]
.LBB203_56:                             ;   in Loop: Header=BB203_3 Depth=1
	v_dual_mov_b32 v10, s47 :: v_dual_mov_b32 v22, s49
	ds_store_b128 v38, v[18:21]
	ds_load_b128 v[10:13], v10
	ds_load_b128 v[22:25], v22
	s_wait_dscnt 0x1
	v_mul_f64_e32 v[42:43], v[8:9], v[12:13]
	v_mul_f64_e32 v[44:45], v[6:7], v[12:13]
	s_delay_alu instid0(VALU_DEP_2) | instskip(NEXT) | instid1(VALU_DEP_2)
	v_dual_fma_f64 v[42:43], v[6:7], v[10:11], -v[42:43] :: v_dual_mov_b32 v6, s50
	v_fmac_f64_e32 v[44:45], v[8:9], v[10:11]
	ds_load_b128 v[10:13], v6
	s_wait_dscnt 0x1
	v_mul_f64_e32 v[46:47], v[16:17], v[24:25]
	v_dual_mul_f64 v[24:25], v[14:15], v[24:25] :: v_dual_mov_b32 v6, s51
	ds_load_b128 v[6:9], v6
	s_wait_dscnt 0x1
	v_mul_f64_e32 v[48:49], v[20:21], v[12:13]
	v_mul_f64_e32 v[12:13], v[18:19], v[12:13]
	v_add_f64_e64 v[2:3], v[2:3], -v[42:43]
	v_add_f64_e64 v[4:5], v[4:5], -v[44:45]
	s_wait_dscnt 0x0
	v_cmp_ngt_f64_e64 s27, |v[6:7]|, |v[8:9]|
	v_fma_f64 v[14:15], v[14:15], v[22:23], -v[46:47]
	v_fmac_f64_e32 v[24:25], v[16:17], v[22:23]
	v_fma_f64 v[16:17], v[18:19], v[10:11], -v[48:49]
	v_fmac_f64_e32 v[12:13], v[20:21], v[10:11]
	s_and_b32 vcc_lo, exec_lo, s27
	s_mov_b32 s27, -1
	s_delay_alu instid0(VALU_DEP_4) | instskip(NEXT) | instid1(VALU_DEP_4)
	v_add_f64_e64 v[2:3], v[2:3], -v[14:15]
	v_add_f64_e64 v[4:5], v[4:5], -v[24:25]
	s_delay_alu instid0(VALU_DEP_2) | instskip(NEXT) | instid1(VALU_DEP_2)
	v_add_f64_e64 v[10:11], v[2:3], -v[16:17]
	v_add_f64_e64 v[12:13], v[4:5], -v[12:13]
                                        ; implicit-def: $vgpr4_vgpr5
	s_cbranch_vccz .LBB203_58
; %bb.57:                               ;   in Loop: Header=BB203_3 Depth=1
	v_div_scale_f64 v[2:3], null, v[8:9], v[8:9], v[6:7]
	v_div_scale_f64 v[16:17], vcc_lo, v[6:7], v[8:9], v[6:7]
	s_mov_b32 s27, 0
	v_rcp_f64_e32 v[4:5], v[2:3]
	v_nop
	s_delay_alu instid0(TRANS32_DEP_1) | instskip(NEXT) | instid1(VALU_DEP_1)
	v_fma_f64 v[14:15], -v[2:3], v[4:5], 1.0
	v_fmac_f64_e32 v[4:5], v[4:5], v[14:15]
	s_delay_alu instid0(VALU_DEP_1) | instskip(NEXT) | instid1(VALU_DEP_1)
	v_fma_f64 v[14:15], -v[2:3], v[4:5], 1.0
	v_fmac_f64_e32 v[4:5], v[4:5], v[14:15]
	s_delay_alu instid0(VALU_DEP_1) | instskip(NEXT) | instid1(VALU_DEP_1)
	v_mul_f64_e32 v[14:15], v[16:17], v[4:5]
	v_fma_f64 v[2:3], -v[2:3], v[14:15], v[16:17]
	s_delay_alu instid0(VALU_DEP_1) | instskip(NEXT) | instid1(VALU_DEP_1)
	v_div_fmas_f64 v[2:3], v[2:3], v[4:5], v[14:15]
	v_div_fixup_f64 v[2:3], v[2:3], v[8:9], v[6:7]
	s_delay_alu instid0(VALU_DEP_1) | instskip(NEXT) | instid1(VALU_DEP_1)
	v_fma_f64 v[4:5], v[6:7], v[2:3], v[8:9]
	v_div_scale_f64 v[14:15], null, v[4:5], v[4:5], 1.0
	v_div_scale_f64 v[20:21], vcc_lo, 1.0, v[4:5], 1.0
	s_delay_alu instid0(VALU_DEP_2) | instskip(SKIP_1) | instid1(TRANS32_DEP_1)
	v_rcp_f64_e32 v[16:17], v[14:15]
	v_nop
	v_fma_f64 v[18:19], -v[14:15], v[16:17], 1.0
	s_delay_alu instid0(VALU_DEP_1) | instskip(NEXT) | instid1(VALU_DEP_1)
	v_fmac_f64_e32 v[16:17], v[16:17], v[18:19]
	v_fma_f64 v[18:19], -v[14:15], v[16:17], 1.0
	s_delay_alu instid0(VALU_DEP_1) | instskip(NEXT) | instid1(VALU_DEP_1)
	v_fmac_f64_e32 v[16:17], v[16:17], v[18:19]
	v_mul_f64_e32 v[18:19], v[20:21], v[16:17]
	s_delay_alu instid0(VALU_DEP_1) | instskip(NEXT) | instid1(VALU_DEP_1)
	v_fma_f64 v[14:15], -v[14:15], v[18:19], v[20:21]
	v_div_fmas_f64 v[14:15], v[14:15], v[16:17], v[18:19]
	v_fma_f64 v[16:17], v[2:3], v[10:11], v[12:13]
	s_delay_alu instid0(VALU_DEP_2) | instskip(SKIP_1) | instid1(VALU_DEP_2)
	v_div_fixup_f64 v[4:5], v[14:15], v[4:5], 1.0
	v_fma_f64 v[14:15], v[2:3], v[12:13], -v[10:11]
	v_mul_f64_e32 v[2:3], v[16:17], v[4:5]
	s_delay_alu instid0(VALU_DEP_2)
	v_mul_f64_e32 v[4:5], v[14:15], v[4:5]
.LBB203_58:                             ;   in Loop: Header=BB203_3 Depth=1
	s_and_not1_b32 vcc_lo, exec_lo, s27
	s_cbranch_vccnz .LBB203_60
; %bb.59:                               ;   in Loop: Header=BB203_3 Depth=1
	v_div_scale_f64 v[2:3], null, v[6:7], v[6:7], v[8:9]
	v_div_scale_f64 v[16:17], vcc_lo, v[8:9], v[6:7], v[8:9]
	s_delay_alu instid0(VALU_DEP_2) | instskip(SKIP_1) | instid1(TRANS32_DEP_1)
	v_rcp_f64_e32 v[4:5], v[2:3]
	v_nop
	v_fma_f64 v[14:15], -v[2:3], v[4:5], 1.0
	s_delay_alu instid0(VALU_DEP_1) | instskip(NEXT) | instid1(VALU_DEP_1)
	v_fmac_f64_e32 v[4:5], v[4:5], v[14:15]
	v_fma_f64 v[14:15], -v[2:3], v[4:5], 1.0
	s_delay_alu instid0(VALU_DEP_1) | instskip(NEXT) | instid1(VALU_DEP_1)
	v_fmac_f64_e32 v[4:5], v[4:5], v[14:15]
	v_mul_f64_e32 v[14:15], v[16:17], v[4:5]
	s_delay_alu instid0(VALU_DEP_1) | instskip(NEXT) | instid1(VALU_DEP_1)
	v_fma_f64 v[2:3], -v[2:3], v[14:15], v[16:17]
	v_div_fmas_f64 v[2:3], v[2:3], v[4:5], v[14:15]
	s_delay_alu instid0(VALU_DEP_1) | instskip(NEXT) | instid1(VALU_DEP_1)
	v_div_fixup_f64 v[2:3], v[2:3], v[6:7], v[8:9]
	v_fmac_f64_e32 v[6:7], v[8:9], v[2:3]
	s_delay_alu instid0(VALU_DEP_1) | instskip(SKIP_1) | instid1(VALU_DEP_2)
	v_div_scale_f64 v[4:5], null, v[6:7], v[6:7], 1.0
	v_div_scale_f64 v[16:17], vcc_lo, 1.0, v[6:7], 1.0
	v_rcp_f64_e32 v[8:9], v[4:5]
	v_nop
	s_delay_alu instid0(TRANS32_DEP_1) | instskip(NEXT) | instid1(VALU_DEP_1)
	v_fma_f64 v[14:15], -v[4:5], v[8:9], 1.0
	v_fmac_f64_e32 v[8:9], v[8:9], v[14:15]
	s_delay_alu instid0(VALU_DEP_1) | instskip(NEXT) | instid1(VALU_DEP_1)
	v_fma_f64 v[14:15], -v[4:5], v[8:9], 1.0
	v_fmac_f64_e32 v[8:9], v[8:9], v[14:15]
	s_delay_alu instid0(VALU_DEP_1) | instskip(NEXT) | instid1(VALU_DEP_1)
	v_mul_f64_e32 v[14:15], v[16:17], v[8:9]
	v_fma_f64 v[4:5], -v[4:5], v[14:15], v[16:17]
	s_delay_alu instid0(VALU_DEP_1) | instskip(SKIP_1) | instid1(VALU_DEP_2)
	v_div_fmas_f64 v[4:5], v[4:5], v[8:9], v[14:15]
	v_fma_f64 v[8:9], v[2:3], v[12:13], v[10:11]
	v_div_fixup_f64 v[4:5], v[4:5], v[6:7], 1.0
	v_fma_f64 v[6:7], -v[2:3], v[10:11], v[12:13]
	s_delay_alu instid0(VALU_DEP_2) | instskip(NEXT) | instid1(VALU_DEP_2)
	v_mul_f64_e32 v[2:3], v[8:9], v[4:5]
	v_mul_f64_e32 v[4:5], v[6:7], v[4:5]
.LBB203_60:                             ;   in Loop: Header=BB203_3 Depth=1
	s_mov_b32 s27, s52
	ds_store_b128 v39, v[2:5]
.LBB203_61:                             ;   in Loop: Header=BB203_3 Depth=1
	s_cmp_lt_i32 s27, 0
	s_cbranch_scc1 .LBB203_70
; %bb.62:                               ;   in Loop: Header=BB203_3 Depth=1
	s_lshl_b32 s28, s27, 4
	s_delay_alu instid0(SALU_CYCLE_1)
	s_add_co_i32 s28, s22, s28
	s_branch .LBB203_64
.LBB203_63:                             ;   in Loop: Header=BB203_64 Depth=2
	s_add_co_i32 s29, s27, -1
	s_add_co_i32 s28, s28, -16
	s_cmp_lt_i32 s27, 1
	s_mov_b32 s27, s29
	ds_store_b128 v14, v[10:13]
	s_cbranch_scc1 .LBB203_70
.LBB203_64:                             ;   Parent Loop BB203_3 Depth=1
                                        ; =>  This Loop Header: Depth=2
                                        ;       Child Loop BB203_65 Depth 3
	s_lshl_b32 s29, s27, 6
	s_cmp_le_i32 s35, s27
	v_dual_add_nc_u32 v14, s29, v34 :: v_dual_mov_b32 v6, v27
	s_mov_b32 s30, s28
	s_mov_b32 s31, s35
	ds_load_b128 v[2:5], v14
	s_cbranch_scc1 .LBB203_66
.LBB203_65:                             ;   Parent Loop BB203_3 Depth=1
                                        ;     Parent Loop BB203_64 Depth=2
                                        ; =>    This Inner Loop Header: Depth=3
	v_mov_b32_e32 v7, s30
	s_add_co_i32 s31, s31, -1
	s_sub_co_i32 s30, s30, 64
	s_cmp_le_i32 s31, s27
	ds_load_b128 v[8:11], v6
	ds_load_b128 v[16:19], v7
	v_subrev_nc_u32_e32 v6, 64, v6
	s_wait_dscnt 0x0
	v_mul_f64_e32 v[12:13], v[18:19], v[10:11]
	v_mul_f64_e32 v[10:11], v[16:17], v[10:11]
	s_delay_alu instid0(VALU_DEP_2) | instskip(NEXT) | instid1(VALU_DEP_2)
	v_fma_f64 v[12:13], v[16:17], v[8:9], -v[12:13]
	v_fmac_f64_e32 v[10:11], v[18:19], v[8:9]
	s_delay_alu instid0(VALU_DEP_2) | instskip(NEXT) | instid1(VALU_DEP_2)
	v_add_f64_e64 v[2:3], v[2:3], -v[12:13]
	v_add_f64_e64 v[4:5], v[4:5], -v[10:11]
	s_cbranch_scc0 .LBB203_65
.LBB203_66:                             ;   in Loop: Header=BB203_64 Depth=2
	s_lshl_b32 s30, s27, 4
                                        ; implicit-def: $vgpr10_vgpr11
	s_delay_alu instid0(SALU_CYCLE_1) | instskip(NEXT) | instid1(SALU_CYCLE_1)
	s_add_co_i32 s29, s30, s29
	v_mov_b32_e32 v6, s29
	ds_load_b128 v[6:9], v6
	s_wait_dscnt 0x0
	v_cmp_ngt_f64_e64 s29, |v[6:7]|, |v[8:9]|
	s_and_b32 vcc_lo, exec_lo, s29
	s_mov_b32 s29, -1
	s_cbranch_vccz .LBB203_68
; %bb.67:                               ;   in Loop: Header=BB203_64 Depth=2
	v_div_scale_f64 v[10:11], null, v[8:9], v[8:9], v[6:7]
	v_div_scale_f64 v[18:19], vcc_lo, v[6:7], v[8:9], v[6:7]
	s_mov_b32 s29, 0
	v_rcp_f64_e32 v[12:13], v[10:11]
	v_nop
	s_delay_alu instid0(TRANS32_DEP_1) | instskip(NEXT) | instid1(VALU_DEP_1)
	v_fma_f64 v[16:17], -v[10:11], v[12:13], 1.0
	v_fmac_f64_e32 v[12:13], v[12:13], v[16:17]
	s_delay_alu instid0(VALU_DEP_1) | instskip(NEXT) | instid1(VALU_DEP_1)
	v_fma_f64 v[16:17], -v[10:11], v[12:13], 1.0
	v_fmac_f64_e32 v[12:13], v[12:13], v[16:17]
	s_delay_alu instid0(VALU_DEP_1) | instskip(NEXT) | instid1(VALU_DEP_1)
	v_mul_f64_e32 v[16:17], v[18:19], v[12:13]
	v_fma_f64 v[10:11], -v[10:11], v[16:17], v[18:19]
	s_delay_alu instid0(VALU_DEP_1) | instskip(NEXT) | instid1(VALU_DEP_1)
	v_div_fmas_f64 v[10:11], v[10:11], v[12:13], v[16:17]
	v_div_fixup_f64 v[10:11], v[10:11], v[8:9], v[6:7]
	s_delay_alu instid0(VALU_DEP_1) | instskip(NEXT) | instid1(VALU_DEP_1)
	v_fma_f64 v[12:13], v[6:7], v[10:11], v[8:9]
	v_div_scale_f64 v[16:17], null, v[12:13], v[12:13], 1.0
	v_div_scale_f64 v[22:23], vcc_lo, 1.0, v[12:13], 1.0
	s_delay_alu instid0(VALU_DEP_2) | instskip(SKIP_1) | instid1(TRANS32_DEP_1)
	v_rcp_f64_e32 v[18:19], v[16:17]
	v_nop
	v_fma_f64 v[20:21], -v[16:17], v[18:19], 1.0
	s_delay_alu instid0(VALU_DEP_1) | instskip(NEXT) | instid1(VALU_DEP_1)
	v_fmac_f64_e32 v[18:19], v[18:19], v[20:21]
	v_fma_f64 v[20:21], -v[16:17], v[18:19], 1.0
	s_delay_alu instid0(VALU_DEP_1) | instskip(NEXT) | instid1(VALU_DEP_1)
	v_fmac_f64_e32 v[18:19], v[18:19], v[20:21]
	v_mul_f64_e32 v[20:21], v[22:23], v[18:19]
	s_delay_alu instid0(VALU_DEP_1) | instskip(NEXT) | instid1(VALU_DEP_1)
	v_fma_f64 v[16:17], -v[16:17], v[20:21], v[22:23]
	v_div_fmas_f64 v[16:17], v[16:17], v[18:19], v[20:21]
	v_fma_f64 v[18:19], v[2:3], v[10:11], v[4:5]
	s_delay_alu instid0(VALU_DEP_2) | instskip(SKIP_1) | instid1(VALU_DEP_2)
	v_div_fixup_f64 v[12:13], v[16:17], v[12:13], 1.0
	v_fma_f64 v[16:17], v[4:5], v[10:11], -v[2:3]
	v_mul_f64_e32 v[10:11], v[18:19], v[12:13]
	s_delay_alu instid0(VALU_DEP_2)
	v_mul_f64_e32 v[12:13], v[16:17], v[12:13]
.LBB203_68:                             ;   in Loop: Header=BB203_64 Depth=2
	s_and_not1_b32 vcc_lo, exec_lo, s29
	s_cbranch_vccnz .LBB203_63
; %bb.69:                               ;   in Loop: Header=BB203_64 Depth=2
	v_div_scale_f64 v[10:11], null, v[6:7], v[6:7], v[8:9]
	v_div_scale_f64 v[18:19], vcc_lo, v[8:9], v[6:7], v[8:9]
	s_delay_alu instid0(VALU_DEP_2) | instskip(SKIP_1) | instid1(TRANS32_DEP_1)
	v_rcp_f64_e32 v[12:13], v[10:11]
	v_nop
	v_fma_f64 v[16:17], -v[10:11], v[12:13], 1.0
	s_delay_alu instid0(VALU_DEP_1) | instskip(NEXT) | instid1(VALU_DEP_1)
	v_fmac_f64_e32 v[12:13], v[12:13], v[16:17]
	v_fma_f64 v[16:17], -v[10:11], v[12:13], 1.0
	s_delay_alu instid0(VALU_DEP_1) | instskip(NEXT) | instid1(VALU_DEP_1)
	v_fmac_f64_e32 v[12:13], v[12:13], v[16:17]
	v_mul_f64_e32 v[16:17], v[18:19], v[12:13]
	s_delay_alu instid0(VALU_DEP_1) | instskip(NEXT) | instid1(VALU_DEP_1)
	v_fma_f64 v[10:11], -v[10:11], v[16:17], v[18:19]
	v_div_fmas_f64 v[10:11], v[10:11], v[12:13], v[16:17]
	s_delay_alu instid0(VALU_DEP_1) | instskip(NEXT) | instid1(VALU_DEP_1)
	v_div_fixup_f64 v[10:11], v[10:11], v[6:7], v[8:9]
	v_fmac_f64_e32 v[6:7], v[8:9], v[10:11]
	s_delay_alu instid0(VALU_DEP_1) | instskip(SKIP_1) | instid1(VALU_DEP_2)
	v_div_scale_f64 v[8:9], null, v[6:7], v[6:7], 1.0
	v_div_scale_f64 v[18:19], vcc_lo, 1.0, v[6:7], 1.0
	v_rcp_f64_e32 v[12:13], v[8:9]
	v_nop
	s_delay_alu instid0(TRANS32_DEP_1) | instskip(NEXT) | instid1(VALU_DEP_1)
	v_fma_f64 v[16:17], -v[8:9], v[12:13], 1.0
	v_fmac_f64_e32 v[12:13], v[12:13], v[16:17]
	s_delay_alu instid0(VALU_DEP_1) | instskip(NEXT) | instid1(VALU_DEP_1)
	v_fma_f64 v[16:17], -v[8:9], v[12:13], 1.0
	v_fmac_f64_e32 v[12:13], v[12:13], v[16:17]
	s_delay_alu instid0(VALU_DEP_1) | instskip(NEXT) | instid1(VALU_DEP_1)
	v_mul_f64_e32 v[16:17], v[18:19], v[12:13]
	v_fma_f64 v[8:9], -v[8:9], v[16:17], v[18:19]
	s_delay_alu instid0(VALU_DEP_1) | instskip(SKIP_2) | instid1(VALU_DEP_3)
	v_div_fmas_f64 v[8:9], v[8:9], v[12:13], v[16:17]
	v_fma_f64 v[12:13], v[4:5], v[10:11], v[2:3]
	v_fma_f64 v[2:3], -v[2:3], v[10:11], v[4:5]
	v_div_fixup_f64 v[6:7], v[8:9], v[6:7], 1.0
	s_delay_alu instid0(VALU_DEP_1) | instskip(NEXT) | instid1(VALU_DEP_3)
	v_mul_f64_e32 v[10:11], v[12:13], v[6:7]
	v_mul_f64_e32 v[12:13], v[2:3], v[6:7]
	s_branch .LBB203_63
.LBB203_70:                             ;   in Loop: Header=BB203_3 Depth=1
	s_mov_b32 s27, 0
.LBB203_71:                             ;   in Loop: Header=BB203_3 Depth=1
	s_delay_alu instid0(SALU_CYCLE_1)
	s_and_not1_b32 vcc_lo, exec_lo, s27
	s_cbranch_vccnz .LBB203_99
; %bb.72:                               ;   in Loop: Header=BB203_3 Depth=1
	s_and_b32 vcc_lo, exec_lo, s37
	s_mov_b32 s27, s35
	s_cbranch_vccz .LBB203_90
; %bb.73:                               ;   in Loop: Header=BB203_3 Depth=1
	v_mov_b32_e32 v2, s36
                                        ; implicit-def: $vgpr8_vgpr9
	ds_load_b128 v[18:21], v2
	ds_load_b128 v[22:25], v36
	;; [unrolled: 1-line block ×5, first 2 shown]
	s_wait_dscnt 0x4
	v_cmp_ngt_f64_e64 s27, |v[18:19]|, |v[20:21]|
	s_and_b32 vcc_lo, exec_lo, s27
	s_mov_b32 s27, -1
	s_cbranch_vccz .LBB203_75
; %bb.74:                               ;   in Loop: Header=BB203_3 Depth=1
	v_div_scale_f64 v[6:7], null, v[20:21], v[20:21], v[18:19]
	v_div_scale_f64 v[44:45], vcc_lo, v[18:19], v[20:21], v[18:19]
	s_mov_b32 s27, 0
	v_rcp_f64_e32 v[8:9], v[6:7]
	v_nop
	s_delay_alu instid0(TRANS32_DEP_1) | instskip(NEXT) | instid1(VALU_DEP_1)
	v_fma_f64 v[42:43], -v[6:7], v[8:9], 1.0
	v_fmac_f64_e32 v[8:9], v[8:9], v[42:43]
	s_delay_alu instid0(VALU_DEP_1) | instskip(NEXT) | instid1(VALU_DEP_1)
	v_fma_f64 v[42:43], -v[6:7], v[8:9], 1.0
	v_fmac_f64_e32 v[8:9], v[8:9], v[42:43]
	s_delay_alu instid0(VALU_DEP_1) | instskip(NEXT) | instid1(VALU_DEP_1)
	v_mul_f64_e32 v[42:43], v[44:45], v[8:9]
	v_fma_f64 v[6:7], -v[6:7], v[42:43], v[44:45]
	s_delay_alu instid0(VALU_DEP_1) | instskip(NEXT) | instid1(VALU_DEP_1)
	v_div_fmas_f64 v[6:7], v[6:7], v[8:9], v[42:43]
	v_div_fixup_f64 v[6:7], v[6:7], v[20:21], v[18:19]
	s_delay_alu instid0(VALU_DEP_1) | instskip(NEXT) | instid1(VALU_DEP_1)
	v_fma_f64 v[8:9], v[18:19], v[6:7], v[20:21]
	v_div_scale_f64 v[42:43], null, v[8:9], v[8:9], 1.0
	v_div_scale_f64 v[48:49], vcc_lo, 1.0, v[8:9], 1.0
	s_delay_alu instid0(VALU_DEP_2) | instskip(SKIP_1) | instid1(TRANS32_DEP_1)
	v_rcp_f64_e32 v[44:45], v[42:43]
	v_nop
	v_fma_f64 v[46:47], -v[42:43], v[44:45], 1.0
	s_delay_alu instid0(VALU_DEP_1) | instskip(NEXT) | instid1(VALU_DEP_1)
	v_fmac_f64_e32 v[44:45], v[44:45], v[46:47]
	v_fma_f64 v[46:47], -v[42:43], v[44:45], 1.0
	s_delay_alu instid0(VALU_DEP_1) | instskip(NEXT) | instid1(VALU_DEP_1)
	v_fmac_f64_e32 v[44:45], v[44:45], v[46:47]
	v_mul_f64_e32 v[46:47], v[48:49], v[44:45]
	s_delay_alu instid0(VALU_DEP_1) | instskip(NEXT) | instid1(VALU_DEP_1)
	v_fma_f64 v[42:43], -v[42:43], v[46:47], v[48:49]
	v_div_fmas_f64 v[42:43], v[42:43], v[44:45], v[46:47]
	s_wait_dscnt 0x3
	v_fma_f64 v[44:45], v[22:23], v[6:7], v[24:25]
	s_delay_alu instid0(VALU_DEP_2) | instskip(SKIP_1) | instid1(VALU_DEP_2)
	v_div_fixup_f64 v[8:9], v[42:43], v[8:9], 1.0
	v_fma_f64 v[42:43], v[24:25], v[6:7], -v[22:23]
	v_mul_f64_e32 v[6:7], v[44:45], v[8:9]
	s_delay_alu instid0(VALU_DEP_2)
	v_mul_f64_e32 v[8:9], v[42:43], v[8:9]
.LBB203_75:                             ;   in Loop: Header=BB203_3 Depth=1
	s_and_not1_b32 vcc_lo, exec_lo, s27
	s_cbranch_vccnz .LBB203_77
; %bb.76:                               ;   in Loop: Header=BB203_3 Depth=1
	v_div_scale_f64 v[6:7], null, v[18:19], v[18:19], v[20:21]
	v_div_scale_f64 v[44:45], vcc_lo, v[20:21], v[18:19], v[20:21]
	s_delay_alu instid0(VALU_DEP_2) | instskip(SKIP_1) | instid1(TRANS32_DEP_1)
	v_rcp_f64_e32 v[8:9], v[6:7]
	v_nop
	v_fma_f64 v[42:43], -v[6:7], v[8:9], 1.0
	s_delay_alu instid0(VALU_DEP_1) | instskip(NEXT) | instid1(VALU_DEP_1)
	v_fmac_f64_e32 v[8:9], v[8:9], v[42:43]
	v_fma_f64 v[42:43], -v[6:7], v[8:9], 1.0
	s_delay_alu instid0(VALU_DEP_1) | instskip(NEXT) | instid1(VALU_DEP_1)
	v_fmac_f64_e32 v[8:9], v[8:9], v[42:43]
	v_mul_f64_e32 v[42:43], v[44:45], v[8:9]
	s_delay_alu instid0(VALU_DEP_1) | instskip(NEXT) | instid1(VALU_DEP_1)
	v_fma_f64 v[6:7], -v[6:7], v[42:43], v[44:45]
	v_div_fmas_f64 v[6:7], v[6:7], v[8:9], v[42:43]
	s_delay_alu instid0(VALU_DEP_1) | instskip(NEXT) | instid1(VALU_DEP_1)
	v_div_fixup_f64 v[6:7], v[6:7], v[18:19], v[20:21]
	v_fmac_f64_e32 v[18:19], v[20:21], v[6:7]
	s_delay_alu instid0(VALU_DEP_1) | instskip(SKIP_1) | instid1(VALU_DEP_2)
	v_div_scale_f64 v[8:9], null, v[18:19], v[18:19], 1.0
	v_div_scale_f64 v[44:45], vcc_lo, 1.0, v[18:19], 1.0
	v_rcp_f64_e32 v[20:21], v[8:9]
	v_nop
	s_delay_alu instid0(TRANS32_DEP_1) | instskip(NEXT) | instid1(VALU_DEP_1)
	v_fma_f64 v[42:43], -v[8:9], v[20:21], 1.0
	v_fmac_f64_e32 v[20:21], v[20:21], v[42:43]
	s_delay_alu instid0(VALU_DEP_1) | instskip(NEXT) | instid1(VALU_DEP_1)
	v_fma_f64 v[42:43], -v[8:9], v[20:21], 1.0
	v_fmac_f64_e32 v[20:21], v[20:21], v[42:43]
	s_delay_alu instid0(VALU_DEP_1) | instskip(NEXT) | instid1(VALU_DEP_1)
	v_mul_f64_e32 v[42:43], v[44:45], v[20:21]
	v_fma_f64 v[8:9], -v[8:9], v[42:43], v[44:45]
	s_delay_alu instid0(VALU_DEP_1) | instskip(SKIP_2) | instid1(VALU_DEP_2)
	v_div_fmas_f64 v[8:9], v[8:9], v[20:21], v[42:43]
	s_wait_dscnt 0x3
	v_fma_f64 v[20:21], v[24:25], v[6:7], v[22:23]
	v_div_fixup_f64 v[8:9], v[8:9], v[18:19], 1.0
	v_fma_f64 v[18:19], -v[22:23], v[6:7], v[24:25]
	s_delay_alu instid0(VALU_DEP_2) | instskip(NEXT) | instid1(VALU_DEP_2)
	v_mul_f64_e32 v[6:7], v[20:21], v[8:9]
	v_mul_f64_e32 v[8:9], v[18:19], v[8:9]
.LBB203_77:                             ;   in Loop: Header=BB203_3 Depth=1
	v_mov_b32_e32 v18, s53
	s_add_co_i32 s27, s39, s41
	ds_store_b128 v36, v[6:9]
	s_wait_dscnt 0x4
	ds_load_b128 v[22:25], v18
	s_wait_dscnt 0x0
	v_dual_mul_f64 v[42:43], v[8:9], v[24:25] :: v_dual_mov_b32 v18, s27
	v_mul_f64_e32 v[24:25], v[6:7], v[24:25]
	ds_load_b128 v[18:21], v18
	s_wait_dscnt 0x0
	v_cmp_ngt_f64_e64 s27, |v[18:19]|, |v[20:21]|
	v_fma_f64 v[42:43], v[6:7], v[22:23], -v[42:43]
	v_fmac_f64_e32 v[24:25], v[8:9], v[22:23]
	s_and_b32 vcc_lo, exec_lo, s27
	s_mov_b32 s27, -1
	s_delay_alu instid0(VALU_DEP_2) | instskip(NEXT) | instid1(VALU_DEP_2)
	v_add_f64_e64 v[22:23], v[14:15], -v[42:43]
	v_add_f64_e64 v[24:25], v[16:17], -v[24:25]
                                        ; implicit-def: $vgpr16_vgpr17
	s_cbranch_vccz .LBB203_79
; %bb.78:                               ;   in Loop: Header=BB203_3 Depth=1
	v_div_scale_f64 v[14:15], null, v[20:21], v[20:21], v[18:19]
	v_div_scale_f64 v[44:45], vcc_lo, v[18:19], v[20:21], v[18:19]
	s_mov_b32 s27, 0
	v_rcp_f64_e32 v[16:17], v[14:15]
	v_nop
	s_delay_alu instid0(TRANS32_DEP_1) | instskip(NEXT) | instid1(VALU_DEP_1)
	v_fma_f64 v[42:43], -v[14:15], v[16:17], 1.0
	v_fmac_f64_e32 v[16:17], v[16:17], v[42:43]
	s_delay_alu instid0(VALU_DEP_1) | instskip(NEXT) | instid1(VALU_DEP_1)
	v_fma_f64 v[42:43], -v[14:15], v[16:17], 1.0
	v_fmac_f64_e32 v[16:17], v[16:17], v[42:43]
	s_delay_alu instid0(VALU_DEP_1) | instskip(NEXT) | instid1(VALU_DEP_1)
	v_mul_f64_e32 v[42:43], v[44:45], v[16:17]
	v_fma_f64 v[14:15], -v[14:15], v[42:43], v[44:45]
	s_delay_alu instid0(VALU_DEP_1) | instskip(NEXT) | instid1(VALU_DEP_1)
	v_div_fmas_f64 v[14:15], v[14:15], v[16:17], v[42:43]
	v_div_fixup_f64 v[14:15], v[14:15], v[20:21], v[18:19]
	s_delay_alu instid0(VALU_DEP_1) | instskip(NEXT) | instid1(VALU_DEP_1)
	v_fma_f64 v[16:17], v[18:19], v[14:15], v[20:21]
	v_div_scale_f64 v[42:43], null, v[16:17], v[16:17], 1.0
	v_div_scale_f64 v[48:49], vcc_lo, 1.0, v[16:17], 1.0
	s_delay_alu instid0(VALU_DEP_2) | instskip(SKIP_1) | instid1(TRANS32_DEP_1)
	v_rcp_f64_e32 v[44:45], v[42:43]
	v_nop
	v_fma_f64 v[46:47], -v[42:43], v[44:45], 1.0
	s_delay_alu instid0(VALU_DEP_1) | instskip(NEXT) | instid1(VALU_DEP_1)
	v_fmac_f64_e32 v[44:45], v[44:45], v[46:47]
	v_fma_f64 v[46:47], -v[42:43], v[44:45], 1.0
	s_delay_alu instid0(VALU_DEP_1) | instskip(NEXT) | instid1(VALU_DEP_1)
	v_fmac_f64_e32 v[44:45], v[44:45], v[46:47]
	v_mul_f64_e32 v[46:47], v[48:49], v[44:45]
	s_delay_alu instid0(VALU_DEP_1) | instskip(NEXT) | instid1(VALU_DEP_1)
	v_fma_f64 v[42:43], -v[42:43], v[46:47], v[48:49]
	v_div_fmas_f64 v[42:43], v[42:43], v[44:45], v[46:47]
	v_fma_f64 v[44:45], v[14:15], v[22:23], v[24:25]
	s_delay_alu instid0(VALU_DEP_2) | instskip(SKIP_1) | instid1(VALU_DEP_2)
	v_div_fixup_f64 v[16:17], v[42:43], v[16:17], 1.0
	v_fma_f64 v[42:43], v[14:15], v[24:25], -v[22:23]
	v_mul_f64_e32 v[14:15], v[44:45], v[16:17]
	s_delay_alu instid0(VALU_DEP_2)
	v_mul_f64_e32 v[16:17], v[42:43], v[16:17]
.LBB203_79:                             ;   in Loop: Header=BB203_3 Depth=1
	s_and_not1_b32 vcc_lo, exec_lo, s27
	s_cbranch_vccnz .LBB203_81
; %bb.80:                               ;   in Loop: Header=BB203_3 Depth=1
	v_div_scale_f64 v[14:15], null, v[18:19], v[18:19], v[20:21]
	v_div_scale_f64 v[44:45], vcc_lo, v[20:21], v[18:19], v[20:21]
	s_delay_alu instid0(VALU_DEP_2) | instskip(SKIP_1) | instid1(TRANS32_DEP_1)
	v_rcp_f64_e32 v[16:17], v[14:15]
	v_nop
	v_fma_f64 v[42:43], -v[14:15], v[16:17], 1.0
	s_delay_alu instid0(VALU_DEP_1) | instskip(NEXT) | instid1(VALU_DEP_1)
	v_fmac_f64_e32 v[16:17], v[16:17], v[42:43]
	v_fma_f64 v[42:43], -v[14:15], v[16:17], 1.0
	s_delay_alu instid0(VALU_DEP_1) | instskip(NEXT) | instid1(VALU_DEP_1)
	v_fmac_f64_e32 v[16:17], v[16:17], v[42:43]
	v_mul_f64_e32 v[42:43], v[44:45], v[16:17]
	s_delay_alu instid0(VALU_DEP_1) | instskip(NEXT) | instid1(VALU_DEP_1)
	v_fma_f64 v[14:15], -v[14:15], v[42:43], v[44:45]
	v_div_fmas_f64 v[14:15], v[14:15], v[16:17], v[42:43]
	s_delay_alu instid0(VALU_DEP_1) | instskip(NEXT) | instid1(VALU_DEP_1)
	v_div_fixup_f64 v[14:15], v[14:15], v[18:19], v[20:21]
	v_fmac_f64_e32 v[18:19], v[20:21], v[14:15]
	s_delay_alu instid0(VALU_DEP_1) | instskip(SKIP_1) | instid1(VALU_DEP_2)
	v_div_scale_f64 v[16:17], null, v[18:19], v[18:19], 1.0
	v_div_scale_f64 v[44:45], vcc_lo, 1.0, v[18:19], 1.0
	v_rcp_f64_e32 v[20:21], v[16:17]
	v_nop
	s_delay_alu instid0(TRANS32_DEP_1) | instskip(NEXT) | instid1(VALU_DEP_1)
	v_fma_f64 v[42:43], -v[16:17], v[20:21], 1.0
	v_fmac_f64_e32 v[20:21], v[20:21], v[42:43]
	s_delay_alu instid0(VALU_DEP_1) | instskip(NEXT) | instid1(VALU_DEP_1)
	v_fma_f64 v[42:43], -v[16:17], v[20:21], 1.0
	v_fmac_f64_e32 v[20:21], v[20:21], v[42:43]
	s_delay_alu instid0(VALU_DEP_1) | instskip(NEXT) | instid1(VALU_DEP_1)
	v_mul_f64_e32 v[42:43], v[44:45], v[20:21]
	v_fma_f64 v[16:17], -v[16:17], v[42:43], v[44:45]
	s_delay_alu instid0(VALU_DEP_1) | instskip(SKIP_1) | instid1(VALU_DEP_2)
	v_div_fmas_f64 v[16:17], v[16:17], v[20:21], v[42:43]
	v_fma_f64 v[20:21], v[14:15], v[24:25], v[22:23]
	v_div_fixup_f64 v[16:17], v[16:17], v[18:19], 1.0
	v_fma_f64 v[18:19], -v[14:15], v[22:23], v[24:25]
	s_delay_alu instid0(VALU_DEP_2) | instskip(NEXT) | instid1(VALU_DEP_2)
	v_mul_f64_e32 v[14:15], v[20:21], v[16:17]
	v_mul_f64_e32 v[16:17], v[18:19], v[16:17]
.LBB203_81:                             ;   in Loop: Header=BB203_3 Depth=1
	v_dual_mov_b32 v18, s54 :: v_dual_mov_b32 v22, s55
	s_add_co_i32 s27, s40, s43
	ds_store_b128 v37, v[14:17]
	ds_load_b128 v[18:21], v18
	ds_load_b128 v[22:25], v22
	s_wait_dscnt 0x1
	v_mul_f64_e32 v[42:43], v[8:9], v[20:21]
	v_mul_f64_e32 v[20:21], v[6:7], v[20:21]
	s_wait_dscnt 0x0
	v_mul_f64_e32 v[44:45], v[16:17], v[24:25]
	v_mul_f64_e32 v[24:25], v[14:15], v[24:25]
	s_delay_alu instid0(VALU_DEP_4) | instskip(NEXT) | instid1(VALU_DEP_4)
	v_fma_f64 v[42:43], v[6:7], v[18:19], -v[42:43]
	v_fmac_f64_e32 v[20:21], v[8:9], v[18:19]
	s_delay_alu instid0(VALU_DEP_4) | instskip(NEXT) | instid1(VALU_DEP_4)
	v_fma_f64 v[18:19], v[14:15], v[22:23], -v[44:45]
	v_fmac_f64_e32 v[24:25], v[16:17], v[22:23]
	s_delay_alu instid0(VALU_DEP_4) | instskip(NEXT) | instid1(VALU_DEP_4)
	v_add_f64_e64 v[22:23], v[10:11], -v[42:43]
	v_dual_add_f64 v[20:21], v[12:13], -v[20:21] :: v_dual_mov_b32 v10, s27
	ds_load_b128 v[10:13], v10
	s_wait_dscnt 0x0
	v_cmp_ngt_f64_e64 s27, |v[10:11]|, |v[12:13]|
	v_add_f64_e64 v[22:23], v[22:23], -v[18:19]
	v_add_f64_e64 v[24:25], v[20:21], -v[24:25]
                                        ; implicit-def: $vgpr20_vgpr21
	s_and_b32 vcc_lo, exec_lo, s27
	s_mov_b32 s27, -1
	s_cbranch_vccz .LBB203_83
; %bb.82:                               ;   in Loop: Header=BB203_3 Depth=1
	v_div_scale_f64 v[18:19], null, v[12:13], v[12:13], v[10:11]
	v_div_scale_f64 v[44:45], vcc_lo, v[10:11], v[12:13], v[10:11]
	s_mov_b32 s27, 0
	v_rcp_f64_e32 v[20:21], v[18:19]
	v_nop
	s_delay_alu instid0(TRANS32_DEP_1) | instskip(NEXT) | instid1(VALU_DEP_1)
	v_fma_f64 v[42:43], -v[18:19], v[20:21], 1.0
	v_fmac_f64_e32 v[20:21], v[20:21], v[42:43]
	s_delay_alu instid0(VALU_DEP_1) | instskip(NEXT) | instid1(VALU_DEP_1)
	v_fma_f64 v[42:43], -v[18:19], v[20:21], 1.0
	v_fmac_f64_e32 v[20:21], v[20:21], v[42:43]
	s_delay_alu instid0(VALU_DEP_1) | instskip(NEXT) | instid1(VALU_DEP_1)
	v_mul_f64_e32 v[42:43], v[44:45], v[20:21]
	v_fma_f64 v[18:19], -v[18:19], v[42:43], v[44:45]
	s_delay_alu instid0(VALU_DEP_1) | instskip(NEXT) | instid1(VALU_DEP_1)
	v_div_fmas_f64 v[18:19], v[18:19], v[20:21], v[42:43]
	v_div_fixup_f64 v[18:19], v[18:19], v[12:13], v[10:11]
	s_delay_alu instid0(VALU_DEP_1) | instskip(NEXT) | instid1(VALU_DEP_1)
	v_fma_f64 v[20:21], v[10:11], v[18:19], v[12:13]
	v_div_scale_f64 v[42:43], null, v[20:21], v[20:21], 1.0
	v_div_scale_f64 v[48:49], vcc_lo, 1.0, v[20:21], 1.0
	s_delay_alu instid0(VALU_DEP_2) | instskip(SKIP_1) | instid1(TRANS32_DEP_1)
	v_rcp_f64_e32 v[44:45], v[42:43]
	v_nop
	v_fma_f64 v[46:47], -v[42:43], v[44:45], 1.0
	s_delay_alu instid0(VALU_DEP_1) | instskip(NEXT) | instid1(VALU_DEP_1)
	v_fmac_f64_e32 v[44:45], v[44:45], v[46:47]
	v_fma_f64 v[46:47], -v[42:43], v[44:45], 1.0
	s_delay_alu instid0(VALU_DEP_1) | instskip(NEXT) | instid1(VALU_DEP_1)
	v_fmac_f64_e32 v[44:45], v[44:45], v[46:47]
	v_mul_f64_e32 v[46:47], v[48:49], v[44:45]
	s_delay_alu instid0(VALU_DEP_1) | instskip(NEXT) | instid1(VALU_DEP_1)
	v_fma_f64 v[42:43], -v[42:43], v[46:47], v[48:49]
	v_div_fmas_f64 v[42:43], v[42:43], v[44:45], v[46:47]
	v_fma_f64 v[44:45], v[18:19], v[22:23], v[24:25]
	s_delay_alu instid0(VALU_DEP_2) | instskip(SKIP_1) | instid1(VALU_DEP_2)
	v_div_fixup_f64 v[20:21], v[42:43], v[20:21], 1.0
	v_fma_f64 v[42:43], v[18:19], v[24:25], -v[22:23]
	v_mul_f64_e32 v[18:19], v[44:45], v[20:21]
	s_delay_alu instid0(VALU_DEP_2)
	v_mul_f64_e32 v[20:21], v[42:43], v[20:21]
.LBB203_83:                             ;   in Loop: Header=BB203_3 Depth=1
	s_and_not1_b32 vcc_lo, exec_lo, s27
	s_cbranch_vccnz .LBB203_85
; %bb.84:                               ;   in Loop: Header=BB203_3 Depth=1
	v_div_scale_f64 v[18:19], null, v[10:11], v[10:11], v[12:13]
	v_div_scale_f64 v[44:45], vcc_lo, v[12:13], v[10:11], v[12:13]
	s_delay_alu instid0(VALU_DEP_2) | instskip(SKIP_1) | instid1(TRANS32_DEP_1)
	v_rcp_f64_e32 v[20:21], v[18:19]
	v_nop
	v_fma_f64 v[42:43], -v[18:19], v[20:21], 1.0
	s_delay_alu instid0(VALU_DEP_1) | instskip(NEXT) | instid1(VALU_DEP_1)
	v_fmac_f64_e32 v[20:21], v[20:21], v[42:43]
	v_fma_f64 v[42:43], -v[18:19], v[20:21], 1.0
	s_delay_alu instid0(VALU_DEP_1) | instskip(NEXT) | instid1(VALU_DEP_1)
	v_fmac_f64_e32 v[20:21], v[20:21], v[42:43]
	v_mul_f64_e32 v[42:43], v[44:45], v[20:21]
	s_delay_alu instid0(VALU_DEP_1) | instskip(NEXT) | instid1(VALU_DEP_1)
	v_fma_f64 v[18:19], -v[18:19], v[42:43], v[44:45]
	v_div_fmas_f64 v[18:19], v[18:19], v[20:21], v[42:43]
	s_delay_alu instid0(VALU_DEP_1) | instskip(NEXT) | instid1(VALU_DEP_1)
	v_div_fixup_f64 v[18:19], v[18:19], v[10:11], v[12:13]
	v_fmac_f64_e32 v[10:11], v[12:13], v[18:19]
	s_delay_alu instid0(VALU_DEP_1) | instskip(SKIP_1) | instid1(VALU_DEP_2)
	v_div_scale_f64 v[12:13], null, v[10:11], v[10:11], 1.0
	v_div_scale_f64 v[44:45], vcc_lo, 1.0, v[10:11], 1.0
	v_rcp_f64_e32 v[20:21], v[12:13]
	v_nop
	s_delay_alu instid0(TRANS32_DEP_1) | instskip(NEXT) | instid1(VALU_DEP_1)
	v_fma_f64 v[42:43], -v[12:13], v[20:21], 1.0
	v_fmac_f64_e32 v[20:21], v[20:21], v[42:43]
	s_delay_alu instid0(VALU_DEP_1) | instskip(NEXT) | instid1(VALU_DEP_1)
	v_fma_f64 v[42:43], -v[12:13], v[20:21], 1.0
	v_fmac_f64_e32 v[20:21], v[20:21], v[42:43]
	s_delay_alu instid0(VALU_DEP_1) | instskip(NEXT) | instid1(VALU_DEP_1)
	v_mul_f64_e32 v[42:43], v[44:45], v[20:21]
	v_fma_f64 v[12:13], -v[12:13], v[42:43], v[44:45]
	s_delay_alu instid0(VALU_DEP_1) | instskip(SKIP_1) | instid1(VALU_DEP_2)
	v_div_fmas_f64 v[12:13], v[12:13], v[20:21], v[42:43]
	v_fma_f64 v[20:21], v[18:19], v[24:25], v[22:23]
	v_div_fixup_f64 v[10:11], v[12:13], v[10:11], 1.0
	v_fma_f64 v[12:13], -v[18:19], v[22:23], v[24:25]
	s_delay_alu instid0(VALU_DEP_2) | instskip(NEXT) | instid1(VALU_DEP_2)
	v_mul_f64_e32 v[18:19], v[20:21], v[10:11]
	v_mul_f64_e32 v[20:21], v[12:13], v[10:11]
.LBB203_85:                             ;   in Loop: Header=BB203_3 Depth=1
	v_dual_mov_b32 v10, s56 :: v_dual_mov_b32 v22, s20
	ds_store_b128 v38, v[18:21]
	ds_load_b128 v[10:13], v10
	ds_load_b128 v[22:25], v22
	s_wait_dscnt 0x1
	v_mul_f64_e32 v[42:43], v[8:9], v[12:13]
	v_mul_f64_e32 v[44:45], v[6:7], v[12:13]
	s_delay_alu instid0(VALU_DEP_2) | instskip(NEXT) | instid1(VALU_DEP_2)
	v_dual_fma_f64 v[42:43], v[6:7], v[10:11], -v[42:43] :: v_dual_mov_b32 v6, s21
	v_fmac_f64_e32 v[44:45], v[8:9], v[10:11]
	ds_load_b128 v[10:13], v6
	s_wait_dscnt 0x1
	v_mul_f64_e32 v[46:47], v[16:17], v[24:25]
	v_dual_mul_f64 v[24:25], v[14:15], v[24:25] :: v_dual_mov_b32 v6, s26
	ds_load_b128 v[6:9], v6
	s_wait_dscnt 0x1
	v_mul_f64_e32 v[48:49], v[20:21], v[12:13]
	v_mul_f64_e32 v[12:13], v[18:19], v[12:13]
	v_add_f64_e64 v[2:3], v[2:3], -v[42:43]
	v_add_f64_e64 v[4:5], v[4:5], -v[44:45]
	s_wait_dscnt 0x0
	v_cmp_ngt_f64_e64 s27, |v[6:7]|, |v[8:9]|
	v_fma_f64 v[14:15], v[14:15], v[22:23], -v[46:47]
	v_fmac_f64_e32 v[24:25], v[16:17], v[22:23]
	v_fma_f64 v[16:17], v[18:19], v[10:11], -v[48:49]
	v_fmac_f64_e32 v[12:13], v[20:21], v[10:11]
	s_and_b32 vcc_lo, exec_lo, s27
	s_mov_b32 s27, -1
	s_delay_alu instid0(VALU_DEP_4) | instskip(NEXT) | instid1(VALU_DEP_4)
	v_add_f64_e64 v[2:3], v[2:3], -v[14:15]
	v_add_f64_e64 v[4:5], v[4:5], -v[24:25]
	s_delay_alu instid0(VALU_DEP_2) | instskip(NEXT) | instid1(VALU_DEP_2)
	v_add_f64_e64 v[10:11], v[2:3], -v[16:17]
	v_add_f64_e64 v[12:13], v[4:5], -v[12:13]
                                        ; implicit-def: $vgpr4_vgpr5
	s_cbranch_vccz .LBB203_87
; %bb.86:                               ;   in Loop: Header=BB203_3 Depth=1
	v_div_scale_f64 v[2:3], null, v[8:9], v[8:9], v[6:7]
	v_div_scale_f64 v[16:17], vcc_lo, v[6:7], v[8:9], v[6:7]
	s_mov_b32 s27, 0
	v_rcp_f64_e32 v[4:5], v[2:3]
	v_nop
	s_delay_alu instid0(TRANS32_DEP_1) | instskip(NEXT) | instid1(VALU_DEP_1)
	v_fma_f64 v[14:15], -v[2:3], v[4:5], 1.0
	v_fmac_f64_e32 v[4:5], v[4:5], v[14:15]
	s_delay_alu instid0(VALU_DEP_1) | instskip(NEXT) | instid1(VALU_DEP_1)
	v_fma_f64 v[14:15], -v[2:3], v[4:5], 1.0
	v_fmac_f64_e32 v[4:5], v[4:5], v[14:15]
	s_delay_alu instid0(VALU_DEP_1) | instskip(NEXT) | instid1(VALU_DEP_1)
	v_mul_f64_e32 v[14:15], v[16:17], v[4:5]
	v_fma_f64 v[2:3], -v[2:3], v[14:15], v[16:17]
	s_delay_alu instid0(VALU_DEP_1) | instskip(NEXT) | instid1(VALU_DEP_1)
	v_div_fmas_f64 v[2:3], v[2:3], v[4:5], v[14:15]
	v_div_fixup_f64 v[2:3], v[2:3], v[8:9], v[6:7]
	s_delay_alu instid0(VALU_DEP_1) | instskip(NEXT) | instid1(VALU_DEP_1)
	v_fma_f64 v[4:5], v[6:7], v[2:3], v[8:9]
	v_div_scale_f64 v[14:15], null, v[4:5], v[4:5], 1.0
	v_div_scale_f64 v[20:21], vcc_lo, 1.0, v[4:5], 1.0
	s_delay_alu instid0(VALU_DEP_2) | instskip(SKIP_1) | instid1(TRANS32_DEP_1)
	v_rcp_f64_e32 v[16:17], v[14:15]
	v_nop
	v_fma_f64 v[18:19], -v[14:15], v[16:17], 1.0
	s_delay_alu instid0(VALU_DEP_1) | instskip(NEXT) | instid1(VALU_DEP_1)
	v_fmac_f64_e32 v[16:17], v[16:17], v[18:19]
	v_fma_f64 v[18:19], -v[14:15], v[16:17], 1.0
	s_delay_alu instid0(VALU_DEP_1) | instskip(NEXT) | instid1(VALU_DEP_1)
	v_fmac_f64_e32 v[16:17], v[16:17], v[18:19]
	v_mul_f64_e32 v[18:19], v[20:21], v[16:17]
	s_delay_alu instid0(VALU_DEP_1) | instskip(NEXT) | instid1(VALU_DEP_1)
	v_fma_f64 v[14:15], -v[14:15], v[18:19], v[20:21]
	v_div_fmas_f64 v[14:15], v[14:15], v[16:17], v[18:19]
	v_fma_f64 v[16:17], v[2:3], v[10:11], v[12:13]
	s_delay_alu instid0(VALU_DEP_2) | instskip(SKIP_1) | instid1(VALU_DEP_2)
	v_div_fixup_f64 v[4:5], v[14:15], v[4:5], 1.0
	v_fma_f64 v[14:15], v[2:3], v[12:13], -v[10:11]
	v_mul_f64_e32 v[2:3], v[16:17], v[4:5]
	s_delay_alu instid0(VALU_DEP_2)
	v_mul_f64_e32 v[4:5], v[14:15], v[4:5]
.LBB203_87:                             ;   in Loop: Header=BB203_3 Depth=1
	s_and_not1_b32 vcc_lo, exec_lo, s27
	s_cbranch_vccnz .LBB203_89
; %bb.88:                               ;   in Loop: Header=BB203_3 Depth=1
	v_div_scale_f64 v[2:3], null, v[6:7], v[6:7], v[8:9]
	v_div_scale_f64 v[16:17], vcc_lo, v[8:9], v[6:7], v[8:9]
	s_delay_alu instid0(VALU_DEP_2) | instskip(SKIP_1) | instid1(TRANS32_DEP_1)
	v_rcp_f64_e32 v[4:5], v[2:3]
	v_nop
	v_fma_f64 v[14:15], -v[2:3], v[4:5], 1.0
	s_delay_alu instid0(VALU_DEP_1) | instskip(NEXT) | instid1(VALU_DEP_1)
	v_fmac_f64_e32 v[4:5], v[4:5], v[14:15]
	v_fma_f64 v[14:15], -v[2:3], v[4:5], 1.0
	s_delay_alu instid0(VALU_DEP_1) | instskip(NEXT) | instid1(VALU_DEP_1)
	v_fmac_f64_e32 v[4:5], v[4:5], v[14:15]
	v_mul_f64_e32 v[14:15], v[16:17], v[4:5]
	s_delay_alu instid0(VALU_DEP_1) | instskip(NEXT) | instid1(VALU_DEP_1)
	v_fma_f64 v[2:3], -v[2:3], v[14:15], v[16:17]
	v_div_fmas_f64 v[2:3], v[2:3], v[4:5], v[14:15]
	s_delay_alu instid0(VALU_DEP_1) | instskip(NEXT) | instid1(VALU_DEP_1)
	v_div_fixup_f64 v[2:3], v[2:3], v[6:7], v[8:9]
	v_fmac_f64_e32 v[6:7], v[8:9], v[2:3]
	s_delay_alu instid0(VALU_DEP_1) | instskip(SKIP_1) | instid1(VALU_DEP_2)
	v_div_scale_f64 v[4:5], null, v[6:7], v[6:7], 1.0
	v_div_scale_f64 v[16:17], vcc_lo, 1.0, v[6:7], 1.0
	v_rcp_f64_e32 v[8:9], v[4:5]
	v_nop
	s_delay_alu instid0(TRANS32_DEP_1) | instskip(NEXT) | instid1(VALU_DEP_1)
	v_fma_f64 v[14:15], -v[4:5], v[8:9], 1.0
	v_fmac_f64_e32 v[8:9], v[8:9], v[14:15]
	s_delay_alu instid0(VALU_DEP_1) | instskip(NEXT) | instid1(VALU_DEP_1)
	v_fma_f64 v[14:15], -v[4:5], v[8:9], 1.0
	v_fmac_f64_e32 v[8:9], v[8:9], v[14:15]
	s_delay_alu instid0(VALU_DEP_1) | instskip(NEXT) | instid1(VALU_DEP_1)
	v_mul_f64_e32 v[14:15], v[16:17], v[8:9]
	v_fma_f64 v[4:5], -v[4:5], v[14:15], v[16:17]
	s_delay_alu instid0(VALU_DEP_1) | instskip(SKIP_1) | instid1(VALU_DEP_2)
	v_div_fmas_f64 v[4:5], v[4:5], v[8:9], v[14:15]
	v_fma_f64 v[8:9], v[2:3], v[12:13], v[10:11]
	v_div_fixup_f64 v[4:5], v[4:5], v[6:7], 1.0
	v_fma_f64 v[6:7], -v[2:3], v[10:11], v[12:13]
	s_delay_alu instid0(VALU_DEP_2) | instskip(NEXT) | instid1(VALU_DEP_2)
	v_mul_f64_e32 v[2:3], v[8:9], v[4:5]
	v_mul_f64_e32 v[4:5], v[6:7], v[4:5]
.LBB203_89:                             ;   in Loop: Header=BB203_3 Depth=1
	s_mov_b32 s27, s52
	ds_store_b128 v39, v[2:5]
.LBB203_90:                             ;   in Loop: Header=BB203_3 Depth=1
	s_cmp_lt_i32 s27, 0
	s_cbranch_scc1 .LBB203_99
; %bb.91:                               ;   in Loop: Header=BB203_3 Depth=1
	s_lshl_b32 s28, s27, 6
	s_delay_alu instid0(SALU_CYCLE_1)
	s_add_co_i32 s28, s23, s28
	s_branch .LBB203_93
.LBB203_92:                             ;   in Loop: Header=BB203_93 Depth=2
	v_sub_co_u32 v2, s29, s27, 1
	s_and_b32 vcc_lo, exec_lo, s29
	s_sub_co_i32 s28, s28, 64
	ds_store_b128 v14, v[10:13]
	v_readfirstlane_b32 s27, v2
	s_cbranch_vccnz .LBB203_99
.LBB203_93:                             ;   Parent Loop BB203_3 Depth=1
                                        ; =>  This Loop Header: Depth=2
                                        ;       Child Loop BB203_94 Depth 3
	v_lshl_add_u32 v14, s27, 6, v34
	v_mov_b32_e32 v6, v27
	s_cmp_le_i32 s35, s27
	s_mov_b32 s29, s28
	s_mov_b32 s30, s35
	ds_load_b128 v[2:5], v14
	s_cbranch_scc1 .LBB203_95
.LBB203_94:                             ;   Parent Loop BB203_3 Depth=1
                                        ;     Parent Loop BB203_93 Depth=2
                                        ; =>    This Inner Loop Header: Depth=3
	v_mov_b32_e32 v7, s29
	s_add_co_i32 s30, s30, -1
	s_add_co_i32 s29, s29, -16
	s_cmp_le_u32 s30, s27
	ds_load_b128 v[8:11], v6
	ds_load_b128 v[16:19], v7
	v_subrev_nc_u32_e32 v6, 64, v6
	s_wait_dscnt 0x0
	v_mul_f64_e32 v[12:13], v[18:19], v[10:11]
	v_mul_f64_e32 v[10:11], v[16:17], v[10:11]
	s_delay_alu instid0(VALU_DEP_2) | instskip(NEXT) | instid1(VALU_DEP_2)
	v_fma_f64 v[12:13], v[16:17], v[8:9], -v[12:13]
	v_fmac_f64_e32 v[10:11], v[18:19], v[8:9]
	s_delay_alu instid0(VALU_DEP_2) | instskip(NEXT) | instid1(VALU_DEP_2)
	v_add_f64_e64 v[2:3], v[2:3], -v[12:13]
	v_add_f64_e64 v[4:5], v[4:5], -v[10:11]
	s_cbranch_scc0 .LBB203_94
.LBB203_95:                             ;   in Loop: Header=BB203_93 Depth=2
	s_mul_i32 s29, s27, 0x50
                                        ; implicit-def: $vgpr10_vgpr11
	s_delay_alu instid0(SALU_CYCLE_1)
	v_mov_b32_e32 v6, s29
	ds_load_b128 v[6:9], v6
	s_wait_dscnt 0x0
	v_cmp_ngt_f64_e64 s29, |v[6:7]|, |v[8:9]|
	s_and_b32 vcc_lo, exec_lo, s29
	s_mov_b32 s29, -1
	s_cbranch_vccz .LBB203_97
; %bb.96:                               ;   in Loop: Header=BB203_93 Depth=2
	v_div_scale_f64 v[10:11], null, v[8:9], v[8:9], v[6:7]
	v_div_scale_f64 v[18:19], vcc_lo, v[6:7], v[8:9], v[6:7]
	s_mov_b32 s29, 0
	v_rcp_f64_e32 v[12:13], v[10:11]
	v_nop
	s_delay_alu instid0(TRANS32_DEP_1) | instskip(NEXT) | instid1(VALU_DEP_1)
	v_fma_f64 v[16:17], -v[10:11], v[12:13], 1.0
	v_fmac_f64_e32 v[12:13], v[12:13], v[16:17]
	s_delay_alu instid0(VALU_DEP_1) | instskip(NEXT) | instid1(VALU_DEP_1)
	v_fma_f64 v[16:17], -v[10:11], v[12:13], 1.0
	v_fmac_f64_e32 v[12:13], v[12:13], v[16:17]
	s_delay_alu instid0(VALU_DEP_1) | instskip(NEXT) | instid1(VALU_DEP_1)
	v_mul_f64_e32 v[16:17], v[18:19], v[12:13]
	v_fma_f64 v[10:11], -v[10:11], v[16:17], v[18:19]
	s_delay_alu instid0(VALU_DEP_1) | instskip(NEXT) | instid1(VALU_DEP_1)
	v_div_fmas_f64 v[10:11], v[10:11], v[12:13], v[16:17]
	v_div_fixup_f64 v[10:11], v[10:11], v[8:9], v[6:7]
	s_delay_alu instid0(VALU_DEP_1) | instskip(NEXT) | instid1(VALU_DEP_1)
	v_fma_f64 v[12:13], v[6:7], v[10:11], v[8:9]
	v_div_scale_f64 v[16:17], null, v[12:13], v[12:13], 1.0
	v_div_scale_f64 v[22:23], vcc_lo, 1.0, v[12:13], 1.0
	s_delay_alu instid0(VALU_DEP_2) | instskip(SKIP_1) | instid1(TRANS32_DEP_1)
	v_rcp_f64_e32 v[18:19], v[16:17]
	v_nop
	v_fma_f64 v[20:21], -v[16:17], v[18:19], 1.0
	s_delay_alu instid0(VALU_DEP_1) | instskip(NEXT) | instid1(VALU_DEP_1)
	v_fmac_f64_e32 v[18:19], v[18:19], v[20:21]
	v_fma_f64 v[20:21], -v[16:17], v[18:19], 1.0
	s_delay_alu instid0(VALU_DEP_1) | instskip(NEXT) | instid1(VALU_DEP_1)
	v_fmac_f64_e32 v[18:19], v[18:19], v[20:21]
	v_mul_f64_e32 v[20:21], v[22:23], v[18:19]
	s_delay_alu instid0(VALU_DEP_1) | instskip(NEXT) | instid1(VALU_DEP_1)
	v_fma_f64 v[16:17], -v[16:17], v[20:21], v[22:23]
	v_div_fmas_f64 v[16:17], v[16:17], v[18:19], v[20:21]
	v_fma_f64 v[18:19], v[2:3], v[10:11], v[4:5]
	s_delay_alu instid0(VALU_DEP_2) | instskip(SKIP_1) | instid1(VALU_DEP_2)
	v_div_fixup_f64 v[12:13], v[16:17], v[12:13], 1.0
	v_fma_f64 v[16:17], v[4:5], v[10:11], -v[2:3]
	v_mul_f64_e32 v[10:11], v[18:19], v[12:13]
	s_delay_alu instid0(VALU_DEP_2)
	v_mul_f64_e32 v[12:13], v[16:17], v[12:13]
.LBB203_97:                             ;   in Loop: Header=BB203_93 Depth=2
	s_and_not1_b32 vcc_lo, exec_lo, s29
	s_cbranch_vccnz .LBB203_92
; %bb.98:                               ;   in Loop: Header=BB203_93 Depth=2
	v_div_scale_f64 v[10:11], null, v[6:7], v[6:7], v[8:9]
	v_div_scale_f64 v[18:19], vcc_lo, v[8:9], v[6:7], v[8:9]
	s_delay_alu instid0(VALU_DEP_2) | instskip(SKIP_1) | instid1(TRANS32_DEP_1)
	v_rcp_f64_e32 v[12:13], v[10:11]
	v_nop
	v_fma_f64 v[16:17], -v[10:11], v[12:13], 1.0
	s_delay_alu instid0(VALU_DEP_1) | instskip(NEXT) | instid1(VALU_DEP_1)
	v_fmac_f64_e32 v[12:13], v[12:13], v[16:17]
	v_fma_f64 v[16:17], -v[10:11], v[12:13], 1.0
	s_delay_alu instid0(VALU_DEP_1) | instskip(NEXT) | instid1(VALU_DEP_1)
	v_fmac_f64_e32 v[12:13], v[12:13], v[16:17]
	v_mul_f64_e32 v[16:17], v[18:19], v[12:13]
	s_delay_alu instid0(VALU_DEP_1) | instskip(NEXT) | instid1(VALU_DEP_1)
	v_fma_f64 v[10:11], -v[10:11], v[16:17], v[18:19]
	v_div_fmas_f64 v[10:11], v[10:11], v[12:13], v[16:17]
	s_delay_alu instid0(VALU_DEP_1) | instskip(NEXT) | instid1(VALU_DEP_1)
	v_div_fixup_f64 v[10:11], v[10:11], v[6:7], v[8:9]
	v_fmac_f64_e32 v[6:7], v[8:9], v[10:11]
	s_delay_alu instid0(VALU_DEP_1) | instskip(SKIP_1) | instid1(VALU_DEP_2)
	v_div_scale_f64 v[8:9], null, v[6:7], v[6:7], 1.0
	v_div_scale_f64 v[18:19], vcc_lo, 1.0, v[6:7], 1.0
	v_rcp_f64_e32 v[12:13], v[8:9]
	v_nop
	s_delay_alu instid0(TRANS32_DEP_1) | instskip(NEXT) | instid1(VALU_DEP_1)
	v_fma_f64 v[16:17], -v[8:9], v[12:13], 1.0
	v_fmac_f64_e32 v[12:13], v[12:13], v[16:17]
	s_delay_alu instid0(VALU_DEP_1) | instskip(NEXT) | instid1(VALU_DEP_1)
	v_fma_f64 v[16:17], -v[8:9], v[12:13], 1.0
	v_fmac_f64_e32 v[12:13], v[12:13], v[16:17]
	s_delay_alu instid0(VALU_DEP_1) | instskip(NEXT) | instid1(VALU_DEP_1)
	v_mul_f64_e32 v[16:17], v[18:19], v[12:13]
	v_fma_f64 v[8:9], -v[8:9], v[16:17], v[18:19]
	s_delay_alu instid0(VALU_DEP_1) | instskip(SKIP_2) | instid1(VALU_DEP_3)
	v_div_fmas_f64 v[8:9], v[8:9], v[12:13], v[16:17]
	v_fma_f64 v[12:13], v[4:5], v[10:11], v[2:3]
	v_fma_f64 v[2:3], -v[2:3], v[10:11], v[4:5]
	v_div_fixup_f64 v[6:7], v[8:9], v[6:7], 1.0
	s_delay_alu instid0(VALU_DEP_1) | instskip(NEXT) | instid1(VALU_DEP_3)
	v_mul_f64_e32 v[10:11], v[12:13], v[6:7]
	v_mul_f64_e32 v[12:13], v[2:3], v[6:7]
	s_branch .LBB203_92
.LBB203_99:                             ;   in Loop: Header=BB203_3 Depth=1
	s_mov_b32 s27, 0
.LBB203_100:                            ;   in Loop: Header=BB203_3 Depth=1
	s_delay_alu instid0(SALU_CYCLE_1)
	s_and_not1_b32 vcc_lo, exec_lo, s27
	s_cbranch_vccnz .LBB203_128
; %bb.101:                              ;   in Loop: Header=BB203_3 Depth=1
	s_and_not1_b32 vcc_lo, exec_lo, s37
	s_mov_b32 s27, 0
	s_cbranch_vccnz .LBB203_119
; %bb.102:                              ;   in Loop: Header=BB203_3 Depth=1
	ds_load_b128 v[18:21], v0
	ds_load_b128 v[22:25], v34
	ds_load_b128 v[14:17], v34 offset:64
	ds_load_b128 v[10:13], v34 offset:128
	;; [unrolled: 1-line block ×3, first 2 shown]
                                        ; implicit-def: $vgpr8_vgpr9
	s_wait_dscnt 0x4
	v_cmp_ngt_f64_e64 s27, |v[18:19]|, |v[20:21]|
	s_and_b32 vcc_lo, exec_lo, s27
	s_mov_b32 s27, -1
	s_cbranch_vccz .LBB203_104
; %bb.103:                              ;   in Loop: Header=BB203_3 Depth=1
	v_div_scale_f64 v[6:7], null, v[20:21], v[20:21], v[18:19]
	v_div_scale_f64 v[44:45], vcc_lo, v[18:19], v[20:21], v[18:19]
	s_mov_b32 s27, 0
	v_rcp_f64_e32 v[8:9], v[6:7]
	v_nop
	s_delay_alu instid0(TRANS32_DEP_1) | instskip(NEXT) | instid1(VALU_DEP_1)
	v_fma_f64 v[42:43], -v[6:7], v[8:9], 1.0
	v_fmac_f64_e32 v[8:9], v[8:9], v[42:43]
	s_delay_alu instid0(VALU_DEP_1) | instskip(NEXT) | instid1(VALU_DEP_1)
	v_fma_f64 v[42:43], -v[6:7], v[8:9], 1.0
	v_fmac_f64_e32 v[8:9], v[8:9], v[42:43]
	s_delay_alu instid0(VALU_DEP_1) | instskip(NEXT) | instid1(VALU_DEP_1)
	v_mul_f64_e32 v[42:43], v[44:45], v[8:9]
	v_fma_f64 v[6:7], -v[6:7], v[42:43], v[44:45]
	s_delay_alu instid0(VALU_DEP_1) | instskip(NEXT) | instid1(VALU_DEP_1)
	v_div_fmas_f64 v[6:7], v[6:7], v[8:9], v[42:43]
	v_div_fixup_f64 v[6:7], v[6:7], v[20:21], v[18:19]
	s_delay_alu instid0(VALU_DEP_1) | instskip(NEXT) | instid1(VALU_DEP_1)
	v_fma_f64 v[8:9], v[18:19], v[6:7], v[20:21]
	v_div_scale_f64 v[42:43], null, v[8:9], v[8:9], 1.0
	v_div_scale_f64 v[48:49], vcc_lo, 1.0, v[8:9], 1.0
	s_delay_alu instid0(VALU_DEP_2) | instskip(SKIP_1) | instid1(TRANS32_DEP_1)
	v_rcp_f64_e32 v[44:45], v[42:43]
	v_nop
	v_fma_f64 v[46:47], -v[42:43], v[44:45], 1.0
	s_delay_alu instid0(VALU_DEP_1) | instskip(NEXT) | instid1(VALU_DEP_1)
	v_fmac_f64_e32 v[44:45], v[44:45], v[46:47]
	v_fma_f64 v[46:47], -v[42:43], v[44:45], 1.0
	s_delay_alu instid0(VALU_DEP_1) | instskip(NEXT) | instid1(VALU_DEP_1)
	v_fmac_f64_e32 v[44:45], v[44:45], v[46:47]
	v_mul_f64_e32 v[46:47], v[48:49], v[44:45]
	s_delay_alu instid0(VALU_DEP_1) | instskip(NEXT) | instid1(VALU_DEP_1)
	v_fma_f64 v[42:43], -v[42:43], v[46:47], v[48:49]
	v_div_fmas_f64 v[42:43], v[42:43], v[44:45], v[46:47]
	s_wait_dscnt 0x3
	v_fma_f64 v[44:45], v[22:23], v[6:7], v[24:25]
	s_delay_alu instid0(VALU_DEP_2) | instskip(SKIP_1) | instid1(VALU_DEP_2)
	v_div_fixup_f64 v[8:9], v[42:43], v[8:9], 1.0
	v_fma_f64 v[42:43], v[24:25], v[6:7], -v[22:23]
	v_mul_f64_e32 v[6:7], v[44:45], v[8:9]
	s_delay_alu instid0(VALU_DEP_2)
	v_mul_f64_e32 v[8:9], v[42:43], v[8:9]
.LBB203_104:                            ;   in Loop: Header=BB203_3 Depth=1
	s_and_not1_b32 vcc_lo, exec_lo, s27
	s_cbranch_vccnz .LBB203_106
; %bb.105:                              ;   in Loop: Header=BB203_3 Depth=1
	v_div_scale_f64 v[6:7], null, v[18:19], v[18:19], v[20:21]
	v_div_scale_f64 v[44:45], vcc_lo, v[20:21], v[18:19], v[20:21]
	s_delay_alu instid0(VALU_DEP_2) | instskip(SKIP_1) | instid1(TRANS32_DEP_1)
	v_rcp_f64_e32 v[8:9], v[6:7]
	v_nop
	v_fma_f64 v[42:43], -v[6:7], v[8:9], 1.0
	s_delay_alu instid0(VALU_DEP_1) | instskip(NEXT) | instid1(VALU_DEP_1)
	v_fmac_f64_e32 v[8:9], v[8:9], v[42:43]
	v_fma_f64 v[42:43], -v[6:7], v[8:9], 1.0
	s_delay_alu instid0(VALU_DEP_1) | instskip(NEXT) | instid1(VALU_DEP_1)
	v_fmac_f64_e32 v[8:9], v[8:9], v[42:43]
	v_mul_f64_e32 v[42:43], v[44:45], v[8:9]
	s_delay_alu instid0(VALU_DEP_1) | instskip(NEXT) | instid1(VALU_DEP_1)
	v_fma_f64 v[6:7], -v[6:7], v[42:43], v[44:45]
	v_div_fmas_f64 v[6:7], v[6:7], v[8:9], v[42:43]
	s_delay_alu instid0(VALU_DEP_1) | instskip(NEXT) | instid1(VALU_DEP_1)
	v_div_fixup_f64 v[6:7], v[6:7], v[18:19], v[20:21]
	v_fmac_f64_e32 v[18:19], v[20:21], v[6:7]
	s_delay_alu instid0(VALU_DEP_1) | instskip(SKIP_1) | instid1(VALU_DEP_2)
	v_div_scale_f64 v[8:9], null, v[18:19], v[18:19], 1.0
	v_div_scale_f64 v[44:45], vcc_lo, 1.0, v[18:19], 1.0
	v_rcp_f64_e32 v[20:21], v[8:9]
	v_nop
	s_delay_alu instid0(TRANS32_DEP_1) | instskip(NEXT) | instid1(VALU_DEP_1)
	v_fma_f64 v[42:43], -v[8:9], v[20:21], 1.0
	v_fmac_f64_e32 v[20:21], v[20:21], v[42:43]
	s_delay_alu instid0(VALU_DEP_1) | instskip(NEXT) | instid1(VALU_DEP_1)
	v_fma_f64 v[42:43], -v[8:9], v[20:21], 1.0
	v_fmac_f64_e32 v[20:21], v[20:21], v[42:43]
	s_delay_alu instid0(VALU_DEP_1) | instskip(NEXT) | instid1(VALU_DEP_1)
	v_mul_f64_e32 v[42:43], v[44:45], v[20:21]
	v_fma_f64 v[8:9], -v[8:9], v[42:43], v[44:45]
	s_delay_alu instid0(VALU_DEP_1) | instskip(SKIP_2) | instid1(VALU_DEP_2)
	v_div_fmas_f64 v[8:9], v[8:9], v[20:21], v[42:43]
	s_wait_dscnt 0x3
	v_fma_f64 v[20:21], v[24:25], v[6:7], v[22:23]
	v_div_fixup_f64 v[8:9], v[8:9], v[18:19], 1.0
	v_fma_f64 v[18:19], -v[22:23], v[6:7], v[24:25]
	s_delay_alu instid0(VALU_DEP_2) | instskip(NEXT) | instid1(VALU_DEP_2)
	v_mul_f64_e32 v[6:7], v[20:21], v[8:9]
	v_mul_f64_e32 v[8:9], v[18:19], v[8:9]
.LBB203_106:                            ;   in Loop: Header=BB203_3 Depth=1
	s_wait_dscnt 0x3
	ds_load_b128 v[22:25], v0 offset:64
	ds_load_b128 v[18:21], v0 offset:80
	ds_store_b128 v34, v[6:9]
	s_wait_dscnt 0x2
	v_mul_f64_e32 v[42:43], v[8:9], v[24:25]
	v_mul_f64_e32 v[24:25], v[6:7], v[24:25]
	s_wait_dscnt 0x1
	v_cmp_ngt_f64_e64 s27, |v[18:19]|, |v[20:21]|
	s_delay_alu instid0(VALU_DEP_3) | instskip(NEXT) | instid1(VALU_DEP_3)
	v_fma_f64 v[42:43], v[6:7], v[22:23], -v[42:43]
	v_fmac_f64_e32 v[24:25], v[8:9], v[22:23]
	s_and_b32 vcc_lo, exec_lo, s27
	s_mov_b32 s27, -1
	s_delay_alu instid0(VALU_DEP_2) | instskip(NEXT) | instid1(VALU_DEP_2)
	v_add_f64_e64 v[22:23], v[14:15], -v[42:43]
	v_add_f64_e64 v[24:25], v[16:17], -v[24:25]
                                        ; implicit-def: $vgpr16_vgpr17
	s_cbranch_vccz .LBB203_108
; %bb.107:                              ;   in Loop: Header=BB203_3 Depth=1
	v_div_scale_f64 v[14:15], null, v[20:21], v[20:21], v[18:19]
	v_div_scale_f64 v[44:45], vcc_lo, v[18:19], v[20:21], v[18:19]
	s_mov_b32 s27, 0
	v_rcp_f64_e32 v[16:17], v[14:15]
	v_nop
	s_delay_alu instid0(TRANS32_DEP_1) | instskip(NEXT) | instid1(VALU_DEP_1)
	v_fma_f64 v[42:43], -v[14:15], v[16:17], 1.0
	v_fmac_f64_e32 v[16:17], v[16:17], v[42:43]
	s_delay_alu instid0(VALU_DEP_1) | instskip(NEXT) | instid1(VALU_DEP_1)
	v_fma_f64 v[42:43], -v[14:15], v[16:17], 1.0
	v_fmac_f64_e32 v[16:17], v[16:17], v[42:43]
	s_delay_alu instid0(VALU_DEP_1) | instskip(NEXT) | instid1(VALU_DEP_1)
	v_mul_f64_e32 v[42:43], v[44:45], v[16:17]
	v_fma_f64 v[14:15], -v[14:15], v[42:43], v[44:45]
	s_delay_alu instid0(VALU_DEP_1) | instskip(NEXT) | instid1(VALU_DEP_1)
	v_div_fmas_f64 v[14:15], v[14:15], v[16:17], v[42:43]
	v_div_fixup_f64 v[14:15], v[14:15], v[20:21], v[18:19]
	s_delay_alu instid0(VALU_DEP_1) | instskip(NEXT) | instid1(VALU_DEP_1)
	v_fma_f64 v[16:17], v[18:19], v[14:15], v[20:21]
	v_div_scale_f64 v[42:43], null, v[16:17], v[16:17], 1.0
	v_div_scale_f64 v[48:49], vcc_lo, 1.0, v[16:17], 1.0
	s_delay_alu instid0(VALU_DEP_2) | instskip(SKIP_1) | instid1(TRANS32_DEP_1)
	v_rcp_f64_e32 v[44:45], v[42:43]
	v_nop
	v_fma_f64 v[46:47], -v[42:43], v[44:45], 1.0
	s_delay_alu instid0(VALU_DEP_1) | instskip(NEXT) | instid1(VALU_DEP_1)
	v_fmac_f64_e32 v[44:45], v[44:45], v[46:47]
	v_fma_f64 v[46:47], -v[42:43], v[44:45], 1.0
	s_delay_alu instid0(VALU_DEP_1) | instskip(NEXT) | instid1(VALU_DEP_1)
	v_fmac_f64_e32 v[44:45], v[44:45], v[46:47]
	v_mul_f64_e32 v[46:47], v[48:49], v[44:45]
	s_delay_alu instid0(VALU_DEP_1) | instskip(NEXT) | instid1(VALU_DEP_1)
	v_fma_f64 v[42:43], -v[42:43], v[46:47], v[48:49]
	v_div_fmas_f64 v[42:43], v[42:43], v[44:45], v[46:47]
	v_fma_f64 v[44:45], v[14:15], v[22:23], v[24:25]
	s_delay_alu instid0(VALU_DEP_2) | instskip(SKIP_1) | instid1(VALU_DEP_2)
	v_div_fixup_f64 v[16:17], v[42:43], v[16:17], 1.0
	v_fma_f64 v[42:43], v[14:15], v[24:25], -v[22:23]
	v_mul_f64_e32 v[14:15], v[44:45], v[16:17]
	s_delay_alu instid0(VALU_DEP_2)
	v_mul_f64_e32 v[16:17], v[42:43], v[16:17]
.LBB203_108:                            ;   in Loop: Header=BB203_3 Depth=1
	s_and_not1_b32 vcc_lo, exec_lo, s27
	s_cbranch_vccnz .LBB203_110
; %bb.109:                              ;   in Loop: Header=BB203_3 Depth=1
	v_div_scale_f64 v[14:15], null, v[18:19], v[18:19], v[20:21]
	v_div_scale_f64 v[44:45], vcc_lo, v[20:21], v[18:19], v[20:21]
	s_delay_alu instid0(VALU_DEP_2) | instskip(SKIP_1) | instid1(TRANS32_DEP_1)
	v_rcp_f64_e32 v[16:17], v[14:15]
	v_nop
	v_fma_f64 v[42:43], -v[14:15], v[16:17], 1.0
	s_delay_alu instid0(VALU_DEP_1) | instskip(NEXT) | instid1(VALU_DEP_1)
	v_fmac_f64_e32 v[16:17], v[16:17], v[42:43]
	v_fma_f64 v[42:43], -v[14:15], v[16:17], 1.0
	s_delay_alu instid0(VALU_DEP_1) | instskip(NEXT) | instid1(VALU_DEP_1)
	v_fmac_f64_e32 v[16:17], v[16:17], v[42:43]
	v_mul_f64_e32 v[42:43], v[44:45], v[16:17]
	s_delay_alu instid0(VALU_DEP_1) | instskip(NEXT) | instid1(VALU_DEP_1)
	v_fma_f64 v[14:15], -v[14:15], v[42:43], v[44:45]
	v_div_fmas_f64 v[14:15], v[14:15], v[16:17], v[42:43]
	s_delay_alu instid0(VALU_DEP_1) | instskip(NEXT) | instid1(VALU_DEP_1)
	v_div_fixup_f64 v[14:15], v[14:15], v[18:19], v[20:21]
	v_fmac_f64_e32 v[18:19], v[20:21], v[14:15]
	s_delay_alu instid0(VALU_DEP_1) | instskip(SKIP_1) | instid1(VALU_DEP_2)
	v_div_scale_f64 v[16:17], null, v[18:19], v[18:19], 1.0
	v_div_scale_f64 v[44:45], vcc_lo, 1.0, v[18:19], 1.0
	v_rcp_f64_e32 v[20:21], v[16:17]
	v_nop
	s_delay_alu instid0(TRANS32_DEP_1) | instskip(NEXT) | instid1(VALU_DEP_1)
	v_fma_f64 v[42:43], -v[16:17], v[20:21], 1.0
	v_fmac_f64_e32 v[20:21], v[20:21], v[42:43]
	s_delay_alu instid0(VALU_DEP_1) | instskip(NEXT) | instid1(VALU_DEP_1)
	v_fma_f64 v[42:43], -v[16:17], v[20:21], 1.0
	v_fmac_f64_e32 v[20:21], v[20:21], v[42:43]
	s_delay_alu instid0(VALU_DEP_1) | instskip(NEXT) | instid1(VALU_DEP_1)
	v_mul_f64_e32 v[42:43], v[44:45], v[20:21]
	v_fma_f64 v[16:17], -v[16:17], v[42:43], v[44:45]
	s_delay_alu instid0(VALU_DEP_1) | instskip(SKIP_1) | instid1(VALU_DEP_2)
	v_div_fmas_f64 v[16:17], v[16:17], v[20:21], v[42:43]
	v_fma_f64 v[20:21], v[14:15], v[24:25], v[22:23]
	v_div_fixup_f64 v[16:17], v[16:17], v[18:19], 1.0
	v_fma_f64 v[18:19], -v[14:15], v[22:23], v[24:25]
	s_delay_alu instid0(VALU_DEP_2) | instskip(NEXT) | instid1(VALU_DEP_2)
	v_mul_f64_e32 v[14:15], v[20:21], v[16:17]
	v_mul_f64_e32 v[16:17], v[18:19], v[16:17]
.LBB203_110:                            ;   in Loop: Header=BB203_3 Depth=1
	ds_load_b128 v[18:21], v0 offset:128
	ds_load_b128 v[22:25], v0 offset:144
	ds_store_b128 v34, v[14:17] offset:64
	s_wait_dscnt 0x2
	v_mul_f64_e32 v[42:43], v[8:9], v[20:21]
	v_mul_f64_e32 v[20:21], v[6:7], v[20:21]
	s_wait_dscnt 0x1
	v_mul_f64_e32 v[44:45], v[16:17], v[24:25]
	v_mul_f64_e32 v[24:25], v[14:15], v[24:25]
	s_delay_alu instid0(VALU_DEP_4) | instskip(NEXT) | instid1(VALU_DEP_4)
	v_fma_f64 v[42:43], v[6:7], v[18:19], -v[42:43]
	v_fmac_f64_e32 v[20:21], v[8:9], v[18:19]
	s_delay_alu instid0(VALU_DEP_4) | instskip(NEXT) | instid1(VALU_DEP_4)
	v_fma_f64 v[18:19], v[14:15], v[22:23], -v[44:45]
	v_fmac_f64_e32 v[24:25], v[16:17], v[22:23]
	s_delay_alu instid0(VALU_DEP_4) | instskip(NEXT) | instid1(VALU_DEP_4)
	v_add_f64_e64 v[22:23], v[10:11], -v[42:43]
	v_add_f64_e64 v[20:21], v[12:13], -v[20:21]
	ds_load_b128 v[10:13], v0 offset:160
	s_wait_dscnt 0x0
	v_cmp_ngt_f64_e64 s27, |v[10:11]|, |v[12:13]|
	v_add_f64_e64 v[22:23], v[22:23], -v[18:19]
	v_add_f64_e64 v[24:25], v[20:21], -v[24:25]
                                        ; implicit-def: $vgpr20_vgpr21
	s_and_b32 vcc_lo, exec_lo, s27
	s_mov_b32 s27, -1
	s_cbranch_vccz .LBB203_112
; %bb.111:                              ;   in Loop: Header=BB203_3 Depth=1
	v_div_scale_f64 v[18:19], null, v[12:13], v[12:13], v[10:11]
	v_div_scale_f64 v[44:45], vcc_lo, v[10:11], v[12:13], v[10:11]
	s_mov_b32 s27, 0
	v_rcp_f64_e32 v[20:21], v[18:19]
	v_nop
	s_delay_alu instid0(TRANS32_DEP_1) | instskip(NEXT) | instid1(VALU_DEP_1)
	v_fma_f64 v[42:43], -v[18:19], v[20:21], 1.0
	v_fmac_f64_e32 v[20:21], v[20:21], v[42:43]
	s_delay_alu instid0(VALU_DEP_1) | instskip(NEXT) | instid1(VALU_DEP_1)
	v_fma_f64 v[42:43], -v[18:19], v[20:21], 1.0
	v_fmac_f64_e32 v[20:21], v[20:21], v[42:43]
	s_delay_alu instid0(VALU_DEP_1) | instskip(NEXT) | instid1(VALU_DEP_1)
	v_mul_f64_e32 v[42:43], v[44:45], v[20:21]
	v_fma_f64 v[18:19], -v[18:19], v[42:43], v[44:45]
	s_delay_alu instid0(VALU_DEP_1) | instskip(NEXT) | instid1(VALU_DEP_1)
	v_div_fmas_f64 v[18:19], v[18:19], v[20:21], v[42:43]
	v_div_fixup_f64 v[18:19], v[18:19], v[12:13], v[10:11]
	s_delay_alu instid0(VALU_DEP_1) | instskip(NEXT) | instid1(VALU_DEP_1)
	v_fma_f64 v[20:21], v[10:11], v[18:19], v[12:13]
	v_div_scale_f64 v[42:43], null, v[20:21], v[20:21], 1.0
	v_div_scale_f64 v[48:49], vcc_lo, 1.0, v[20:21], 1.0
	s_delay_alu instid0(VALU_DEP_2) | instskip(SKIP_1) | instid1(TRANS32_DEP_1)
	v_rcp_f64_e32 v[44:45], v[42:43]
	v_nop
	v_fma_f64 v[46:47], -v[42:43], v[44:45], 1.0
	s_delay_alu instid0(VALU_DEP_1) | instskip(NEXT) | instid1(VALU_DEP_1)
	v_fmac_f64_e32 v[44:45], v[44:45], v[46:47]
	v_fma_f64 v[46:47], -v[42:43], v[44:45], 1.0
	s_delay_alu instid0(VALU_DEP_1) | instskip(NEXT) | instid1(VALU_DEP_1)
	v_fmac_f64_e32 v[44:45], v[44:45], v[46:47]
	v_mul_f64_e32 v[46:47], v[48:49], v[44:45]
	s_delay_alu instid0(VALU_DEP_1) | instskip(NEXT) | instid1(VALU_DEP_1)
	v_fma_f64 v[42:43], -v[42:43], v[46:47], v[48:49]
	v_div_fmas_f64 v[42:43], v[42:43], v[44:45], v[46:47]
	v_fma_f64 v[44:45], v[18:19], v[22:23], v[24:25]
	s_delay_alu instid0(VALU_DEP_2) | instskip(SKIP_1) | instid1(VALU_DEP_2)
	v_div_fixup_f64 v[20:21], v[42:43], v[20:21], 1.0
	v_fma_f64 v[42:43], v[18:19], v[24:25], -v[22:23]
	v_mul_f64_e32 v[18:19], v[44:45], v[20:21]
	s_delay_alu instid0(VALU_DEP_2)
	v_mul_f64_e32 v[20:21], v[42:43], v[20:21]
.LBB203_112:                            ;   in Loop: Header=BB203_3 Depth=1
	s_and_not1_b32 vcc_lo, exec_lo, s27
	s_cbranch_vccnz .LBB203_114
; %bb.113:                              ;   in Loop: Header=BB203_3 Depth=1
	v_div_scale_f64 v[18:19], null, v[10:11], v[10:11], v[12:13]
	v_div_scale_f64 v[44:45], vcc_lo, v[12:13], v[10:11], v[12:13]
	s_delay_alu instid0(VALU_DEP_2) | instskip(SKIP_1) | instid1(TRANS32_DEP_1)
	v_rcp_f64_e32 v[20:21], v[18:19]
	v_nop
	v_fma_f64 v[42:43], -v[18:19], v[20:21], 1.0
	s_delay_alu instid0(VALU_DEP_1) | instskip(NEXT) | instid1(VALU_DEP_1)
	v_fmac_f64_e32 v[20:21], v[20:21], v[42:43]
	v_fma_f64 v[42:43], -v[18:19], v[20:21], 1.0
	s_delay_alu instid0(VALU_DEP_1) | instskip(NEXT) | instid1(VALU_DEP_1)
	v_fmac_f64_e32 v[20:21], v[20:21], v[42:43]
	v_mul_f64_e32 v[42:43], v[44:45], v[20:21]
	s_delay_alu instid0(VALU_DEP_1) | instskip(NEXT) | instid1(VALU_DEP_1)
	v_fma_f64 v[18:19], -v[18:19], v[42:43], v[44:45]
	v_div_fmas_f64 v[18:19], v[18:19], v[20:21], v[42:43]
	s_delay_alu instid0(VALU_DEP_1) | instskip(NEXT) | instid1(VALU_DEP_1)
	v_div_fixup_f64 v[18:19], v[18:19], v[10:11], v[12:13]
	v_fmac_f64_e32 v[10:11], v[12:13], v[18:19]
	s_delay_alu instid0(VALU_DEP_1) | instskip(SKIP_1) | instid1(VALU_DEP_2)
	v_div_scale_f64 v[12:13], null, v[10:11], v[10:11], 1.0
	v_div_scale_f64 v[44:45], vcc_lo, 1.0, v[10:11], 1.0
	v_rcp_f64_e32 v[20:21], v[12:13]
	v_nop
	s_delay_alu instid0(TRANS32_DEP_1) | instskip(NEXT) | instid1(VALU_DEP_1)
	v_fma_f64 v[42:43], -v[12:13], v[20:21], 1.0
	v_fmac_f64_e32 v[20:21], v[20:21], v[42:43]
	s_delay_alu instid0(VALU_DEP_1) | instskip(NEXT) | instid1(VALU_DEP_1)
	v_fma_f64 v[42:43], -v[12:13], v[20:21], 1.0
	v_fmac_f64_e32 v[20:21], v[20:21], v[42:43]
	s_delay_alu instid0(VALU_DEP_1) | instskip(NEXT) | instid1(VALU_DEP_1)
	v_mul_f64_e32 v[42:43], v[44:45], v[20:21]
	v_fma_f64 v[12:13], -v[12:13], v[42:43], v[44:45]
	s_delay_alu instid0(VALU_DEP_1) | instskip(SKIP_1) | instid1(VALU_DEP_2)
	v_div_fmas_f64 v[12:13], v[12:13], v[20:21], v[42:43]
	v_fma_f64 v[20:21], v[18:19], v[24:25], v[22:23]
	v_div_fixup_f64 v[10:11], v[12:13], v[10:11], 1.0
	v_fma_f64 v[12:13], -v[18:19], v[22:23], v[24:25]
	s_delay_alu instid0(VALU_DEP_2) | instskip(NEXT) | instid1(VALU_DEP_2)
	v_mul_f64_e32 v[18:19], v[20:21], v[10:11]
	v_mul_f64_e32 v[20:21], v[12:13], v[10:11]
.LBB203_114:                            ;   in Loop: Header=BB203_3 Depth=1
	ds_load_b128 v[10:13], v0 offset:192
	ds_load_b128 v[22:25], v0 offset:208
	s_wait_dscnt 0x1
	v_mul_f64_e32 v[42:43], v[8:9], v[12:13]
	v_mul_f64_e32 v[44:45], v[6:7], v[12:13]
	s_wait_dscnt 0x0
	v_mul_f64_e32 v[46:47], v[16:17], v[24:25]
	v_mul_f64_e32 v[24:25], v[14:15], v[24:25]
	s_delay_alu instid0(VALU_DEP_4) | instskip(NEXT) | instid1(VALU_DEP_4)
	v_fma_f64 v[42:43], v[6:7], v[10:11], -v[42:43]
	v_fmac_f64_e32 v[44:45], v[8:9], v[10:11]
	ds_load_b128 v[10:13], v0 offset:224
	ds_load_b128 v[6:9], v0 offset:240
	v_fma_f64 v[14:15], v[14:15], v[22:23], -v[46:47]
	v_fmac_f64_e32 v[24:25], v[16:17], v[22:23]
	ds_store_b128 v34, v[18:21] offset:128
	s_wait_dscnt 0x2
	v_mul_f64_e32 v[48:49], v[20:21], v[12:13]
	v_mul_f64_e32 v[12:13], v[18:19], v[12:13]
	s_wait_dscnt 0x1
	v_cmp_ngt_f64_e64 s27, |v[6:7]|, |v[8:9]|
	v_add_f64_e64 v[2:3], v[2:3], -v[42:43]
	v_add_f64_e64 v[4:5], v[4:5], -v[44:45]
	v_fma_f64 v[16:17], v[18:19], v[10:11], -v[48:49]
	v_fmac_f64_e32 v[12:13], v[20:21], v[10:11]
	s_and_b32 vcc_lo, exec_lo, s27
	s_mov_b32 s27, -1
	s_delay_alu instid0(VALU_DEP_4) | instskip(NEXT) | instid1(VALU_DEP_4)
	v_add_f64_e64 v[2:3], v[2:3], -v[14:15]
	v_add_f64_e64 v[4:5], v[4:5], -v[24:25]
	s_delay_alu instid0(VALU_DEP_2) | instskip(NEXT) | instid1(VALU_DEP_2)
	v_add_f64_e64 v[10:11], v[2:3], -v[16:17]
	v_add_f64_e64 v[12:13], v[4:5], -v[12:13]
                                        ; implicit-def: $vgpr4_vgpr5
	s_cbranch_vccz .LBB203_116
; %bb.115:                              ;   in Loop: Header=BB203_3 Depth=1
	v_div_scale_f64 v[2:3], null, v[8:9], v[8:9], v[6:7]
	v_div_scale_f64 v[16:17], vcc_lo, v[6:7], v[8:9], v[6:7]
	s_mov_b32 s27, 0
	v_rcp_f64_e32 v[4:5], v[2:3]
	v_nop
	s_delay_alu instid0(TRANS32_DEP_1) | instskip(NEXT) | instid1(VALU_DEP_1)
	v_fma_f64 v[14:15], -v[2:3], v[4:5], 1.0
	v_fmac_f64_e32 v[4:5], v[4:5], v[14:15]
	s_delay_alu instid0(VALU_DEP_1) | instskip(NEXT) | instid1(VALU_DEP_1)
	v_fma_f64 v[14:15], -v[2:3], v[4:5], 1.0
	v_fmac_f64_e32 v[4:5], v[4:5], v[14:15]
	s_delay_alu instid0(VALU_DEP_1) | instskip(NEXT) | instid1(VALU_DEP_1)
	v_mul_f64_e32 v[14:15], v[16:17], v[4:5]
	v_fma_f64 v[2:3], -v[2:3], v[14:15], v[16:17]
	s_delay_alu instid0(VALU_DEP_1) | instskip(NEXT) | instid1(VALU_DEP_1)
	v_div_fmas_f64 v[2:3], v[2:3], v[4:5], v[14:15]
	v_div_fixup_f64 v[2:3], v[2:3], v[8:9], v[6:7]
	s_delay_alu instid0(VALU_DEP_1) | instskip(NEXT) | instid1(VALU_DEP_1)
	v_fma_f64 v[4:5], v[6:7], v[2:3], v[8:9]
	v_div_scale_f64 v[14:15], null, v[4:5], v[4:5], 1.0
	v_div_scale_f64 v[20:21], vcc_lo, 1.0, v[4:5], 1.0
	s_delay_alu instid0(VALU_DEP_2) | instskip(SKIP_1) | instid1(TRANS32_DEP_1)
	v_rcp_f64_e32 v[16:17], v[14:15]
	v_nop
	v_fma_f64 v[18:19], -v[14:15], v[16:17], 1.0
	s_delay_alu instid0(VALU_DEP_1) | instskip(NEXT) | instid1(VALU_DEP_1)
	v_fmac_f64_e32 v[16:17], v[16:17], v[18:19]
	v_fma_f64 v[18:19], -v[14:15], v[16:17], 1.0
	s_delay_alu instid0(VALU_DEP_1) | instskip(NEXT) | instid1(VALU_DEP_1)
	v_fmac_f64_e32 v[16:17], v[16:17], v[18:19]
	v_mul_f64_e32 v[18:19], v[20:21], v[16:17]
	s_delay_alu instid0(VALU_DEP_1) | instskip(NEXT) | instid1(VALU_DEP_1)
	v_fma_f64 v[14:15], -v[14:15], v[18:19], v[20:21]
	v_div_fmas_f64 v[14:15], v[14:15], v[16:17], v[18:19]
	v_fma_f64 v[16:17], v[2:3], v[10:11], v[12:13]
	s_delay_alu instid0(VALU_DEP_2) | instskip(SKIP_1) | instid1(VALU_DEP_2)
	v_div_fixup_f64 v[4:5], v[14:15], v[4:5], 1.0
	v_fma_f64 v[14:15], v[2:3], v[12:13], -v[10:11]
	v_mul_f64_e32 v[2:3], v[16:17], v[4:5]
	s_delay_alu instid0(VALU_DEP_2)
	v_mul_f64_e32 v[4:5], v[14:15], v[4:5]
.LBB203_116:                            ;   in Loop: Header=BB203_3 Depth=1
	s_and_not1_b32 vcc_lo, exec_lo, s27
	s_cbranch_vccnz .LBB203_118
; %bb.117:                              ;   in Loop: Header=BB203_3 Depth=1
	v_div_scale_f64 v[2:3], null, v[6:7], v[6:7], v[8:9]
	v_div_scale_f64 v[16:17], vcc_lo, v[8:9], v[6:7], v[8:9]
	s_delay_alu instid0(VALU_DEP_2) | instskip(SKIP_1) | instid1(TRANS32_DEP_1)
	v_rcp_f64_e32 v[4:5], v[2:3]
	v_nop
	v_fma_f64 v[14:15], -v[2:3], v[4:5], 1.0
	s_delay_alu instid0(VALU_DEP_1) | instskip(NEXT) | instid1(VALU_DEP_1)
	v_fmac_f64_e32 v[4:5], v[4:5], v[14:15]
	v_fma_f64 v[14:15], -v[2:3], v[4:5], 1.0
	s_delay_alu instid0(VALU_DEP_1) | instskip(NEXT) | instid1(VALU_DEP_1)
	v_fmac_f64_e32 v[4:5], v[4:5], v[14:15]
	v_mul_f64_e32 v[14:15], v[16:17], v[4:5]
	s_delay_alu instid0(VALU_DEP_1) | instskip(NEXT) | instid1(VALU_DEP_1)
	v_fma_f64 v[2:3], -v[2:3], v[14:15], v[16:17]
	v_div_fmas_f64 v[2:3], v[2:3], v[4:5], v[14:15]
	s_delay_alu instid0(VALU_DEP_1) | instskip(NEXT) | instid1(VALU_DEP_1)
	v_div_fixup_f64 v[2:3], v[2:3], v[6:7], v[8:9]
	v_fmac_f64_e32 v[6:7], v[8:9], v[2:3]
	s_delay_alu instid0(VALU_DEP_1) | instskip(SKIP_1) | instid1(VALU_DEP_2)
	v_div_scale_f64 v[4:5], null, v[6:7], v[6:7], 1.0
	v_div_scale_f64 v[16:17], vcc_lo, 1.0, v[6:7], 1.0
	v_rcp_f64_e32 v[8:9], v[4:5]
	v_nop
	s_delay_alu instid0(TRANS32_DEP_1) | instskip(NEXT) | instid1(VALU_DEP_1)
	v_fma_f64 v[14:15], -v[4:5], v[8:9], 1.0
	v_fmac_f64_e32 v[8:9], v[8:9], v[14:15]
	s_delay_alu instid0(VALU_DEP_1) | instskip(NEXT) | instid1(VALU_DEP_1)
	v_fma_f64 v[14:15], -v[4:5], v[8:9], 1.0
	v_fmac_f64_e32 v[8:9], v[8:9], v[14:15]
	s_delay_alu instid0(VALU_DEP_1) | instskip(NEXT) | instid1(VALU_DEP_1)
	v_mul_f64_e32 v[14:15], v[16:17], v[8:9]
	v_fma_f64 v[4:5], -v[4:5], v[14:15], v[16:17]
	s_delay_alu instid0(VALU_DEP_1) | instskip(SKIP_1) | instid1(VALU_DEP_2)
	v_div_fmas_f64 v[4:5], v[4:5], v[8:9], v[14:15]
	v_fma_f64 v[8:9], v[2:3], v[12:13], v[10:11]
	v_div_fixup_f64 v[4:5], v[4:5], v[6:7], 1.0
	v_fma_f64 v[6:7], -v[2:3], v[10:11], v[12:13]
	s_delay_alu instid0(VALU_DEP_2) | instskip(NEXT) | instid1(VALU_DEP_2)
	v_mul_f64_e32 v[2:3], v[8:9], v[4:5]
	v_mul_f64_e32 v[4:5], v[6:7], v[4:5]
.LBB203_118:                            ;   in Loop: Header=BB203_3 Depth=1
	s_mov_b32 s27, 4
	ds_store_b128 v34, v[2:5] offset:192
.LBB203_119:                            ;   in Loop: Header=BB203_3 Depth=1
	s_cmp_ge_i32 s27, s34
	s_cbranch_scc1 .LBB203_128
; %bb.120:                              ;   in Loop: Header=BB203_3 Depth=1
	s_lshl_b32 s28, s27, 6
	s_branch .LBB203_122
.LBB203_121:                            ;   in Loop: Header=BB203_122 Depth=2
	s_add_co_i32 s27, s27, 1
	s_add_co_i32 s28, s28, 64
	s_cmp_ge_i32 s27, s34
	ds_store_b128 v14, v[10:13]
	s_cbranch_scc1 .LBB203_128
.LBB203_122:                            ;   Parent Loop BB203_3 Depth=1
                                        ; =>  This Loop Header: Depth=2
                                        ;       Child Loop BB203_123 Depth 3
	v_lshl_add_u32 v14, s27, 6, v34
	v_mov_b32_e32 v6, v34
	s_cmp_eq_u32 s27, 0
	s_mov_b32 s29, s28
	s_mov_b32 s30, s27
	ds_load_b128 v[2:5], v14
	s_cbranch_scc1 .LBB203_124
.LBB203_123:                            ;   Parent Loop BB203_3 Depth=1
                                        ;     Parent Loop BB203_122 Depth=2
                                        ; =>    This Inner Loop Header: Depth=3
	v_mov_b32_e32 v7, s29
	s_add_co_i32 s30, s30, -1
	s_add_co_i32 s29, s29, 16
	s_cmp_eq_u32 s30, 0
	ds_load_b128 v[8:11], v6
	ds_load_b128 v[16:19], v7
	v_add_nc_u32_e32 v6, 64, v6
	s_wait_dscnt 0x0
	v_mul_f64_e32 v[12:13], v[18:19], v[10:11]
	v_mul_f64_e32 v[10:11], v[16:17], v[10:11]
	s_delay_alu instid0(VALU_DEP_2) | instskip(NEXT) | instid1(VALU_DEP_2)
	v_fma_f64 v[12:13], v[16:17], v[8:9], -v[12:13]
	v_fmac_f64_e32 v[10:11], v[18:19], v[8:9]
	s_delay_alu instid0(VALU_DEP_2) | instskip(NEXT) | instid1(VALU_DEP_2)
	v_add_f64_e64 v[2:3], v[2:3], -v[12:13]
	v_add_f64_e64 v[4:5], v[4:5], -v[10:11]
	s_cbranch_scc0 .LBB203_123
.LBB203_124:                            ;   in Loop: Header=BB203_122 Depth=2
	s_mul_i32 s29, s27, 0x50
                                        ; implicit-def: $vgpr10_vgpr11
	s_delay_alu instid0(SALU_CYCLE_1)
	v_mov_b32_e32 v6, s29
	ds_load_b128 v[6:9], v6
	s_wait_dscnt 0x0
	v_cmp_ngt_f64_e64 s29, |v[6:7]|, |v[8:9]|
	s_and_b32 vcc_lo, exec_lo, s29
	s_mov_b32 s29, -1
	s_cbranch_vccz .LBB203_126
; %bb.125:                              ;   in Loop: Header=BB203_122 Depth=2
	v_div_scale_f64 v[10:11], null, v[8:9], v[8:9], v[6:7]
	v_div_scale_f64 v[18:19], vcc_lo, v[6:7], v[8:9], v[6:7]
	s_mov_b32 s29, 0
	v_rcp_f64_e32 v[12:13], v[10:11]
	v_nop
	s_delay_alu instid0(TRANS32_DEP_1) | instskip(NEXT) | instid1(VALU_DEP_1)
	v_fma_f64 v[16:17], -v[10:11], v[12:13], 1.0
	v_fmac_f64_e32 v[12:13], v[12:13], v[16:17]
	s_delay_alu instid0(VALU_DEP_1) | instskip(NEXT) | instid1(VALU_DEP_1)
	v_fma_f64 v[16:17], -v[10:11], v[12:13], 1.0
	v_fmac_f64_e32 v[12:13], v[12:13], v[16:17]
	s_delay_alu instid0(VALU_DEP_1) | instskip(NEXT) | instid1(VALU_DEP_1)
	v_mul_f64_e32 v[16:17], v[18:19], v[12:13]
	v_fma_f64 v[10:11], -v[10:11], v[16:17], v[18:19]
	s_delay_alu instid0(VALU_DEP_1) | instskip(NEXT) | instid1(VALU_DEP_1)
	v_div_fmas_f64 v[10:11], v[10:11], v[12:13], v[16:17]
	v_div_fixup_f64 v[10:11], v[10:11], v[8:9], v[6:7]
	s_delay_alu instid0(VALU_DEP_1) | instskip(NEXT) | instid1(VALU_DEP_1)
	v_fma_f64 v[12:13], v[6:7], v[10:11], v[8:9]
	v_div_scale_f64 v[16:17], null, v[12:13], v[12:13], 1.0
	v_div_scale_f64 v[22:23], vcc_lo, 1.0, v[12:13], 1.0
	s_delay_alu instid0(VALU_DEP_2) | instskip(SKIP_1) | instid1(TRANS32_DEP_1)
	v_rcp_f64_e32 v[18:19], v[16:17]
	v_nop
	v_fma_f64 v[20:21], -v[16:17], v[18:19], 1.0
	s_delay_alu instid0(VALU_DEP_1) | instskip(NEXT) | instid1(VALU_DEP_1)
	v_fmac_f64_e32 v[18:19], v[18:19], v[20:21]
	v_fma_f64 v[20:21], -v[16:17], v[18:19], 1.0
	s_delay_alu instid0(VALU_DEP_1) | instskip(NEXT) | instid1(VALU_DEP_1)
	v_fmac_f64_e32 v[18:19], v[18:19], v[20:21]
	v_mul_f64_e32 v[20:21], v[22:23], v[18:19]
	s_delay_alu instid0(VALU_DEP_1) | instskip(NEXT) | instid1(VALU_DEP_1)
	v_fma_f64 v[16:17], -v[16:17], v[20:21], v[22:23]
	v_div_fmas_f64 v[16:17], v[16:17], v[18:19], v[20:21]
	v_fma_f64 v[18:19], v[2:3], v[10:11], v[4:5]
	s_delay_alu instid0(VALU_DEP_2) | instskip(SKIP_1) | instid1(VALU_DEP_2)
	v_div_fixup_f64 v[12:13], v[16:17], v[12:13], 1.0
	v_fma_f64 v[16:17], v[4:5], v[10:11], -v[2:3]
	v_mul_f64_e32 v[10:11], v[18:19], v[12:13]
	s_delay_alu instid0(VALU_DEP_2)
	v_mul_f64_e32 v[12:13], v[16:17], v[12:13]
.LBB203_126:                            ;   in Loop: Header=BB203_122 Depth=2
	s_and_not1_b32 vcc_lo, exec_lo, s29
	s_cbranch_vccnz .LBB203_121
; %bb.127:                              ;   in Loop: Header=BB203_122 Depth=2
	v_div_scale_f64 v[10:11], null, v[6:7], v[6:7], v[8:9]
	v_div_scale_f64 v[18:19], vcc_lo, v[8:9], v[6:7], v[8:9]
	s_delay_alu instid0(VALU_DEP_2) | instskip(SKIP_1) | instid1(TRANS32_DEP_1)
	v_rcp_f64_e32 v[12:13], v[10:11]
	v_nop
	v_fma_f64 v[16:17], -v[10:11], v[12:13], 1.0
	s_delay_alu instid0(VALU_DEP_1) | instskip(NEXT) | instid1(VALU_DEP_1)
	v_fmac_f64_e32 v[12:13], v[12:13], v[16:17]
	v_fma_f64 v[16:17], -v[10:11], v[12:13], 1.0
	s_delay_alu instid0(VALU_DEP_1) | instskip(NEXT) | instid1(VALU_DEP_1)
	v_fmac_f64_e32 v[12:13], v[12:13], v[16:17]
	v_mul_f64_e32 v[16:17], v[18:19], v[12:13]
	s_delay_alu instid0(VALU_DEP_1) | instskip(NEXT) | instid1(VALU_DEP_1)
	v_fma_f64 v[10:11], -v[10:11], v[16:17], v[18:19]
	v_div_fmas_f64 v[10:11], v[10:11], v[12:13], v[16:17]
	s_delay_alu instid0(VALU_DEP_1) | instskip(NEXT) | instid1(VALU_DEP_1)
	v_div_fixup_f64 v[10:11], v[10:11], v[6:7], v[8:9]
	v_fmac_f64_e32 v[6:7], v[8:9], v[10:11]
	s_delay_alu instid0(VALU_DEP_1) | instskip(SKIP_1) | instid1(VALU_DEP_2)
	v_div_scale_f64 v[8:9], null, v[6:7], v[6:7], 1.0
	v_div_scale_f64 v[18:19], vcc_lo, 1.0, v[6:7], 1.0
	v_rcp_f64_e32 v[12:13], v[8:9]
	v_nop
	s_delay_alu instid0(TRANS32_DEP_1) | instskip(NEXT) | instid1(VALU_DEP_1)
	v_fma_f64 v[16:17], -v[8:9], v[12:13], 1.0
	v_fmac_f64_e32 v[12:13], v[12:13], v[16:17]
	s_delay_alu instid0(VALU_DEP_1) | instskip(NEXT) | instid1(VALU_DEP_1)
	v_fma_f64 v[16:17], -v[8:9], v[12:13], 1.0
	v_fmac_f64_e32 v[12:13], v[12:13], v[16:17]
	s_delay_alu instid0(VALU_DEP_1) | instskip(NEXT) | instid1(VALU_DEP_1)
	v_mul_f64_e32 v[16:17], v[18:19], v[12:13]
	v_fma_f64 v[8:9], -v[8:9], v[16:17], v[18:19]
	s_delay_alu instid0(VALU_DEP_1) | instskip(SKIP_2) | instid1(VALU_DEP_3)
	v_div_fmas_f64 v[8:9], v[8:9], v[12:13], v[16:17]
	v_fma_f64 v[12:13], v[4:5], v[10:11], v[2:3]
	v_fma_f64 v[2:3], -v[2:3], v[10:11], v[4:5]
	v_div_fixup_f64 v[6:7], v[8:9], v[6:7], 1.0
	s_delay_alu instid0(VALU_DEP_1) | instskip(NEXT) | instid1(VALU_DEP_3)
	v_mul_f64_e32 v[10:11], v[12:13], v[6:7]
	v_mul_f64_e32 v[12:13], v[2:3], v[6:7]
	s_branch .LBB203_121
.LBB203_128:                            ;   in Loop: Header=BB203_3 Depth=1
	s_and_saveexec_b32 s27, s38
	s_cbranch_execz .LBB203_2
; %bb.129:                              ;   in Loop: Header=BB203_3 Depth=1
	v_add_nc_u64_e32 v[2:3], s[16:17], v[28:29]
	v_mov_b32_e32 v4, v34
	s_mov_b32 s16, s33
.LBB203_130:                            ;   Parent Loop BB203_3 Depth=1
                                        ; =>  This Inner Loop Header: Depth=2
	ds_load_2addr_b64 v[6:9], v4 offset1:1
	v_add_nc_u32_e32 v4, 64, v4
	s_add_co_i32 s16, s16, -1
	s_delay_alu instid0(SALU_CYCLE_1)
	s_cmp_lg_u32 s16, 0
	s_wait_dscnt 0x0
	global_store_b128 v[2:3], v[6:9], off
	s_wait_xcnt 0x0
	v_add_nc_u64_e32 v[2:3], s[14:15], v[2:3]
	s_cbranch_scc1 .LBB203_130
	s_branch .LBB203_2
.LBB203_131:
	s_endpgm
	.section	.rodata,"a",@progbits
	.p2align	6, 0x0
	.amdhsa_kernel _ZL31rocblas_trsm_small_right_deviceI19rocblas_complex_numIdES1_PKS1_PS1_Li4EEv13rocblas_fill_18rocblas_operation_17rocblas_diagonal_iiT0_T1_lilT2_lili
		.amdhsa_group_segment_fixed_size 512
		.amdhsa_private_segment_fixed_size 0
		.amdhsa_kernarg_size 368
		.amdhsa_user_sgpr_count 2
		.amdhsa_user_sgpr_dispatch_ptr 0
		.amdhsa_user_sgpr_queue_ptr 0
		.amdhsa_user_sgpr_kernarg_segment_ptr 1
		.amdhsa_user_sgpr_dispatch_id 0
		.amdhsa_user_sgpr_kernarg_preload_length 0
		.amdhsa_user_sgpr_kernarg_preload_offset 0
		.amdhsa_user_sgpr_private_segment_size 0
		.amdhsa_wavefront_size32 1
		.amdhsa_uses_dynamic_stack 0
		.amdhsa_enable_private_segment 0
		.amdhsa_system_sgpr_workgroup_id_x 1
		.amdhsa_system_sgpr_workgroup_id_y 0
		.amdhsa_system_sgpr_workgroup_id_z 1
		.amdhsa_system_sgpr_workgroup_info 0
		.amdhsa_system_vgpr_workitem_id 0
		.amdhsa_next_free_vgpr 50
		.amdhsa_next_free_sgpr 58
		.amdhsa_named_barrier_count 0
		.amdhsa_reserve_vcc 1
		.amdhsa_float_round_mode_32 0
		.amdhsa_float_round_mode_16_64 0
		.amdhsa_float_denorm_mode_32 3
		.amdhsa_float_denorm_mode_16_64 3
		.amdhsa_fp16_overflow 0
		.amdhsa_memory_ordered 1
		.amdhsa_forward_progress 1
		.amdhsa_inst_pref_size 106
		.amdhsa_round_robin_scheduling 0
		.amdhsa_exception_fp_ieee_invalid_op 0
		.amdhsa_exception_fp_denorm_src 0
		.amdhsa_exception_fp_ieee_div_zero 0
		.amdhsa_exception_fp_ieee_overflow 0
		.amdhsa_exception_fp_ieee_underflow 0
		.amdhsa_exception_fp_ieee_inexact 0
		.amdhsa_exception_int_div_zero 0
	.end_amdhsa_kernel
	.section	.text._ZL31rocblas_trsm_small_right_deviceI19rocblas_complex_numIdES1_PKS1_PS1_Li4EEv13rocblas_fill_18rocblas_operation_17rocblas_diagonal_iiT0_T1_lilT2_lili,"axG",@progbits,_ZL31rocblas_trsm_small_right_deviceI19rocblas_complex_numIdES1_PKS1_PS1_Li4EEv13rocblas_fill_18rocblas_operation_17rocblas_diagonal_iiT0_T1_lilT2_lili,comdat
.Lfunc_end203:
	.size	_ZL31rocblas_trsm_small_right_deviceI19rocblas_complex_numIdES1_PKS1_PS1_Li4EEv13rocblas_fill_18rocblas_operation_17rocblas_diagonal_iiT0_T1_lilT2_lili, .Lfunc_end203-_ZL31rocblas_trsm_small_right_deviceI19rocblas_complex_numIdES1_PKS1_PS1_Li4EEv13rocblas_fill_18rocblas_operation_17rocblas_diagonal_iiT0_T1_lilT2_lili
                                        ; -- End function
	.set _ZL31rocblas_trsm_small_right_deviceI19rocblas_complex_numIdES1_PKS1_PS1_Li4EEv13rocblas_fill_18rocblas_operation_17rocblas_diagonal_iiT0_T1_lilT2_lili.num_vgpr, 50
	.set _ZL31rocblas_trsm_small_right_deviceI19rocblas_complex_numIdES1_PKS1_PS1_Li4EEv13rocblas_fill_18rocblas_operation_17rocblas_diagonal_iiT0_T1_lilT2_lili.num_agpr, 0
	.set _ZL31rocblas_trsm_small_right_deviceI19rocblas_complex_numIdES1_PKS1_PS1_Li4EEv13rocblas_fill_18rocblas_operation_17rocblas_diagonal_iiT0_T1_lilT2_lili.numbered_sgpr, 58
	.set _ZL31rocblas_trsm_small_right_deviceI19rocblas_complex_numIdES1_PKS1_PS1_Li4EEv13rocblas_fill_18rocblas_operation_17rocblas_diagonal_iiT0_T1_lilT2_lili.num_named_barrier, 0
	.set _ZL31rocblas_trsm_small_right_deviceI19rocblas_complex_numIdES1_PKS1_PS1_Li4EEv13rocblas_fill_18rocblas_operation_17rocblas_diagonal_iiT0_T1_lilT2_lili.private_seg_size, 0
	.set _ZL31rocblas_trsm_small_right_deviceI19rocblas_complex_numIdES1_PKS1_PS1_Li4EEv13rocblas_fill_18rocblas_operation_17rocblas_diagonal_iiT0_T1_lilT2_lili.uses_vcc, 1
	.set _ZL31rocblas_trsm_small_right_deviceI19rocblas_complex_numIdES1_PKS1_PS1_Li4EEv13rocblas_fill_18rocblas_operation_17rocblas_diagonal_iiT0_T1_lilT2_lili.uses_flat_scratch, 0
	.set _ZL31rocblas_trsm_small_right_deviceI19rocblas_complex_numIdES1_PKS1_PS1_Li4EEv13rocblas_fill_18rocblas_operation_17rocblas_diagonal_iiT0_T1_lilT2_lili.has_dyn_sized_stack, 0
	.set _ZL31rocblas_trsm_small_right_deviceI19rocblas_complex_numIdES1_PKS1_PS1_Li4EEv13rocblas_fill_18rocblas_operation_17rocblas_diagonal_iiT0_T1_lilT2_lili.has_recursion, 0
	.set _ZL31rocblas_trsm_small_right_deviceI19rocblas_complex_numIdES1_PKS1_PS1_Li4EEv13rocblas_fill_18rocblas_operation_17rocblas_diagonal_iiT0_T1_lilT2_lili.has_indirect_call, 0
	.section	.AMDGPU.csdata,"",@progbits
; Kernel info:
; codeLenInByte = 13524
; TotalNumSgprs: 60
; NumVgprs: 50
; ScratchSize: 0
; MemoryBound: 0
; FloatMode: 240
; IeeeMode: 1
; LDSByteSize: 512 bytes/workgroup (compile time only)
; SGPRBlocks: 0
; VGPRBlocks: 3
; NumSGPRsForWavesPerEU: 60
; NumVGPRsForWavesPerEU: 50
; NamedBarCnt: 0
; Occupancy: 16
; WaveLimiterHint : 0
; COMPUTE_PGM_RSRC2:SCRATCH_EN: 0
; COMPUTE_PGM_RSRC2:USER_SGPR: 2
; COMPUTE_PGM_RSRC2:TRAP_HANDLER: 0
; COMPUTE_PGM_RSRC2:TGID_X_EN: 1
; COMPUTE_PGM_RSRC2:TGID_Y_EN: 0
; COMPUTE_PGM_RSRC2:TGID_Z_EN: 1
; COMPUTE_PGM_RSRC2:TIDIG_COMP_CNT: 0
	.section	.text._ZL38rocblas_trsm_small_left_device_sharedBILi8ELi8ELb0E19rocblas_complex_numIdES1_PKS1_PS1_Ev13rocblas_fill_18rocblas_operation_17rocblas_diagonal_iiT3_T4_lilT5_lili,"axG",@progbits,_ZL38rocblas_trsm_small_left_device_sharedBILi8ELi8ELb0E19rocblas_complex_numIdES1_PKS1_PS1_Ev13rocblas_fill_18rocblas_operation_17rocblas_diagonal_iiT3_T4_lilT5_lili,comdat
	.globl	_ZL38rocblas_trsm_small_left_device_sharedBILi8ELi8ELb0E19rocblas_complex_numIdES1_PKS1_PS1_Ev13rocblas_fill_18rocblas_operation_17rocblas_diagonal_iiT3_T4_lilT5_lili ; -- Begin function _ZL38rocblas_trsm_small_left_device_sharedBILi8ELi8ELb0E19rocblas_complex_numIdES1_PKS1_PS1_Ev13rocblas_fill_18rocblas_operation_17rocblas_diagonal_iiT3_T4_lilT5_lili
	.p2align	8
	.type	_ZL38rocblas_trsm_small_left_device_sharedBILi8ELi8ELb0E19rocblas_complex_numIdES1_PKS1_PS1_Ev13rocblas_fill_18rocblas_operation_17rocblas_diagonal_iiT3_T4_lilT5_lili,@function
_ZL38rocblas_trsm_small_left_device_sharedBILi8ELi8ELb0E19rocblas_complex_numIdES1_PKS1_PS1_Ev13rocblas_fill_18rocblas_operation_17rocblas_diagonal_iiT3_T4_lilT5_lili: ; @_ZL38rocblas_trsm_small_left_device_sharedBILi8ELi8ELb0E19rocblas_complex_numIdES1_PKS1_PS1_Ev13rocblas_fill_18rocblas_operation_17rocblas_diagonal_iiT3_T4_lilT5_lili
; %bb.0:
	s_load_b32 s19, s[2:3], 0x68
	s_bfe_u32 s4, ttmp6, 0x40014
	s_lshr_b32 s5, ttmp7, 16
	s_add_co_i32 s4, s4, 1
	s_bfe_u32 s6, ttmp6, 0x40008
	s_mul_i32 s4, s5, s4
	s_getreg_b32 s8, hwreg(HW_REG_IB_STS2, 6, 4)
	s_add_co_i32 s6, s6, s4
	s_cmp_eq_u32 s8, 0
	s_mov_b32 s21, 0
	s_cselect_b32 s20, s5, s6
	s_wait_kmcnt 0x0
	s_cmp_ge_u32 s20, s19
	s_cbranch_scc1 .LBB204_62
; %bb.1:
	s_clause 0x1
	s_load_b32 s22, s[2:3], 0x38
	s_load_b96 s[16:18], s[2:3], 0x50
	s_load_b64 s[28:29], s[0:1], 0x4
	s_clause 0x3
	s_load_b128 s[4:7], s[2:3], 0x4
	s_load_b32 s9, s[2:3], 0x70
	s_load_b64 s[30:31], s[2:3], 0x60
	s_load_b128 s[12:15], s[2:3], 0x40
	v_and_b32_e32 v2, 0x3ff, v0
	v_bfe_u32 v3, v0, 10, 10
	v_bfe_u32 v0, v0, 20, 10
	s_delay_alu instid0(VALU_DEP_3) | instskip(NEXT) | instid1(VALU_DEP_1)
	v_dual_mov_b32 v9, 0 :: v_dual_lshlrev_b32 v8, 4, v2
	v_add_nc_u32_e32 v16, 0x400, v8
	s_wait_kmcnt 0x0
	s_ashr_i32 s23, s22, 31
	s_ashr_i32 s1, s18, 31
	s_lshr_b32 s28, s28, 16
	s_cmp_eq_u32 s4, 0x71
	s_mul_i32 s28, s28, s29
	s_cselect_b32 s0, -1, 0
	s_bfe_u32 s10, ttmp6, 0x4000c
	s_min_i32 s24, s6, 8
	s_add_co_i32 s10, s10, 1
	s_and_b32 s11, ttmp6, 15
	s_mul_i32 s10, ttmp9, s10
	s_add_co_i32 s9, s9, -1
	s_add_co_i32 s25, s24, -1
	s_add_co_i32 s11, s11, s10
	s_cmp_eq_u32 s8, 0
	v_mul_u32_u24_e32 v5, s28, v2
	s_cselect_b32 s10, ttmp9, s11
	v_mul_u32_u24_e32 v3, s29, v3
	s_lshl_b32 s8, s10, 3
	s_delay_alu instid0(SALU_CYCLE_1) | instskip(SKIP_1) | instid1(VALU_DEP_1)
	s_sub_co_i32 s7, s7, s8
	s_cmp_ge_u32 s10, s9
	v_add3_u32 v3, v5, v3, v0
	s_cselect_b32 s33, s7, 8
	s_ashr_i32 s9, s8, 31
	s_cmp_lg_u32 s5, 0x84
	v_cmp_gt_i32_e32 vcc_lo, s33, v2
	s_cselect_b32 s26, -1, 0
	s_cmp_gt_i32 s6, 0
	s_cselect_b32 s36, -1, 0
	s_cmp_lg_u32 s4, 0x6f
	s_cselect_b32 s27, -1, 0
	s_lshl_b64 s[34:35], s[8:9], 4
	s_lshl_b64 s[4:5], s[16:17], 4
	v_or_b32_e32 v1, s34, v8
	s_add_nc_u64 s[14:15], s[14:15], s[4:5]
	s_load_b256 s[4:11], s[2:3], 0x18
	s_lshl_b32 s17, s24, 7
	s_and_b32 s16, vcc_lo, s36
	v_mad_nc_u64_u32 v[10:11], v1, s18, s[14:15]
	s_addk_co_i32 s17, 0xff80
	s_delay_alu instid0(VALU_DEP_1)
	v_mad_u32 v4, s35, s18, v11
	s_wait_kmcnt 0x0
	s_lshl_b64 s[2:3], s[10:11], 4
	s_get_pc_i64 s[10:11]
	s_add_nc_u64 s[10:11], s[10:11], __const._ZL38rocblas_trsm_small_left_device_sharedBILi8ELi8ELb0E19rocblas_complex_numIdES1_PKS1_PS1_Ev13rocblas_fill_18rocblas_operation_17rocblas_diagonal_iiT3_T4_lilT5_lili.step_sizes@rel64+4
	s_add_nc_u64 s[2:3], s[8:9], s[2:3]
	s_lshl_b64 s[8:9], s[22:23], 4
	s_delay_alu instid0(VALU_DEP_1)
	v_mad_u32 v11, v1, s1, v4
	v_add_nc_u64_e32 v[0:1], s[2:3], v[8:9]
	v_cmp_gt_i32_e64 s1, s24, v2
	v_lshlrev_b32_e32 v2, 7, v2
	v_lshl_add_u32 v9, v3, 7, 0x800
	s_lshl_b64 s[2:3], s[12:13], 4
	s_lshl_b64 s[12:13], s[30:31], 4
	v_add_nc_u64_e32 v[12:13], 8, v[0:1]
	v_add_nc_u32_e32 v17, v8, v2
	v_add_nc_u64_e32 v[14:15], 8, v[10:11]
	s_branch .LBB204_3
.LBB204_2:                              ;   in Loop: Header=BB204_3 Depth=1
	s_or_b32 exec_lo, exec_lo, s18
	s_add_co_i32 s20, s20, 0x10000
	s_delay_alu instid0(SALU_CYCLE_1)
	s_cmp_lt_u32 s20, s19
	s_cbranch_scc0 .LBB204_62
.LBB204_3:                              ; =>This Loop Header: Depth=1
                                        ;     Child Loop BB204_5 Depth 2
                                        ;     Child Loop BB204_16 Depth 2
	;; [unrolled: 1-line block ×3, first 2 shown]
                                        ;       Child Loop BB204_23 Depth 3
                                        ;         Child Loop BB204_24 Depth 4
                                        ;         Child Loop BB204_27 Depth 4
                                        ;           Child Loop BB204_28 Depth 5
                                        ;         Child Loop BB204_32 Depth 4
                                        ;           Child Loop BB204_34 Depth 5
                                        ;     Child Loop BB204_42 Depth 2
                                        ;       Child Loop BB204_45 Depth 3
                                        ;         Child Loop BB204_46 Depth 4
                                        ;         Child Loop BB204_48 Depth 4
                                        ;           Child Loop BB204_49 Depth 5
                                        ;         Child Loop BB204_53 Depth 4
                                        ;           Child Loop BB204_55 Depth 5
                                        ;     Child Loop BB204_61 Depth 2
	s_and_saveexec_b32 s14, s1
	s_cbranch_execz .LBB204_14
; %bb.4:                                ;   in Loop: Header=BB204_3 Depth=1
	s_delay_alu instid0(VALU_DEP_3) | instskip(SKIP_2) | instid1(VALU_DEP_2)
	v_mad_nc_u64_u32 v[0:1], s2, s20, v[12:13]
	v_mov_b32_e32 v2, v8
	s_mov_b32 s15, s24
	v_mad_u32 v1, s3, s20, v1
.LBB204_5:                              ;   Parent Loop BB204_3 Depth=1
                                        ; =>  This Inner Loop Header: Depth=2
	global_load_b128 v[4:7], v[0:1], off offset:-8
	s_wait_xcnt 0x0
	v_add_nc_u64_e32 v[0:1], s[8:9], v[0:1]
	s_add_co_i32 s15, s15, -1
	s_delay_alu instid0(SALU_CYCLE_1) | instskip(SKIP_2) | instid1(VALU_DEP_1)
	s_cmp_eq_u32 s15, 0
	s_wait_loadcnt 0x0
	v_xor_b32_e32 v3, 0x80000000, v7
	v_cndmask_b32_e64 v7, v7, v3, s0
	ds_store_b128 v2, v[4:7]
	v_add_nc_u32_e32 v2, 0x80, v2
	s_cbranch_scc0 .LBB204_5
; %bb.6:                                ;   in Loop: Header=BB204_3 Depth=1
	s_and_b32 vcc_lo, exec_lo, s26
	s_cbranch_vccz .LBB204_12
; %bb.7:                                ;   in Loop: Header=BB204_3 Depth=1
	ds_load_b128 v[0:3], v17
                                        ; implicit-def: $vgpr6_vgpr7
	s_wait_dscnt 0x0
	v_cmp_ngt_f64_e64 s15, |v[0:1]|, |v[2:3]|
	s_and_saveexec_b32 s18, s15
	s_delay_alu instid0(SALU_CYCLE_1)
	s_xor_b32 s15, exec_lo, s18
	s_cbranch_execz .LBB204_9
; %bb.8:                                ;   in Loop: Header=BB204_3 Depth=1
	v_div_scale_f64 v[4:5], null, v[2:3], v[2:3], v[0:1]
	v_div_scale_f64 v[20:21], vcc_lo, v[0:1], v[2:3], v[0:1]
	s_delay_alu instid0(VALU_DEP_2) | instskip(SKIP_1) | instid1(TRANS32_DEP_1)
	v_rcp_f64_e32 v[6:7], v[4:5]
	v_nop
	v_fma_f64 v[18:19], -v[4:5], v[6:7], 1.0
	s_delay_alu instid0(VALU_DEP_1) | instskip(NEXT) | instid1(VALU_DEP_1)
	v_fmac_f64_e32 v[6:7], v[6:7], v[18:19]
	v_fma_f64 v[18:19], -v[4:5], v[6:7], 1.0
	s_delay_alu instid0(VALU_DEP_1) | instskip(NEXT) | instid1(VALU_DEP_1)
	v_fmac_f64_e32 v[6:7], v[6:7], v[18:19]
	v_mul_f64_e32 v[18:19], v[20:21], v[6:7]
	s_delay_alu instid0(VALU_DEP_1) | instskip(NEXT) | instid1(VALU_DEP_1)
	v_fma_f64 v[4:5], -v[4:5], v[18:19], v[20:21]
	v_div_fmas_f64 v[4:5], v[4:5], v[6:7], v[18:19]
	s_delay_alu instid0(VALU_DEP_1) | instskip(NEXT) | instid1(VALU_DEP_1)
	v_div_fixup_f64 v[4:5], v[4:5], v[2:3], v[0:1]
	v_fmac_f64_e32 v[2:3], v[0:1], v[4:5]
	s_delay_alu instid0(VALU_DEP_1) | instskip(SKIP_1) | instid1(VALU_DEP_2)
	v_div_scale_f64 v[0:1], null, v[2:3], v[2:3], 1.0
	v_div_scale_f64 v[20:21], vcc_lo, 1.0, v[2:3], 1.0
	v_rcp_f64_e32 v[6:7], v[0:1]
	v_nop
	s_delay_alu instid0(TRANS32_DEP_1) | instskip(NEXT) | instid1(VALU_DEP_1)
	v_fma_f64 v[18:19], -v[0:1], v[6:7], 1.0
	v_fmac_f64_e32 v[6:7], v[6:7], v[18:19]
	s_delay_alu instid0(VALU_DEP_1) | instskip(NEXT) | instid1(VALU_DEP_1)
	v_fma_f64 v[18:19], -v[0:1], v[6:7], 1.0
	v_fmac_f64_e32 v[6:7], v[6:7], v[18:19]
	s_delay_alu instid0(VALU_DEP_1) | instskip(NEXT) | instid1(VALU_DEP_1)
	v_mul_f64_e32 v[18:19], v[20:21], v[6:7]
	v_fma_f64 v[0:1], -v[0:1], v[18:19], v[20:21]
	s_delay_alu instid0(VALU_DEP_1) | instskip(SKIP_1) | instid1(VALU_DEP_2)
	v_div_fmas_f64 v[0:1], v[0:1], v[6:7], v[18:19]
	v_add_f64_e32 v[6:7], 0, v[4:5]
	v_div_fixup_f64 v[0:1], v[0:1], v[2:3], 1.0
	v_fma_f64 v[2:3], v[4:5], 0, -1.0
	s_delay_alu instid0(VALU_DEP_2) | instskip(NEXT) | instid1(VALU_DEP_2)
	v_mul_f64_e32 v[4:5], v[6:7], v[0:1]
	v_mul_f64_e32 v[6:7], v[2:3], v[0:1]
                                        ; implicit-def: $vgpr0_vgpr1
.LBB204_9:                              ;   in Loop: Header=BB204_3 Depth=1
	s_and_not1_saveexec_b32 s15, s15
	s_cbranch_execz .LBB204_11
; %bb.10:                               ;   in Loop: Header=BB204_3 Depth=1
	v_div_scale_f64 v[4:5], null, v[0:1], v[0:1], v[2:3]
	v_div_scale_f64 v[20:21], vcc_lo, v[2:3], v[0:1], v[2:3]
	s_delay_alu instid0(VALU_DEP_2) | instskip(SKIP_1) | instid1(TRANS32_DEP_1)
	v_rcp_f64_e32 v[6:7], v[4:5]
	v_nop
	v_fma_f64 v[18:19], -v[4:5], v[6:7], 1.0
	s_delay_alu instid0(VALU_DEP_1) | instskip(NEXT) | instid1(VALU_DEP_1)
	v_fmac_f64_e32 v[6:7], v[6:7], v[18:19]
	v_fma_f64 v[18:19], -v[4:5], v[6:7], 1.0
	s_delay_alu instid0(VALU_DEP_1) | instskip(NEXT) | instid1(VALU_DEP_1)
	v_fmac_f64_e32 v[6:7], v[6:7], v[18:19]
	v_mul_f64_e32 v[18:19], v[20:21], v[6:7]
	s_delay_alu instid0(VALU_DEP_1) | instskip(NEXT) | instid1(VALU_DEP_1)
	v_fma_f64 v[4:5], -v[4:5], v[18:19], v[20:21]
	v_div_fmas_f64 v[4:5], v[4:5], v[6:7], v[18:19]
	s_delay_alu instid0(VALU_DEP_1) | instskip(NEXT) | instid1(VALU_DEP_1)
	v_div_fixup_f64 v[4:5], v[4:5], v[0:1], v[2:3]
	v_fmac_f64_e32 v[0:1], v[2:3], v[4:5]
	s_delay_alu instid0(VALU_DEP_1) | instskip(SKIP_1) | instid1(VALU_DEP_2)
	v_div_scale_f64 v[2:3], null, v[0:1], v[0:1], 1.0
	v_div_scale_f64 v[20:21], vcc_lo, 1.0, v[0:1], 1.0
	v_rcp_f64_e32 v[6:7], v[2:3]
	v_nop
	s_delay_alu instid0(TRANS32_DEP_1) | instskip(NEXT) | instid1(VALU_DEP_1)
	v_fma_f64 v[18:19], -v[2:3], v[6:7], 1.0
	v_fmac_f64_e32 v[6:7], v[6:7], v[18:19]
	s_delay_alu instid0(VALU_DEP_1) | instskip(NEXT) | instid1(VALU_DEP_1)
	v_fma_f64 v[18:19], -v[2:3], v[6:7], 1.0
	v_fmac_f64_e32 v[6:7], v[6:7], v[18:19]
	s_delay_alu instid0(VALU_DEP_1) | instskip(NEXT) | instid1(VALU_DEP_1)
	v_mul_f64_e32 v[18:19], v[20:21], v[6:7]
	v_fma_f64 v[2:3], -v[2:3], v[18:19], v[20:21]
	s_delay_alu instid0(VALU_DEP_1) | instskip(SKIP_1) | instid1(VALU_DEP_2)
	v_div_fmas_f64 v[2:3], v[2:3], v[6:7], v[18:19]
	v_fma_f64 v[6:7], v[4:5], 0, 1.0
	v_div_fixup_f64 v[0:1], v[2:3], v[0:1], 1.0
	v_add_f64_e64 v[2:3], -v[4:5], 0
	s_delay_alu instid0(VALU_DEP_2) | instskip(NEXT) | instid1(VALU_DEP_2)
	v_mul_f64_e32 v[4:5], v[6:7], v[0:1]
	v_mul_f64_e32 v[6:7], v[2:3], v[0:1]
.LBB204_11:                             ;   in Loop: Header=BB204_3 Depth=1
	s_or_b32 exec_lo, exec_lo, s15
	s_branch .LBB204_13
.LBB204_12:                             ;   in Loop: Header=BB204_3 Depth=1
	v_mov_b64_e32 v[6:7], 0
	v_mov_b64_e32 v[4:5], 1.0
.LBB204_13:                             ;   in Loop: Header=BB204_3 Depth=1
	ds_store_b128 v17, v[4:7]
.LBB204_14:                             ;   in Loop: Header=BB204_3 Depth=1
	s_or_b32 exec_lo, exec_lo, s14
	s_mul_u64 s[14:15], s[12:13], s[20:21]
	s_and_saveexec_b32 s18, s16
	s_cbranch_execz .LBB204_17
; %bb.15:                               ;   in Loop: Header=BB204_3 Depth=1
	v_add_nc_u64_e32 v[0:1], s[14:15], v[14:15]
	v_mov_b32_e32 v2, v16
	s_mov_b32 s22, s24
.LBB204_16:                             ;   Parent Loop BB204_3 Depth=1
                                        ; =>  This Inner Loop Header: Depth=2
	global_load_b128 v[4:7], v[0:1], off offset:-8
	s_wait_xcnt 0x0
	v_add_nc_u64_e32 v[0:1], 16, v[0:1]
	s_add_co_i32 s22, s22, -1
	s_delay_alu instid0(SALU_CYCLE_1) | instskip(SKIP_3) | instid1(VALU_DEP_2)
	s_cmp_lg_u32 s22, 0
	s_wait_loadcnt 0x0
	v_mul_f64_e32 v[18:19], s[6:7], v[6:7]
	v_mul_f64_e32 v[20:21], s[4:5], v[6:7]
	v_fma_f64 v[18:19], s[4:5], v[4:5], -v[18:19]
	s_delay_alu instid0(VALU_DEP_2)
	v_fmac_f64_e32 v[20:21], s[6:7], v[4:5]
	ds_store_b128 v2, v[18:21]
	v_add_nc_u32_e32 v2, 0x80, v2
	s_cbranch_scc1 .LBB204_16
.LBB204_17:                             ;   in Loop: Header=BB204_3 Depth=1
	s_or_b32 exec_lo, exec_lo, s18
	s_delay_alu instid0(SALU_CYCLE_1)
	s_and_not1_b32 vcc_lo, exec_lo, s27
	s_mov_b32 s18, -1
	s_wait_dscnt 0x0
	; wave barrier
	s_cbranch_vccnz .LBB204_39
; %bb.18:                               ;   in Loop: Header=BB204_3 Depth=1
	s_mov_b32 s22, 0
	s_mov_b32 s18, 0
	s_branch .LBB204_20
.LBB204_19:                             ;   in Loop: Header=BB204_20 Depth=2
	s_cmp_lt_i32 s18, s24
	s_cselect_b32 s23, -1, 0
	s_add_co_i32 s28, s22, 1
	s_cmp_lt_u32 s22, 2
	s_wait_xcnt 0x0
	s_cselect_b32 s22, -1, 0
	s_delay_alu instid0(SALU_CYCLE_1) | instskip(NEXT) | instid1(SALU_CYCLE_1)
	s_and_b32 s22, s23, s22
	s_and_b32 vcc_lo, exec_lo, s22
	s_mov_b32 s22, s28
	s_cbranch_vccz .LBB204_38
.LBB204_20:                             ;   Parent Loop BB204_3 Depth=1
                                        ; =>  This Loop Header: Depth=2
                                        ;       Child Loop BB204_23 Depth 3
                                        ;         Child Loop BB204_24 Depth 4
                                        ;         Child Loop BB204_27 Depth 4
                                        ;           Child Loop BB204_28 Depth 5
                                        ;         Child Loop BB204_32 Depth 4
                                        ;           Child Loop BB204_34 Depth 5
	s_load_b32 s23, s[10:11], s22 offset:0x0 scale_offset
	s_wait_kmcnt 0x0
	s_add_co_i32 s28, s23, -1
	s_delay_alu instid0(SALU_CYCLE_1) | instskip(NEXT) | instid1(SALU_CYCLE_1)
	s_add_co_i32 s29, s28, s18
	s_cmp_ge_i32 s29, s24
	s_cbranch_scc1 .LBB204_19
; %bb.21:                               ;   in Loop: Header=BB204_20 Depth=2
	s_lshl_b32 s29, s18, 7
	s_max_i32 s30, s23, 1
	v_add_nc_u32_e32 v4, s29, v16
	s_lshl_b32 s31, s23, 7
	s_mul_i32 s33, s18, 0x90
	s_mul_i32 s34, s23, 0x90
	s_branch .LBB204_23
.LBB204_22:                             ;   in Loop: Header=BB204_23 Depth=3
	s_add_co_i32 s18, s18, s23
	v_add_nc_u32_e32 v4, s31, v4
	s_add_co_i32 s35, s28, s18
	s_add_co_i32 s29, s29, s31
	;; [unrolled: 1-line block ×3, first 2 shown]
	s_cmp_ge_i32 s35, s24
	s_cbranch_scc1 .LBB204_19
.LBB204_23:                             ;   Parent Loop BB204_3 Depth=1
                                        ;     Parent Loop BB204_20 Depth=2
                                        ; =>    This Loop Header: Depth=3
                                        ;         Child Loop BB204_24 Depth 4
                                        ;         Child Loop BB204_27 Depth 4
                                        ;           Child Loop BB204_28 Depth 5
                                        ;         Child Loop BB204_32 Depth 4
                                        ;           Child Loop BB204_34 Depth 5
	v_dual_mov_b32 v0, v9 :: v_dual_mov_b32 v1, v4
	s_mov_b32 s35, s30
.LBB204_24:                             ;   Parent Loop BB204_3 Depth=1
                                        ;     Parent Loop BB204_20 Depth=2
                                        ;       Parent Loop BB204_23 Depth=3
                                        ; =>      This Inner Loop Header: Depth=4
	ds_load_b128 v[18:21], v1
	v_add_nc_u32_e32 v1, 0x80, v1
	s_add_co_i32 s35, s35, -1
	s_delay_alu instid0(SALU_CYCLE_1)
	s_cmp_eq_u32 s35, 0
	s_wait_dscnt 0x0
	ds_store_b128 v0, v[18:21]
	v_add_nc_u32_e32 v0, 16, v0
	s_cbranch_scc0 .LBB204_24
; %bb.25:                               ;   in Loop: Header=BB204_23 Depth=3
	s_cmp_lt_i32 s18, 1
	s_cbranch_scc1 .LBB204_30
; %bb.26:                               ;   in Loop: Header=BB204_23 Depth=3
	s_mov_b32 s35, 0
	s_mov_b32 s36, s29
.LBB204_27:                             ;   Parent Loop BB204_3 Depth=1
                                        ;     Parent Loop BB204_20 Depth=2
                                        ;       Parent Loop BB204_23 Depth=3
                                        ; =>      This Loop Header: Depth=4
                                        ;           Child Loop BB204_28 Depth 5
	v_lshl_add_u32 v0, s35, 7, v16
	v_mov_b32_e32 v5, v9
	s_mov_b32 s37, s36
	s_mov_b32 s38, s30
	ds_load_b128 v[0:3], v0
.LBB204_28:                             ;   Parent Loop BB204_3 Depth=1
                                        ;     Parent Loop BB204_20 Depth=2
                                        ;       Parent Loop BB204_23 Depth=3
                                        ;         Parent Loop BB204_27 Depth=4
                                        ; =>        This Inner Loop Header: Depth=5
	v_mov_b32_e32 v6, s37
	s_add_co_i32 s38, s38, -1
	s_addk_co_i32 s37, 0x80
	s_cmp_eq_u32 s38, 0
	ds_load_b128 v[18:21], v6
	s_wait_dscnt 0x0
	v_mul_f64_e32 v[6:7], v[2:3], v[20:21]
	v_mul_f64_e32 v[22:23], v[0:1], v[20:21]
	s_delay_alu instid0(VALU_DEP_2) | instskip(NEXT) | instid1(VALU_DEP_2)
	v_fma_f64 v[6:7], v[0:1], v[18:19], -v[6:7]
	v_fmac_f64_e32 v[22:23], v[2:3], v[18:19]
	ds_load_b128 v[18:21], v5
	s_wait_dscnt 0x0
	v_add_f64_e64 v[18:19], v[18:19], -v[6:7]
	v_add_f64_e64 v[20:21], v[20:21], -v[22:23]
	ds_store_b128 v5, v[18:21]
	v_add_nc_u32_e32 v5, 16, v5
	s_cbranch_scc0 .LBB204_28
; %bb.29:                               ;   in Loop: Header=BB204_27 Depth=4
	s_add_co_i32 s35, s35, 1
	s_add_co_i32 s36, s36, 16
	s_cmp_eq_u32 s35, s18
	s_cbranch_scc0 .LBB204_27
.LBB204_30:                             ;   in Loop: Header=BB204_23 Depth=3
	s_lshl_b32 s35, s18, 7
	s_mov_b32 s36, 0
	s_mov_b32 s37, s33
	s_branch .LBB204_32
.LBB204_31:                             ;   in Loop: Header=BB204_32 Depth=4
	s_mulk_i32 s39, 0x90
	s_add_co_i32 s36, s36, 1
	v_mov_b32_e32 v6, s39
	s_addk_co_i32 s37, 0x80
	s_cmp_eq_u32 s36, s30
	ds_load_b128 v[18:21], v6
	s_wait_dscnt 0x0
	v_mul_f64_e32 v[6:7], v[20:21], v[2:3]
	v_mul_f64_e32 v[24:25], v[18:19], v[2:3]
	s_delay_alu instid0(VALU_DEP_2) | instskip(NEXT) | instid1(VALU_DEP_2)
	v_fma_f64 v[22:23], v[18:19], v[0:1], -v[6:7]
	v_fmac_f64_e32 v[24:25], v[20:21], v[0:1]
	v_add_nc_u32_e32 v0, s38, v16
	ds_store_b128 v5, v[22:25]
	ds_store_b128 v0, v[22:25]
	s_cbranch_scc1 .LBB204_22
.LBB204_32:                             ;   Parent Loop BB204_3 Depth=1
                                        ;     Parent Loop BB204_20 Depth=2
                                        ;       Parent Loop BB204_23 Depth=3
                                        ; =>      This Loop Header: Depth=4
                                        ;           Child Loop BB204_34 Depth 5
	v_lshl_add_u32 v5, s36, 4, v9
	s_cmp_lg_u32 s36, 0
	s_cbranch_scc0 .LBB204_36
; %bb.33:                               ;   in Loop: Header=BB204_32 Depth=4
	ds_load_b128 v[0:3], v5
	v_mov_b32_e32 v6, v9
	s_add_co_i32 s39, s36, s18
	s_mov_b32 s40, s37
	s_lshl_b32 s38, s39, 7
	s_mov_b32 s41, s36
.LBB204_34:                             ;   Parent Loop BB204_3 Depth=1
                                        ;     Parent Loop BB204_20 Depth=2
                                        ;       Parent Loop BB204_23 Depth=3
                                        ;         Parent Loop BB204_32 Depth=4
                                        ; =>        This Inner Loop Header: Depth=5
	v_mov_b32_e32 v7, s40
	s_add_co_i32 s41, s41, -1
	s_add_co_i32 s40, s40, 16
	s_cmp_eq_u32 s41, 0
	ds_load_b128 v[18:21], v6
	ds_load_b128 v[22:25], v7
	s_wait_dscnt 0x0
	v_dual_mul_f64 v[26:27], v[24:25], v[20:21] :: v_dual_add_nc_u32 v6, 16, v6
	v_mul_f64_e32 v[20:21], v[22:23], v[20:21]
	s_delay_alu instid0(VALU_DEP_2) | instskip(NEXT) | instid1(VALU_DEP_2)
	v_fma_f64 v[22:23], v[22:23], v[18:19], -v[26:27]
	v_fmac_f64_e32 v[20:21], v[24:25], v[18:19]
	s_delay_alu instid0(VALU_DEP_2) | instskip(NEXT) | instid1(VALU_DEP_2)
	v_add_f64_e64 v[0:1], v[0:1], -v[22:23]
	v_add_f64_e64 v[2:3], v[2:3], -v[20:21]
	ds_store_b128 v5, v[0:3]
	s_cbranch_scc0 .LBB204_34
; %bb.35:                               ;   in Loop: Header=BB204_32 Depth=4
	s_branch .LBB204_31
.LBB204_36:                             ;   in Loop: Header=BB204_32 Depth=4
                                        ; implicit-def: $vgpr0_vgpr1
                                        ; implicit-def: $sgpr39
                                        ; implicit-def: $sgpr38
	s_cbranch_execz .LBB204_31
; %bb.37:                               ;   in Loop: Header=BB204_32 Depth=4
	ds_load_b128 v[0:3], v9
	s_mov_b32 s38, s35
	s_mov_b32 s39, s18
	s_branch .LBB204_31
.LBB204_38:                             ;   in Loop: Header=BB204_3 Depth=1
	s_mov_b32 s18, 0
.LBB204_39:                             ;   in Loop: Header=BB204_3 Depth=1
	s_delay_alu instid0(SALU_CYCLE_1)
	s_and_b32 vcc_lo, exec_lo, s18
	s_cbranch_vccz .LBB204_59
; %bb.40:                               ;   in Loop: Header=BB204_3 Depth=1
	s_mov_b32 s22, 0
	s_mov_b32 s18, s25
	s_branch .LBB204_42
.LBB204_41:                             ;   in Loop: Header=BB204_42 Depth=2
	s_cmp_gt_i32 s18, -1
	s_cselect_b32 s23, -1, 0
	s_add_co_i32 s28, s22, 1
	s_cmp_lt_u32 s22, 2
	s_wait_xcnt 0x0
	s_cselect_b32 s22, -1, 0
	s_delay_alu instid0(SALU_CYCLE_1) | instskip(NEXT) | instid1(SALU_CYCLE_1)
	s_and_b32 s22, s23, s22
	s_and_not1_b32 vcc_lo, exec_lo, s22
	s_mov_b32 s22, s28
	s_cbranch_vccnz .LBB204_59
.LBB204_42:                             ;   Parent Loop BB204_3 Depth=1
                                        ; =>  This Loop Header: Depth=2
                                        ;       Child Loop BB204_45 Depth 3
                                        ;         Child Loop BB204_46 Depth 4
                                        ;         Child Loop BB204_48 Depth 4
                                        ;           Child Loop BB204_49 Depth 5
                                        ;         Child Loop BB204_53 Depth 4
                                        ;           Child Loop BB204_55 Depth 5
	s_load_b32 s23, s[10:11], s22 offset:0x0 scale_offset
	s_wait_kmcnt 0x0
	s_add_co_i32 s28, s23, -1
	s_delay_alu instid0(SALU_CYCLE_1)
	s_cmp_lt_i32 s18, s28
	s_cbranch_scc1 .LBB204_41
; %bb.43:                               ;   in Loop: Header=BB204_42 Depth=2
	v_lshl_add_u32 v4, s18, 7, v16
	s_lshl_b32 s30, s23, 7
	s_lshl_b32 s31, s18, 4
	;; [unrolled: 1-line block ×3, first 2 shown]
	s_max_i32 s29, s23, 1
	s_sub_co_i32 s30, 0, s30
	s_add_co_i32 s31, s17, s31
	s_sub_co_i32 s33, 0, s33
	s_mul_i32 s34, s18, 0x90
	s_mul_i32 s35, s23, 0xffffff70
	s_branch .LBB204_45
.LBB204_44:                             ;   in Loop: Header=BB204_45 Depth=3
	v_add_nc_u32_e32 v4, s30, v4
	s_sub_co_i32 s18, s18, s23
	s_add_co_i32 s31, s31, s33
	s_add_co_i32 s34, s34, s35
	s_cmp_lt_i32 s18, s28
	s_cbranch_scc1 .LBB204_41
.LBB204_45:                             ;   Parent Loop BB204_3 Depth=1
                                        ;     Parent Loop BB204_42 Depth=2
                                        ; =>    This Loop Header: Depth=3
                                        ;         Child Loop BB204_46 Depth 4
                                        ;         Child Loop BB204_48 Depth 4
                                        ;           Child Loop BB204_49 Depth 5
                                        ;         Child Loop BB204_53 Depth 4
                                        ;           Child Loop BB204_55 Depth 5
	v_dual_mov_b32 v0, v9 :: v_dual_mov_b32 v1, v4
	s_mov_b32 s36, s29
.LBB204_46:                             ;   Parent Loop BB204_3 Depth=1
                                        ;     Parent Loop BB204_42 Depth=2
                                        ;       Parent Loop BB204_45 Depth=3
                                        ; =>      This Inner Loop Header: Depth=4
	ds_load_b128 v[18:21], v1
	v_add_nc_u32_e32 v1, 0xffffff80, v1
	s_add_co_i32 s36, s36, -1
	s_delay_alu instid0(SALU_CYCLE_1)
	s_cmp_eq_u32 s36, 0
	s_wait_dscnt 0x0
	ds_store_b128 v0, v[18:21]
	v_add_nc_u32_e32 v0, 16, v0
	s_cbranch_scc0 .LBB204_46
; %bb.47:                               ;   in Loop: Header=BB204_45 Depth=3
	s_cmp_le_i32 s25, s18
	s_mov_b32 s36, s31
	s_mov_b32 s37, s25
	s_cbranch_scc1 .LBB204_51
.LBB204_48:                             ;   Parent Loop BB204_3 Depth=1
                                        ;     Parent Loop BB204_42 Depth=2
                                        ;       Parent Loop BB204_45 Depth=3
                                        ; =>      This Loop Header: Depth=4
                                        ;           Child Loop BB204_49 Depth 5
	v_lshl_add_u32 v0, s37, 7, v16
	v_mov_b32_e32 v5, v9
	s_mov_b32 s38, s36
	s_mov_b32 s39, s29
	ds_load_b128 v[0:3], v0
.LBB204_49:                             ;   Parent Loop BB204_3 Depth=1
                                        ;     Parent Loop BB204_42 Depth=2
                                        ;       Parent Loop BB204_45 Depth=3
                                        ;         Parent Loop BB204_48 Depth=4
                                        ; =>        This Inner Loop Header: Depth=5
	v_mov_b32_e32 v6, s38
	s_add_co_i32 s39, s39, -1
	s_add_co_i32 s38, s38, -16
	s_cmp_eq_u32 s39, 0
	ds_load_b128 v[18:21], v6
	s_wait_dscnt 0x0
	v_mul_f64_e32 v[6:7], v[2:3], v[20:21]
	v_mul_f64_e32 v[22:23], v[0:1], v[20:21]
	s_delay_alu instid0(VALU_DEP_2) | instskip(NEXT) | instid1(VALU_DEP_2)
	v_fma_f64 v[6:7], v[0:1], v[18:19], -v[6:7]
	v_fmac_f64_e32 v[22:23], v[2:3], v[18:19]
	ds_load_b128 v[18:21], v5
	s_wait_dscnt 0x0
	v_add_f64_e64 v[18:19], v[18:19], -v[6:7]
	v_add_f64_e64 v[20:21], v[20:21], -v[22:23]
	ds_store_b128 v5, v[18:21]
	v_add_nc_u32_e32 v5, 16, v5
	s_cbranch_scc0 .LBB204_49
; %bb.50:                               ;   in Loop: Header=BB204_48 Depth=4
	s_add_co_i32 s37, s37, -1
	s_addk_co_i32 s36, 0xff80
	s_cmp_le_i32 s37, s18
	s_cbranch_scc0 .LBB204_48
.LBB204_51:                             ;   in Loop: Header=BB204_45 Depth=3
	s_mov_b32 s36, 0
	s_mov_b32 s37, s34
	s_branch .LBB204_53
.LBB204_52:                             ;   in Loop: Header=BB204_53 Depth=4
	s_mul_i32 s39, s38, 0x90
	s_add_co_i32 s36, s36, 1
	v_mov_b32_e32 v6, s39
	s_add_co_i32 s37, s37, -16
	s_cmp_eq_u32 s36, s29
	ds_load_b128 v[18:21], v6
	s_wait_dscnt 0x0
	v_mul_f64_e32 v[6:7], v[20:21], v[2:3]
	v_mul_f64_e32 v[24:25], v[18:19], v[2:3]
	s_delay_alu instid0(VALU_DEP_2) | instskip(NEXT) | instid1(VALU_DEP_2)
	v_fma_f64 v[22:23], v[18:19], v[0:1], -v[6:7]
	v_fmac_f64_e32 v[24:25], v[20:21], v[0:1]
	v_lshl_add_u32 v0, s38, 7, v16
	ds_store_b128 v5, v[22:25]
	ds_store_b128 v0, v[22:25]
	s_cbranch_scc1 .LBB204_44
.LBB204_53:                             ;   Parent Loop BB204_3 Depth=1
                                        ;     Parent Loop BB204_42 Depth=2
                                        ;       Parent Loop BB204_45 Depth=3
                                        ; =>      This Loop Header: Depth=4
                                        ;           Child Loop BB204_55 Depth 5
	v_lshl_add_u32 v5, s36, 4, v9
	s_cmp_lg_u32 s36, 0
	s_cbranch_scc0 .LBB204_57
; %bb.54:                               ;   in Loop: Header=BB204_53 Depth=4
	ds_load_b128 v[0:3], v5
	v_mov_b32_e32 v6, v9
	s_sub_co_i32 s38, s18, s36
	s_mov_b32 s39, s37
	s_mov_b32 s40, s36
.LBB204_55:                             ;   Parent Loop BB204_3 Depth=1
                                        ;     Parent Loop BB204_42 Depth=2
                                        ;       Parent Loop BB204_45 Depth=3
                                        ;         Parent Loop BB204_53 Depth=4
                                        ; =>        This Inner Loop Header: Depth=5
	v_mov_b32_e32 v7, s39
	s_add_co_i32 s40, s40, -1
	s_addk_co_i32 s39, 0xff80
	s_cmp_eq_u32 s40, 0
	ds_load_b128 v[18:21], v6
	ds_load_b128 v[22:25], v7
	s_wait_dscnt 0x0
	v_dual_mul_f64 v[26:27], v[24:25], v[20:21] :: v_dual_add_nc_u32 v6, 16, v6
	v_mul_f64_e32 v[20:21], v[22:23], v[20:21]
	s_delay_alu instid0(VALU_DEP_2) | instskip(NEXT) | instid1(VALU_DEP_2)
	v_fma_f64 v[22:23], v[22:23], v[18:19], -v[26:27]
	v_fmac_f64_e32 v[20:21], v[24:25], v[18:19]
	s_delay_alu instid0(VALU_DEP_2) | instskip(NEXT) | instid1(VALU_DEP_2)
	v_add_f64_e64 v[0:1], v[0:1], -v[22:23]
	v_add_f64_e64 v[2:3], v[2:3], -v[20:21]
	ds_store_b128 v5, v[0:3]
	s_cbranch_scc0 .LBB204_55
; %bb.56:                               ;   in Loop: Header=BB204_53 Depth=4
	s_branch .LBB204_52
.LBB204_57:                             ;   in Loop: Header=BB204_53 Depth=4
                                        ; implicit-def: $vgpr0_vgpr1
                                        ; implicit-def: $sgpr38
	s_cbranch_execz .LBB204_52
; %bb.58:                               ;   in Loop: Header=BB204_53 Depth=4
	ds_load_b128 v[0:3], v9
	s_mov_b32 s38, s18
	s_branch .LBB204_52
.LBB204_59:                             ;   in Loop: Header=BB204_3 Depth=1
	s_wait_dscnt 0x0
	; wave barrier
	s_and_saveexec_b32 s18, s16
	s_cbranch_execz .LBB204_2
; %bb.60:                               ;   in Loop: Header=BB204_3 Depth=1
	v_add_nc_u64_e32 v[0:1], s[14:15], v[10:11]
	v_mov_b32_e32 v2, v16
	s_mov_b32 s14, s24
.LBB204_61:                             ;   Parent Loop BB204_3 Depth=1
                                        ; =>  This Inner Loop Header: Depth=2
	ds_load_2addr_b64 v[4:7], v2 offset1:1
	v_add_nc_u32_e32 v2, 0x80, v2
	s_add_co_i32 s14, s14, -1
	s_delay_alu instid0(SALU_CYCLE_1)
	s_cmp_lg_u32 s14, 0
	s_wait_dscnt 0x0
	global_store_b128 v[0:1], v[4:7], off
	s_wait_xcnt 0x0
	v_add_nc_u64_e32 v[0:1], 16, v[0:1]
	s_cbranch_scc1 .LBB204_61
	s_branch .LBB204_2
.LBB204_62:
	s_endpgm
	.section	.rodata,"a",@progbits
	.p2align	6, 0x0
	.amdhsa_kernel _ZL38rocblas_trsm_small_left_device_sharedBILi8ELi8ELb0E19rocblas_complex_numIdES1_PKS1_PS1_Ev13rocblas_fill_18rocblas_operation_17rocblas_diagonal_iiT3_T4_lilT5_lili
		.amdhsa_group_segment_fixed_size 3072
		.amdhsa_private_segment_fixed_size 0
		.amdhsa_kernarg_size 368
		.amdhsa_user_sgpr_count 4
		.amdhsa_user_sgpr_dispatch_ptr 1
		.amdhsa_user_sgpr_queue_ptr 0
		.amdhsa_user_sgpr_kernarg_segment_ptr 1
		.amdhsa_user_sgpr_dispatch_id 0
		.amdhsa_user_sgpr_kernarg_preload_length 0
		.amdhsa_user_sgpr_kernarg_preload_offset 0
		.amdhsa_user_sgpr_private_segment_size 0
		.amdhsa_wavefront_size32 1
		.amdhsa_uses_dynamic_stack 0
		.amdhsa_enable_private_segment 0
		.amdhsa_system_sgpr_workgroup_id_x 1
		.amdhsa_system_sgpr_workgroup_id_y 0
		.amdhsa_system_sgpr_workgroup_id_z 1
		.amdhsa_system_sgpr_workgroup_info 0
		.amdhsa_system_vgpr_workitem_id 2
		.amdhsa_next_free_vgpr 28
		.amdhsa_next_free_sgpr 42
		.amdhsa_named_barrier_count 0
		.amdhsa_reserve_vcc 1
		.amdhsa_float_round_mode_32 0
		.amdhsa_float_round_mode_16_64 0
		.amdhsa_float_denorm_mode_32 3
		.amdhsa_float_denorm_mode_16_64 3
		.amdhsa_fp16_overflow 0
		.amdhsa_memory_ordered 1
		.amdhsa_forward_progress 1
		.amdhsa_inst_pref_size 21
		.amdhsa_round_robin_scheduling 0
		.amdhsa_exception_fp_ieee_invalid_op 0
		.amdhsa_exception_fp_denorm_src 0
		.amdhsa_exception_fp_ieee_div_zero 0
		.amdhsa_exception_fp_ieee_overflow 0
		.amdhsa_exception_fp_ieee_underflow 0
		.amdhsa_exception_fp_ieee_inexact 0
		.amdhsa_exception_int_div_zero 0
	.end_amdhsa_kernel
	.section	.text._ZL38rocblas_trsm_small_left_device_sharedBILi8ELi8ELb0E19rocblas_complex_numIdES1_PKS1_PS1_Ev13rocblas_fill_18rocblas_operation_17rocblas_diagonal_iiT3_T4_lilT5_lili,"axG",@progbits,_ZL38rocblas_trsm_small_left_device_sharedBILi8ELi8ELb0E19rocblas_complex_numIdES1_PKS1_PS1_Ev13rocblas_fill_18rocblas_operation_17rocblas_diagonal_iiT3_T4_lilT5_lili,comdat
.Lfunc_end204:
	.size	_ZL38rocblas_trsm_small_left_device_sharedBILi8ELi8ELb0E19rocblas_complex_numIdES1_PKS1_PS1_Ev13rocblas_fill_18rocblas_operation_17rocblas_diagonal_iiT3_T4_lilT5_lili, .Lfunc_end204-_ZL38rocblas_trsm_small_left_device_sharedBILi8ELi8ELb0E19rocblas_complex_numIdES1_PKS1_PS1_Ev13rocblas_fill_18rocblas_operation_17rocblas_diagonal_iiT3_T4_lilT5_lili
                                        ; -- End function
	.set _ZL38rocblas_trsm_small_left_device_sharedBILi8ELi8ELb0E19rocblas_complex_numIdES1_PKS1_PS1_Ev13rocblas_fill_18rocblas_operation_17rocblas_diagonal_iiT3_T4_lilT5_lili.num_vgpr, 28
	.set _ZL38rocblas_trsm_small_left_device_sharedBILi8ELi8ELb0E19rocblas_complex_numIdES1_PKS1_PS1_Ev13rocblas_fill_18rocblas_operation_17rocblas_diagonal_iiT3_T4_lilT5_lili.num_agpr, 0
	.set _ZL38rocblas_trsm_small_left_device_sharedBILi8ELi8ELb0E19rocblas_complex_numIdES1_PKS1_PS1_Ev13rocblas_fill_18rocblas_operation_17rocblas_diagonal_iiT3_T4_lilT5_lili.numbered_sgpr, 42
	.set _ZL38rocblas_trsm_small_left_device_sharedBILi8ELi8ELb0E19rocblas_complex_numIdES1_PKS1_PS1_Ev13rocblas_fill_18rocblas_operation_17rocblas_diagonal_iiT3_T4_lilT5_lili.num_named_barrier, 0
	.set _ZL38rocblas_trsm_small_left_device_sharedBILi8ELi8ELb0E19rocblas_complex_numIdES1_PKS1_PS1_Ev13rocblas_fill_18rocblas_operation_17rocblas_diagonal_iiT3_T4_lilT5_lili.private_seg_size, 0
	.set _ZL38rocblas_trsm_small_left_device_sharedBILi8ELi8ELb0E19rocblas_complex_numIdES1_PKS1_PS1_Ev13rocblas_fill_18rocblas_operation_17rocblas_diagonal_iiT3_T4_lilT5_lili.uses_vcc, 1
	.set _ZL38rocblas_trsm_small_left_device_sharedBILi8ELi8ELb0E19rocblas_complex_numIdES1_PKS1_PS1_Ev13rocblas_fill_18rocblas_operation_17rocblas_diagonal_iiT3_T4_lilT5_lili.uses_flat_scratch, 0
	.set _ZL38rocblas_trsm_small_left_device_sharedBILi8ELi8ELb0E19rocblas_complex_numIdES1_PKS1_PS1_Ev13rocblas_fill_18rocblas_operation_17rocblas_diagonal_iiT3_T4_lilT5_lili.has_dyn_sized_stack, 0
	.set _ZL38rocblas_trsm_small_left_device_sharedBILi8ELi8ELb0E19rocblas_complex_numIdES1_PKS1_PS1_Ev13rocblas_fill_18rocblas_operation_17rocblas_diagonal_iiT3_T4_lilT5_lili.has_recursion, 0
	.set _ZL38rocblas_trsm_small_left_device_sharedBILi8ELi8ELb0E19rocblas_complex_numIdES1_PKS1_PS1_Ev13rocblas_fill_18rocblas_operation_17rocblas_diagonal_iiT3_T4_lilT5_lili.has_indirect_call, 0
	.section	.AMDGPU.csdata,"",@progbits
; Kernel info:
; codeLenInByte = 2648
; TotalNumSgprs: 44
; NumVgprs: 28
; ScratchSize: 0
; MemoryBound: 0
; FloatMode: 240
; IeeeMode: 1
; LDSByteSize: 3072 bytes/workgroup (compile time only)
; SGPRBlocks: 0
; VGPRBlocks: 1
; NumSGPRsForWavesPerEU: 44
; NumVGPRsForWavesPerEU: 28
; NamedBarCnt: 0
; Occupancy: 16
; WaveLimiterHint : 0
; COMPUTE_PGM_RSRC2:SCRATCH_EN: 0
; COMPUTE_PGM_RSRC2:USER_SGPR: 4
; COMPUTE_PGM_RSRC2:TRAP_HANDLER: 0
; COMPUTE_PGM_RSRC2:TGID_X_EN: 1
; COMPUTE_PGM_RSRC2:TGID_Y_EN: 0
; COMPUTE_PGM_RSRC2:TGID_Z_EN: 1
; COMPUTE_PGM_RSRC2:TIDIG_COMP_CNT: 2
	.section	.text._ZL30rocblas_trsm_small_left_deviceILi8ELi8ELb0E19rocblas_complex_numIdES1_PKS1_PS1_Ev13rocblas_fill_18rocblas_operation_17rocblas_diagonal_iiT3_T4_lilT5_lili,"axG",@progbits,_ZL30rocblas_trsm_small_left_deviceILi8ELi8ELb0E19rocblas_complex_numIdES1_PKS1_PS1_Ev13rocblas_fill_18rocblas_operation_17rocblas_diagonal_iiT3_T4_lilT5_lili,comdat
	.globl	_ZL30rocblas_trsm_small_left_deviceILi8ELi8ELb0E19rocblas_complex_numIdES1_PKS1_PS1_Ev13rocblas_fill_18rocblas_operation_17rocblas_diagonal_iiT3_T4_lilT5_lili ; -- Begin function _ZL30rocblas_trsm_small_left_deviceILi8ELi8ELb0E19rocblas_complex_numIdES1_PKS1_PS1_Ev13rocblas_fill_18rocblas_operation_17rocblas_diagonal_iiT3_T4_lilT5_lili
	.p2align	8
	.type	_ZL30rocblas_trsm_small_left_deviceILi8ELi8ELb0E19rocblas_complex_numIdES1_PKS1_PS1_Ev13rocblas_fill_18rocblas_operation_17rocblas_diagonal_iiT3_T4_lilT5_lili,@function
_ZL30rocblas_trsm_small_left_deviceILi8ELi8ELb0E19rocblas_complex_numIdES1_PKS1_PS1_Ev13rocblas_fill_18rocblas_operation_17rocblas_diagonal_iiT3_T4_lilT5_lili: ; @_ZL30rocblas_trsm_small_left_deviceILi8ELi8ELb0E19rocblas_complex_numIdES1_PKS1_PS1_Ev13rocblas_fill_18rocblas_operation_17rocblas_diagonal_iiT3_T4_lilT5_lili
; %bb.0:
	s_load_b32 s33, s[2:3], 0x68
	s_bfe_u32 s4, ttmp6, 0x40014
	s_lshr_b32 s5, ttmp7, 16
	s_add_co_i32 s4, s4, 1
	s_bfe_u32 s6, ttmp6, 0x40008
	s_mul_i32 s4, s5, s4
	s_getreg_b32 s7, hwreg(HW_REG_IB_STS2, 6, 4)
	s_add_co_i32 s6, s6, s4
	s_cmp_eq_u32 s7, 0
	s_mov_b32 s23, 0
	s_cselect_b32 s20, s5, s6
	s_wait_kmcnt 0x0
	s_cmp_ge_u32 s20, s33
	s_cbranch_scc1 .LBB205_58
; %bb.1:
	s_clause 0x1
	s_load_b32 s26, s[2:3], 0x38
	s_load_b96 s[4:6], s[2:3], 0x50
	s_load_b64 s[28:29], s[0:1], 0x4
	s_clause 0x3
	s_load_b128 s[12:15], s[2:3], 0x4
	s_load_b32 s8, s[2:3], 0x70
	s_load_b64 s[24:25], s[2:3], 0x60
	s_load_b128 s[16:19], s[2:3], 0x40
	v_and_b32_e32 v4, 0x3ff, v0
	v_bfe_u32 v1, v0, 10, 10
	v_bfe_u32 v0, v0, 20, 10
	s_mov_b32 s38, 0
	s_delay_alu instid0(VALU_DEP_3) | instskip(SKIP_1) | instid1(VALU_DEP_1)
	v_dual_mov_b32 v9, 0 :: v_dual_lshlrev_b32 v6, 7, v4
	v_lshlrev_b32_e32 v8, 4, v4
	v_add_nc_u32_e32 v18, v8, v6
	s_wait_kmcnt 0x0
	s_ashr_i32 s27, s26, 31
	s_ashr_i32 s9, s6, 31
	s_lshr_b32 s1, s28, 16
	s_cmp_eq_u32 s12, 0x71
	s_mul_i32 s1, s1, s29
	s_cselect_b32 s0, -1, 0
	s_lshl_b64 s[30:31], s[4:5], 4
	s_bfe_u32 s4, ttmp6, 0x4000c
	s_min_i32 s34, s14, 8
	s_add_co_i32 s4, s4, 1
	s_and_b32 s5, ttmp6, 15
	s_mul_i32 s4, ttmp9, s4
	s_add_co_i32 s14, s8, -1
	s_add_co_i32 s35, s34, -1
	s_add_co_i32 s5, s5, s4
	s_cmp_eq_u32 s7, 0
	s_mov_b32 s8, s6
	s_cselect_b32 s21, ttmp9, s5
	v_mul_u32_u24_e32 v1, s29, v1
	s_lshl_b32 s22, s21, 3
	v_mul_u32_u24_e32 v5, s1, v4
	v_or_b32_e32 v2, s22, v4
	v_cmp_gt_i32_e64 s1, s34, v4
	s_delay_alu instid0(VALU_DEP_3) | instskip(NEXT) | instid1(VALU_DEP_3)
	v_add3_u32 v5, v5, v1, v0
	v_ashrrev_i32_e32 v3, 31, v2
	s_delay_alu instid0(VALU_DEP_1)
	v_mul_u64_e32 v[2:3], s[8:9], v[2:3]
	s_load_b256 s[4:11], s[2:3], 0x18
	s_wait_xcnt 0x0
	s_sub_co_i32 s2, s15, s22
	s_cmp_ge_u32 s21, s14
	s_cselect_b32 s2, s2, 8
	s_cmp_lg_u32 s13, 0x84
	v_cmp_gt_i32_e64 s2, s2, v4
	s_cselect_b32 s3, -1, 0
	s_cmp_lg_u32 s12, 0x6f
	s_get_pc_i64 s[12:13]
	s_add_nc_u64 s[12:13], s[12:13], __const._ZL30rocblas_trsm_small_left_deviceILi8ELi8ELb0E19rocblas_complex_numIdES1_PKS1_PS1_Ev13rocblas_fill_18rocblas_operation_17rocblas_diagonal_iiT3_T4_lilT5_lili.step_sizes@rel64+4
	s_cselect_b32 s36, -1, 0
	s_lshl_b32 s37, s34, 7
	s_lshl_b64 s[14:15], s[24:25], 4
	s_addk_co_i32 s37, 0xff80
	s_wait_kmcnt 0x0
	s_lshl_b64 s[10:11], s[10:11], 4
	s_delay_alu instid0(SALU_CYCLE_1) | instskip(SKIP_4) | instid1(VALU_DEP_2)
	s_add_nc_u64 s[8:9], s[8:9], s[10:11]
	s_add_nc_u64 s[10:11], s[18:19], s[30:31]
	v_add_nc_u64_e32 v[0:1], s[8:9], v[8:9]
	v_lshl_add_u32 v9, v5, 7, 0x400
	s_lshl_b64 s[8:9], s[16:17], 4
	v_add_nc_u64_e32 v[12:13], 8, v[0:1]
	v_lshl_add_u64 v[10:11], v[2:3], 4, s[10:11]
	s_lshl_b64 s[10:11], s[26:27], 4
	s_delay_alu instid0(VALU_DEP_1)
	v_add_nc_u64_e32 v[14:15], 8, v[10:11]
	s_branch .LBB205_4
.LBB205_2:                              ;   in Loop: Header=BB205_4 Depth=1
	s_add_co_i32 s20, s20, 0x10000
	s_delay_alu instid0(SALU_CYCLE_1) | instskip(SKIP_1) | instid1(SALU_CYCLE_1)
	s_cmp_ge_u32 s20, s33
	s_cselect_b32 s16, -1, 0
	s_or_not1_b32 s16, s16, exec_lo
.LBB205_3:                              ;   in Loop: Header=BB205_4 Depth=1
	s_wait_xcnt 0x0
	s_or_b32 exec_lo, exec_lo, s39
	s_delay_alu instid0(SALU_CYCLE_1) | instskip(NEXT) | instid1(SALU_CYCLE_1)
	s_and_b32 s16, exec_lo, s16
	s_or_b32 s38, s16, s38
	s_delay_alu instid0(SALU_CYCLE_1)
	s_and_not1_b32 exec_lo, exec_lo, s38
	s_cbranch_execz .LBB205_58
.LBB205_4:                              ; =>This Loop Header: Depth=1
                                        ;     Child Loop BB205_6 Depth 2
                                        ;     Child Loop BB205_19 Depth 2
                                        ;       Child Loop BB205_22 Depth 3
                                        ;         Child Loop BB205_23 Depth 4
                                        ;         Child Loop BB205_26 Depth 4
                                        ;           Child Loop BB205_27 Depth 5
                                        ;         Child Loop BB205_31 Depth 4
                                        ;           Child Loop BB205_33 Depth 5
                                        ;     Child Loop BB205_41 Depth 2
                                        ;       Child Loop BB205_44 Depth 3
                                        ;         Child Loop BB205_45 Depth 4
                                        ;         Child Loop BB205_47 Depth 4
                                        ;           Child Loop BB205_48 Depth 5
                                        ;         Child Loop BB205_52 Depth 4
                                        ;           Child Loop BB205_54 Depth 5
	s_mov_b32 s21, s23
	s_and_saveexec_b32 s16, s1
	s_cbranch_execz .LBB205_15
; %bb.5:                                ;   in Loop: Header=BB205_4 Depth=1
	v_mad_nc_u64_u32 v[0:1], s8, s20, v[12:13]
	v_mov_b32_e32 v2, v8
	s_mov_b32 s17, s34
	s_delay_alu instid0(VALU_DEP_2)
	v_mad_u32 v1, s9, s20, v1
.LBB205_6:                              ;   Parent Loop BB205_4 Depth=1
                                        ; =>  This Inner Loop Header: Depth=2
	global_load_b128 v[4:7], v[0:1], off offset:-8
	s_wait_xcnt 0x0
	v_add_nc_u64_e32 v[0:1], s[10:11], v[0:1]
	s_add_co_i32 s17, s17, -1
	s_delay_alu instid0(SALU_CYCLE_1) | instskip(SKIP_2) | instid1(VALU_DEP_1)
	s_cmp_eq_u32 s17, 0
	s_wait_loadcnt 0x0
	v_xor_b32_e32 v3, 0x80000000, v7
	v_cndmask_b32_e64 v7, v7, v3, s0
	ds_store_b128 v2, v[4:7]
	v_add_nc_u32_e32 v2, 0x80, v2
	s_cbranch_scc0 .LBB205_6
; %bb.7:                                ;   in Loop: Header=BB205_4 Depth=1
	s_and_b32 vcc_lo, exec_lo, s3
	s_cbranch_vccz .LBB205_13
; %bb.8:                                ;   in Loop: Header=BB205_4 Depth=1
	ds_load_b128 v[0:3], v18
                                        ; implicit-def: $vgpr6_vgpr7
	s_wait_dscnt 0x0
	v_cmp_ngt_f64_e64 s17, |v[0:1]|, |v[2:3]|
	s_and_saveexec_b32 s18, s17
	s_delay_alu instid0(SALU_CYCLE_1)
	s_xor_b32 s17, exec_lo, s18
	s_cbranch_execz .LBB205_10
; %bb.9:                                ;   in Loop: Header=BB205_4 Depth=1
	v_div_scale_f64 v[4:5], null, v[2:3], v[2:3], v[0:1]
	v_div_scale_f64 v[20:21], vcc_lo, v[0:1], v[2:3], v[0:1]
	s_delay_alu instid0(VALU_DEP_2) | instskip(SKIP_1) | instid1(TRANS32_DEP_1)
	v_rcp_f64_e32 v[6:7], v[4:5]
	v_nop
	v_fma_f64 v[16:17], -v[4:5], v[6:7], 1.0
	s_delay_alu instid0(VALU_DEP_1) | instskip(NEXT) | instid1(VALU_DEP_1)
	v_fmac_f64_e32 v[6:7], v[6:7], v[16:17]
	v_fma_f64 v[16:17], -v[4:5], v[6:7], 1.0
	s_delay_alu instid0(VALU_DEP_1) | instskip(NEXT) | instid1(VALU_DEP_1)
	v_fmac_f64_e32 v[6:7], v[6:7], v[16:17]
	v_mul_f64_e32 v[16:17], v[20:21], v[6:7]
	s_delay_alu instid0(VALU_DEP_1) | instskip(NEXT) | instid1(VALU_DEP_1)
	v_fma_f64 v[4:5], -v[4:5], v[16:17], v[20:21]
	v_div_fmas_f64 v[4:5], v[4:5], v[6:7], v[16:17]
	s_delay_alu instid0(VALU_DEP_1) | instskip(NEXT) | instid1(VALU_DEP_1)
	v_div_fixup_f64 v[4:5], v[4:5], v[2:3], v[0:1]
	v_fmac_f64_e32 v[2:3], v[0:1], v[4:5]
	s_delay_alu instid0(VALU_DEP_1) | instskip(SKIP_1) | instid1(VALU_DEP_2)
	v_div_scale_f64 v[0:1], null, v[2:3], v[2:3], 1.0
	v_div_scale_f64 v[20:21], vcc_lo, 1.0, v[2:3], 1.0
	v_rcp_f64_e32 v[6:7], v[0:1]
	v_nop
	s_delay_alu instid0(TRANS32_DEP_1) | instskip(NEXT) | instid1(VALU_DEP_1)
	v_fma_f64 v[16:17], -v[0:1], v[6:7], 1.0
	v_fmac_f64_e32 v[6:7], v[6:7], v[16:17]
	s_delay_alu instid0(VALU_DEP_1) | instskip(NEXT) | instid1(VALU_DEP_1)
	v_fma_f64 v[16:17], -v[0:1], v[6:7], 1.0
	v_fmac_f64_e32 v[6:7], v[6:7], v[16:17]
	s_delay_alu instid0(VALU_DEP_1) | instskip(NEXT) | instid1(VALU_DEP_1)
	v_mul_f64_e32 v[16:17], v[20:21], v[6:7]
	v_fma_f64 v[0:1], -v[0:1], v[16:17], v[20:21]
	s_delay_alu instid0(VALU_DEP_1) | instskip(SKIP_1) | instid1(VALU_DEP_2)
	v_div_fmas_f64 v[0:1], v[0:1], v[6:7], v[16:17]
	v_add_f64_e32 v[6:7], 0, v[4:5]
	v_div_fixup_f64 v[0:1], v[0:1], v[2:3], 1.0
	v_fma_f64 v[2:3], v[4:5], 0, -1.0
	s_delay_alu instid0(VALU_DEP_2) | instskip(NEXT) | instid1(VALU_DEP_2)
	v_mul_f64_e32 v[4:5], v[6:7], v[0:1]
	v_mul_f64_e32 v[6:7], v[2:3], v[0:1]
                                        ; implicit-def: $vgpr0_vgpr1
.LBB205_10:                             ;   in Loop: Header=BB205_4 Depth=1
	s_and_not1_saveexec_b32 s17, s17
	s_cbranch_execz .LBB205_12
; %bb.11:                               ;   in Loop: Header=BB205_4 Depth=1
	v_div_scale_f64 v[4:5], null, v[0:1], v[0:1], v[2:3]
	v_div_scale_f64 v[20:21], vcc_lo, v[2:3], v[0:1], v[2:3]
	s_delay_alu instid0(VALU_DEP_2) | instskip(SKIP_1) | instid1(TRANS32_DEP_1)
	v_rcp_f64_e32 v[6:7], v[4:5]
	v_nop
	v_fma_f64 v[16:17], -v[4:5], v[6:7], 1.0
	s_delay_alu instid0(VALU_DEP_1) | instskip(NEXT) | instid1(VALU_DEP_1)
	v_fmac_f64_e32 v[6:7], v[6:7], v[16:17]
	v_fma_f64 v[16:17], -v[4:5], v[6:7], 1.0
	s_delay_alu instid0(VALU_DEP_1) | instskip(NEXT) | instid1(VALU_DEP_1)
	v_fmac_f64_e32 v[6:7], v[6:7], v[16:17]
	v_mul_f64_e32 v[16:17], v[20:21], v[6:7]
	s_delay_alu instid0(VALU_DEP_1) | instskip(NEXT) | instid1(VALU_DEP_1)
	v_fma_f64 v[4:5], -v[4:5], v[16:17], v[20:21]
	v_div_fmas_f64 v[4:5], v[4:5], v[6:7], v[16:17]
	s_delay_alu instid0(VALU_DEP_1) | instskip(NEXT) | instid1(VALU_DEP_1)
	v_div_fixup_f64 v[4:5], v[4:5], v[0:1], v[2:3]
	v_fmac_f64_e32 v[0:1], v[2:3], v[4:5]
	s_delay_alu instid0(VALU_DEP_1) | instskip(SKIP_1) | instid1(VALU_DEP_2)
	v_div_scale_f64 v[2:3], null, v[0:1], v[0:1], 1.0
	v_div_scale_f64 v[20:21], vcc_lo, 1.0, v[0:1], 1.0
	v_rcp_f64_e32 v[6:7], v[2:3]
	v_nop
	s_delay_alu instid0(TRANS32_DEP_1) | instskip(NEXT) | instid1(VALU_DEP_1)
	v_fma_f64 v[16:17], -v[2:3], v[6:7], 1.0
	v_fmac_f64_e32 v[6:7], v[6:7], v[16:17]
	s_delay_alu instid0(VALU_DEP_1) | instskip(NEXT) | instid1(VALU_DEP_1)
	v_fma_f64 v[16:17], -v[2:3], v[6:7], 1.0
	v_fmac_f64_e32 v[6:7], v[6:7], v[16:17]
	s_delay_alu instid0(VALU_DEP_1) | instskip(NEXT) | instid1(VALU_DEP_1)
	v_mul_f64_e32 v[16:17], v[20:21], v[6:7]
	v_fma_f64 v[2:3], -v[2:3], v[16:17], v[20:21]
	s_delay_alu instid0(VALU_DEP_1) | instskip(SKIP_1) | instid1(VALU_DEP_2)
	v_div_fmas_f64 v[2:3], v[2:3], v[6:7], v[16:17]
	v_fma_f64 v[6:7], v[4:5], 0, 1.0
	v_div_fixup_f64 v[0:1], v[2:3], v[0:1], 1.0
	v_add_f64_e64 v[2:3], -v[4:5], 0
	s_delay_alu instid0(VALU_DEP_2) | instskip(NEXT) | instid1(VALU_DEP_2)
	v_mul_f64_e32 v[4:5], v[6:7], v[0:1]
	v_mul_f64_e32 v[6:7], v[2:3], v[0:1]
.LBB205_12:                             ;   in Loop: Header=BB205_4 Depth=1
	s_or_b32 exec_lo, exec_lo, s17
	s_branch .LBB205_14
.LBB205_13:                             ;   in Loop: Header=BB205_4 Depth=1
	v_mov_b64_e32 v[6:7], 0
	v_mov_b64_e32 v[4:5], 1.0
.LBB205_14:                             ;   in Loop: Header=BB205_4 Depth=1
	ds_store_b128 v18, v[4:7]
.LBB205_15:                             ;   in Loop: Header=BB205_4 Depth=1
	s_or_b32 exec_lo, exec_lo, s16
	s_mov_b32 s16, -1
	s_wait_dscnt 0x0
	; wave barrier
	s_and_saveexec_b32 s39, s2
	s_cbranch_execz .LBB205_3
; %bb.16:                               ;   in Loop: Header=BB205_4 Depth=1
	s_mul_u64 s[16:17], s[24:25], s[20:21]
	s_and_not1_b32 vcc_lo, exec_lo, s36
	v_lshl_add_u64 v[4:5], s[16:17], 4, v[10:11]
	s_mul_u64 s[16:17], s[14:15], s[20:21]
	s_mov_b32 s18, -1
	s_cbranch_vccnz .LBB205_38
; %bb.17:                               ;   in Loop: Header=BB205_4 Depth=1
	v_add_nc_u64_e32 v[6:7], s[16:17], v[14:15]
	s_mov_b32 s21, 0
	s_mov_b32 s18, 0
	s_branch .LBB205_19
.LBB205_18:                             ;   in Loop: Header=BB205_19 Depth=2
	s_cmp_lt_i32 s18, s34
	s_cselect_b32 s19, -1, 0
	s_add_co_i32 s22, s21, 1
	s_cmp_lt_u32 s21, 2
	s_wait_xcnt 0x0
	s_cselect_b32 s21, -1, 0
	s_delay_alu instid0(SALU_CYCLE_1)
	s_and_b32 s19, s19, s21
	s_mov_b32 s21, s22
	s_and_b32 vcc_lo, exec_lo, s19
	s_cbranch_vccz .LBB205_37
.LBB205_19:                             ;   Parent Loop BB205_4 Depth=1
                                        ; =>  This Loop Header: Depth=2
                                        ;       Child Loop BB205_22 Depth 3
                                        ;         Child Loop BB205_23 Depth 4
                                        ;         Child Loop BB205_26 Depth 4
                                        ;           Child Loop BB205_27 Depth 5
                                        ;         Child Loop BB205_31 Depth 4
                                        ;           Child Loop BB205_33 Depth 5
	s_load_b32 s26, s[12:13], s21 offset:0x0 scale_offset
	s_wait_kmcnt 0x0
	s_add_co_i32 s40, s26, -1
	s_delay_alu instid0(SALU_CYCLE_1) | instskip(NEXT) | instid1(SALU_CYCLE_1)
	s_add_co_i32 s19, s40, s18
	s_cmp_ge_i32 s19, s34
	s_cbranch_scc1 .LBB205_18
; %bb.20:                               ;   in Loop: Header=BB205_19 Depth=2
	s_ashr_i32 s19, s18, 31
	s_ashr_i32 s27, s26, 31
	v_lshl_add_u64 v[16:17], s[18:19], 4, v[6:7]
	s_max_i32 s41, s26, 1
	s_lshl_b64 s[28:29], s[26:27], 4
	s_lshl_b32 s19, s18, 7
	s_lshl_b32 s27, s26, 7
	s_mul_i32 s42, s18, 0x90
	s_mul_i32 s43, s26, 0x90
	s_branch .LBB205_22
.LBB205_21:                             ;   in Loop: Header=BB205_22 Depth=3
	v_add_nc_u64_e32 v[16:17], s[28:29], v[16:17]
	s_add_co_i32 s18, s18, s26
	s_add_co_i32 s19, s19, s27
	;; [unrolled: 1-line block ×4, first 2 shown]
	s_cmp_ge_i32 s22, s34
	s_cbranch_scc1 .LBB205_18
.LBB205_22:                             ;   Parent Loop BB205_4 Depth=1
                                        ;     Parent Loop BB205_19 Depth=2
                                        ; =>    This Loop Header: Depth=3
                                        ;         Child Loop BB205_23 Depth 4
                                        ;         Child Loop BB205_26 Depth 4
                                        ;           Child Loop BB205_27 Depth 5
                                        ;         Child Loop BB205_31 Depth 4
                                        ;           Child Loop BB205_33 Depth 5
	s_wait_xcnt 0x0
	v_mov_b64_e32 v[0:1], v[16:17]
	v_mov_b32_e32 v2, v9
	s_mov_b32 s22, s41
.LBB205_23:                             ;   Parent Loop BB205_4 Depth=1
                                        ;     Parent Loop BB205_19 Depth=2
                                        ;       Parent Loop BB205_22 Depth=3
                                        ; =>      This Inner Loop Header: Depth=4
	global_load_b128 v[20:23], v[0:1], off offset:-8
	s_wait_xcnt 0x0
	v_add_nc_u64_e32 v[0:1], 16, v[0:1]
	s_add_co_i32 s22, s22, -1
	s_delay_alu instid0(SALU_CYCLE_1) | instskip(SKIP_3) | instid1(VALU_DEP_2)
	s_cmp_eq_u32 s22, 0
	s_wait_loadcnt 0x0
	v_mul_f64_e32 v[26:27], s[6:7], v[22:23]
	v_mul_f64_e32 v[24:25], s[4:5], v[22:23]
	v_fma_f64 v[22:23], s[4:5], v[20:21], -v[26:27]
	s_delay_alu instid0(VALU_DEP_2)
	v_fmac_f64_e32 v[24:25], s[6:7], v[20:21]
	ds_store_b128 v2, v[22:25]
	v_add_nc_u32_e32 v2, 16, v2
	s_cbranch_scc0 .LBB205_23
; %bb.24:                               ;   in Loop: Header=BB205_22 Depth=3
	s_cmp_lt_i32 s18, 1
	s_cbranch_scc1 .LBB205_29
; %bb.25:                               ;   in Loop: Header=BB205_22 Depth=3
	s_mov_b32 s22, 0
	s_mov_b32 s30, s19
.LBB205_26:                             ;   Parent Loop BB205_4 Depth=1
                                        ;     Parent Loop BB205_19 Depth=2
                                        ;       Parent Loop BB205_22 Depth=3
                                        ; =>      This Loop Header: Depth=4
                                        ;           Child Loop BB205_27 Depth 5
	s_wait_xcnt 0x0
	v_lshl_add_u64 v[0:1], s[22:23], 4, v[4:5]
	v_mov_b32_e32 v19, v9
	s_mov_b32 s31, s30
	s_mov_b32 s44, s41
	global_load_b128 v[0:3], v[0:1], off
.LBB205_27:                             ;   Parent Loop BB205_4 Depth=1
                                        ;     Parent Loop BB205_19 Depth=2
                                        ;       Parent Loop BB205_22 Depth=3
                                        ;         Parent Loop BB205_26 Depth=4
                                        ; =>        This Inner Loop Header: Depth=5
	v_mov_b32_e32 v20, s31
	s_add_co_i32 s44, s44, -1
	s_addk_co_i32 s31, 0x80
	s_cmp_eq_u32 s44, 0
	ds_load_b128 v[20:23], v20
	s_wait_loadcnt_dscnt 0x0
	v_mul_f64_e32 v[24:25], v[2:3], v[22:23]
	v_mul_f64_e32 v[26:27], v[0:1], v[22:23]
	s_delay_alu instid0(VALU_DEP_2) | instskip(NEXT) | instid1(VALU_DEP_2)
	v_fma_f64 v[24:25], v[0:1], v[20:21], -v[24:25]
	v_fmac_f64_e32 v[26:27], v[2:3], v[20:21]
	ds_load_b128 v[20:23], v19
	s_wait_dscnt 0x0
	v_add_f64_e64 v[20:21], v[20:21], -v[24:25]
	v_add_f64_e64 v[22:23], v[22:23], -v[26:27]
	ds_store_b128 v19, v[20:23]
	v_add_nc_u32_e32 v19, 16, v19
	s_cbranch_scc0 .LBB205_27
; %bb.28:                               ;   in Loop: Header=BB205_26 Depth=4
	s_add_co_i32 s22, s22, 1
	s_add_co_i32 s30, s30, 16
	s_cmp_eq_u32 s22, s18
	s_cbranch_scc0 .LBB205_26
.LBB205_29:                             ;   in Loop: Header=BB205_22 Depth=3
	s_mov_b32 s22, 0
	s_mov_b32 s44, s42
	s_branch .LBB205_31
.LBB205_30:                             ;   in Loop: Header=BB205_31 Depth=4
	s_mul_i32 s31, s30, 0x90
	s_add_co_i32 s22, s22, 1
	v_mov_b32_e32 v20, s31
	s_ashr_i32 s31, s30, 31
	s_addk_co_i32 s44, 0x80
	s_cmp_eq_u32 s22, s41
	ds_load_b128 v[20:23], v20
	s_wait_dscnt 0x0
	s_wait_xcnt 0x0
	v_mul_f64_e32 v[24:25], v[22:23], v[2:3]
	v_mul_f64_e32 v[26:27], v[20:21], v[2:3]
	s_delay_alu instid0(VALU_DEP_2) | instskip(NEXT) | instid1(VALU_DEP_2)
	v_fma_f64 v[24:25], v[20:21], v[0:1], -v[24:25]
	v_fmac_f64_e32 v[26:27], v[22:23], v[0:1]
	v_lshl_add_u64 v[0:1], s[30:31], 4, v[4:5]
	ds_store_b128 v19, v[24:27]
	global_store_b128 v[0:1], v[24:27], off
	s_cbranch_scc1 .LBB205_21
.LBB205_31:                             ;   Parent Loop BB205_4 Depth=1
                                        ;     Parent Loop BB205_19 Depth=2
                                        ;       Parent Loop BB205_22 Depth=3
                                        ; =>      This Loop Header: Depth=4
                                        ;           Child Loop BB205_33 Depth 5
	v_lshl_add_u32 v19, s22, 4, v9
	s_cmp_lg_u32 s22, 0
	s_cbranch_scc0 .LBB205_35
; %bb.32:                               ;   in Loop: Header=BB205_31 Depth=4
	s_wait_xcnt 0x0
	ds_load_b128 v[0:3], v19
	v_mov_b32_e32 v20, v9
	s_add_co_i32 s30, s22, s18
	s_mov_b32 s31, s44
	s_mov_b32 s45, s22
.LBB205_33:                             ;   Parent Loop BB205_4 Depth=1
                                        ;     Parent Loop BB205_19 Depth=2
                                        ;       Parent Loop BB205_22 Depth=3
                                        ;         Parent Loop BB205_31 Depth=4
                                        ; =>        This Inner Loop Header: Depth=5
	v_mov_b32_e32 v21, s31
	s_add_co_i32 s45, s45, -1
	s_add_co_i32 s31, s31, 16
	s_cmp_eq_u32 s45, 0
	ds_load_b128 v[22:25], v20
	ds_load_b128 v[26:29], v21
	v_add_nc_u32_e32 v20, 16, v20
	s_wait_dscnt 0x0
	v_mul_f64_e32 v[30:31], v[28:29], v[24:25]
	v_mul_f64_e32 v[24:25], v[26:27], v[24:25]
	s_delay_alu instid0(VALU_DEP_2) | instskip(NEXT) | instid1(VALU_DEP_2)
	v_fma_f64 v[26:27], v[26:27], v[22:23], -v[30:31]
	v_fmac_f64_e32 v[24:25], v[28:29], v[22:23]
	s_delay_alu instid0(VALU_DEP_2) | instskip(NEXT) | instid1(VALU_DEP_2)
	v_add_f64_e64 v[0:1], v[0:1], -v[26:27]
	v_add_f64_e64 v[2:3], v[2:3], -v[24:25]
	ds_store_b128 v19, v[0:3]
	s_cbranch_scc0 .LBB205_33
; %bb.34:                               ;   in Loop: Header=BB205_31 Depth=4
	s_branch .LBB205_30
.LBB205_35:                             ;   in Loop: Header=BB205_31 Depth=4
                                        ; implicit-def: $vgpr0_vgpr1
                                        ; implicit-def: $sgpr30
	s_cbranch_execz .LBB205_30
; %bb.36:                               ;   in Loop: Header=BB205_31 Depth=4
	s_wait_xcnt 0x0
	ds_load_b128 v[0:3], v9
	s_mov_b32 s30, s18
	s_branch .LBB205_30
.LBB205_37:                             ;   in Loop: Header=BB205_4 Depth=1
	s_mov_b32 s18, 0
.LBB205_38:                             ;   in Loop: Header=BB205_4 Depth=1
	s_delay_alu instid0(SALU_CYCLE_1)
	s_and_b32 vcc_lo, exec_lo, s18
	s_cbranch_vccz .LBB205_2
; %bb.39:                               ;   in Loop: Header=BB205_4 Depth=1
	v_add_nc_u64_e32 v[6:7], s[16:17], v[14:15]
	s_mov_b32 s21, 0
	s_mov_b32 s16, s35
	s_branch .LBB205_41
.LBB205_40:                             ;   in Loop: Header=BB205_41 Depth=2
	s_cmp_gt_i32 s16, -1
	s_cselect_b32 s17, -1, 0
	s_add_co_i32 s18, s21, 1
	s_cmp_lt_u32 s21, 2
	s_mov_b32 s21, s18
	s_cselect_b32 s19, -1, 0
	s_delay_alu instid0(SALU_CYCLE_1) | instskip(NEXT) | instid1(SALU_CYCLE_1)
	s_and_b32 s17, s17, s19
	s_and_not1_b32 vcc_lo, exec_lo, s17
	s_cbranch_vccnz .LBB205_2
.LBB205_41:                             ;   Parent Loop BB205_4 Depth=1
                                        ; =>  This Loop Header: Depth=2
                                        ;       Child Loop BB205_44 Depth 3
                                        ;         Child Loop BB205_45 Depth 4
                                        ;         Child Loop BB205_47 Depth 4
                                        ;           Child Loop BB205_48 Depth 5
                                        ;         Child Loop BB205_52 Depth 4
                                        ;           Child Loop BB205_54 Depth 5
	s_load_b32 s22, s[12:13], s21 offset:0x0 scale_offset
	s_wait_kmcnt 0x0
	s_add_co_i32 s28, s22, -1
	s_delay_alu instid0(SALU_CYCLE_1)
	s_cmp_lt_i32 s16, s28
	s_cbranch_scc1 .LBB205_40
; %bb.42:                               ;   in Loop: Header=BB205_41 Depth=2
	s_lshl_b32 s17, s16, 4
	s_lshl_b32 s18, s22, 4
	s_max_i32 s29, s22, 1
	s_add_co_i32 s30, s37, s17
	s_sub_co_i32 s31, 0, s18
	s_mul_i32 s40, s16, 0x90
	s_mul_i32 s41, s22, 0xffffff70
	s_branch .LBB205_44
.LBB205_43:                             ;   in Loop: Header=BB205_44 Depth=3
	s_sub_co_i32 s16, s16, s22
	s_add_co_i32 s30, s30, s31
	s_add_co_i32 s40, s40, s41
	s_cmp_lt_i32 s16, s28
	s_cbranch_scc1 .LBB205_40
.LBB205_44:                             ;   Parent Loop BB205_4 Depth=1
                                        ;     Parent Loop BB205_41 Depth=2
                                        ; =>    This Loop Header: Depth=3
                                        ;         Child Loop BB205_45 Depth 4
                                        ;         Child Loop BB205_47 Depth 4
                                        ;           Child Loop BB205_48 Depth 5
                                        ;         Child Loop BB205_52 Depth 4
                                        ;           Child Loop BB205_54 Depth 5
	s_ashr_i32 s17, s16, 31
	v_mov_b32_e32 v2, v9
	s_wait_xcnt 0x0
	v_lshl_add_u64 v[0:1], s[16:17], 4, v[6:7]
	s_mov_b32 s18, s29
.LBB205_45:                             ;   Parent Loop BB205_4 Depth=1
                                        ;     Parent Loop BB205_41 Depth=2
                                        ;       Parent Loop BB205_44 Depth=3
                                        ; =>      This Inner Loop Header: Depth=4
	global_load_b128 v[20:23], v[0:1], off offset:-8
	s_wait_xcnt 0x0
	v_add_nc_u64_e32 v[0:1], -16, v[0:1]
	s_add_co_i32 s18, s18, -1
	s_delay_alu instid0(SALU_CYCLE_1) | instskip(SKIP_3) | instid1(VALU_DEP_2)
	s_cmp_eq_u32 s18, 0
	s_wait_loadcnt 0x0
	v_mul_f64_e32 v[16:17], s[6:7], v[22:23]
	v_mul_f64_e32 v[24:25], s[4:5], v[22:23]
	v_fma_f64 v[22:23], s[4:5], v[20:21], -v[16:17]
	s_delay_alu instid0(VALU_DEP_2)
	v_fmac_f64_e32 v[24:25], s[6:7], v[20:21]
	ds_store_b128 v2, v[22:25]
	v_add_nc_u32_e32 v2, 16, v2
	s_cbranch_scc0 .LBB205_45
; %bb.46:                               ;   in Loop: Header=BB205_44 Depth=3
	s_cmp_le_i32 s35, s16
	s_mov_b32 s26, s30
	s_mov_b32 s18, s35
	s_cbranch_scc1 .LBB205_50
.LBB205_47:                             ;   Parent Loop BB205_4 Depth=1
                                        ;     Parent Loop BB205_41 Depth=2
                                        ;       Parent Loop BB205_44 Depth=3
                                        ; =>      This Loop Header: Depth=4
                                        ;           Child Loop BB205_48 Depth 5
	s_ashr_i32 s19, s18, 31
	v_mov_b32_e32 v16, v9
	s_wait_xcnt 0x0
	v_lshl_add_u64 v[0:1], s[18:19], 4, v[4:5]
	s_mov_b32 s19, s26
	s_mov_b32 s27, s29
	global_load_b128 v[0:3], v[0:1], off
.LBB205_48:                             ;   Parent Loop BB205_4 Depth=1
                                        ;     Parent Loop BB205_41 Depth=2
                                        ;       Parent Loop BB205_44 Depth=3
                                        ;         Parent Loop BB205_47 Depth=4
                                        ; =>        This Inner Loop Header: Depth=5
	v_mov_b32_e32 v17, s19
	s_add_co_i32 s27, s27, -1
	s_add_co_i32 s19, s19, -16
	s_cmp_eq_u32 s27, 0
	ds_load_b128 v[20:23], v17
	s_wait_loadcnt_dscnt 0x0
	v_mul_f64_e32 v[24:25], v[2:3], v[22:23]
	v_mul_f64_e32 v[26:27], v[0:1], v[22:23]
	s_delay_alu instid0(VALU_DEP_2) | instskip(NEXT) | instid1(VALU_DEP_2)
	v_fma_f64 v[24:25], v[0:1], v[20:21], -v[24:25]
	v_fmac_f64_e32 v[26:27], v[2:3], v[20:21]
	ds_load_b128 v[20:23], v16
	s_wait_dscnt 0x0
	v_add_f64_e64 v[20:21], v[20:21], -v[24:25]
	v_add_f64_e64 v[22:23], v[22:23], -v[26:27]
	ds_store_b128 v16, v[20:23]
	v_add_nc_u32_e32 v16, 16, v16
	s_cbranch_scc0 .LBB205_48
; %bb.49:                               ;   in Loop: Header=BB205_47 Depth=4
	s_add_co_i32 s18, s18, -1
	s_addk_co_i32 s26, 0xff80
	s_cmp_le_i32 s18, s16
	s_cbranch_scc0 .LBB205_47
.LBB205_50:                             ;   in Loop: Header=BB205_44 Depth=3
	s_mov_b32 s42, 0
	s_mov_b32 s43, s40
	s_branch .LBB205_52
.LBB205_51:                             ;   in Loop: Header=BB205_52 Depth=4
	s_mulk_i32 s26, 0x90
	s_add_co_i32 s42, s42, 1
	v_mov_b32_e32 v17, s26
	s_add_co_i32 s43, s43, -16
	s_cmp_eq_u32 s42, s29
	ds_load_b128 v[20:23], v17
	s_wait_dscnt 0x0
	s_wait_xcnt 0x0
	v_mul_f64_e32 v[24:25], v[22:23], v[2:3]
	v_mul_f64_e32 v[26:27], v[20:21], v[2:3]
	s_delay_alu instid0(VALU_DEP_2) | instskip(NEXT) | instid1(VALU_DEP_2)
	v_fma_f64 v[24:25], v[20:21], v[0:1], -v[24:25]
	v_fmac_f64_e32 v[26:27], v[22:23], v[0:1]
	s_wait_xcnt 0x0
	v_lshl_add_u64 v[0:1], s[18:19], 4, v[4:5]
	ds_store_b128 v16, v[24:27]
	global_store_b128 v[0:1], v[24:27], off
	s_cbranch_scc1 .LBB205_43
.LBB205_52:                             ;   Parent Loop BB205_4 Depth=1
                                        ;     Parent Loop BB205_41 Depth=2
                                        ;       Parent Loop BB205_44 Depth=3
                                        ; =>      This Loop Header: Depth=4
                                        ;           Child Loop BB205_54 Depth 5
	v_lshl_add_u32 v16, s42, 4, v9
	s_cmp_lg_u32 s42, 0
	s_cbranch_scc0 .LBB205_56
; %bb.53:                               ;   in Loop: Header=BB205_52 Depth=4
	s_wait_xcnt 0x0
	ds_load_b128 v[0:3], v16
	v_mov_b32_e32 v17, v9
	s_mov_b32 s18, s43
	s_mov_b32 s19, s42
.LBB205_54:                             ;   Parent Loop BB205_4 Depth=1
                                        ;     Parent Loop BB205_41 Depth=2
                                        ;       Parent Loop BB205_44 Depth=3
                                        ;         Parent Loop BB205_52 Depth=4
                                        ; =>        This Inner Loop Header: Depth=5
	v_mov_b32_e32 v19, s18
	s_add_co_i32 s19, s19, -1
	s_addk_co_i32 s18, 0xff80
	s_cmp_eq_u32 s19, 0
	ds_load_b128 v[20:23], v17
	ds_load_b128 v[24:27], v19
	s_wait_dscnt 0x0
	v_dual_mul_f64 v[28:29], v[26:27], v[22:23] :: v_dual_add_nc_u32 v17, 16, v17
	v_mul_f64_e32 v[22:23], v[24:25], v[22:23]
	s_delay_alu instid0(VALU_DEP_2) | instskip(NEXT) | instid1(VALU_DEP_2)
	v_fma_f64 v[24:25], v[24:25], v[20:21], -v[28:29]
	v_fmac_f64_e32 v[22:23], v[26:27], v[20:21]
	s_delay_alu instid0(VALU_DEP_2) | instskip(NEXT) | instid1(VALU_DEP_2)
	v_add_f64_e64 v[0:1], v[0:1], -v[24:25]
	v_add_f64_e64 v[2:3], v[2:3], -v[22:23]
	ds_store_b128 v16, v[0:3]
	s_cbranch_scc0 .LBB205_54
; %bb.55:                               ;   in Loop: Header=BB205_52 Depth=4
	s_sub_co_i32 s26, s16, s42
	s_delay_alu instid0(SALU_CYCLE_1) | instskip(NEXT) | instid1(SALU_CYCLE_1)
	s_ashr_i32 s27, s26, 31
	s_mov_b64 s[18:19], s[26:27]
	s_branch .LBB205_51
.LBB205_56:                             ;   in Loop: Header=BB205_52 Depth=4
                                        ; implicit-def: $vgpr0_vgpr1
                                        ; implicit-def: $sgpr26
                                        ; implicit-def: $sgpr18_sgpr19
	s_cbranch_execz .LBB205_51
; %bb.57:                               ;   in Loop: Header=BB205_52 Depth=4
	s_wait_xcnt 0x0
	ds_load_b128 v[0:3], v9
	s_mov_b64 s[18:19], s[16:17]
	s_mov_b32 s26, s16
	s_branch .LBB205_51
.LBB205_58:
	s_endpgm
	.section	.rodata,"a",@progbits
	.p2align	6, 0x0
	.amdhsa_kernel _ZL30rocblas_trsm_small_left_deviceILi8ELi8ELb0E19rocblas_complex_numIdES1_PKS1_PS1_Ev13rocblas_fill_18rocblas_operation_17rocblas_diagonal_iiT3_T4_lilT5_lili
		.amdhsa_group_segment_fixed_size 2048
		.amdhsa_private_segment_fixed_size 0
		.amdhsa_kernarg_size 368
		.amdhsa_user_sgpr_count 4
		.amdhsa_user_sgpr_dispatch_ptr 1
		.amdhsa_user_sgpr_queue_ptr 0
		.amdhsa_user_sgpr_kernarg_segment_ptr 1
		.amdhsa_user_sgpr_dispatch_id 0
		.amdhsa_user_sgpr_kernarg_preload_length 0
		.amdhsa_user_sgpr_kernarg_preload_offset 0
		.amdhsa_user_sgpr_private_segment_size 0
		.amdhsa_wavefront_size32 1
		.amdhsa_uses_dynamic_stack 0
		.amdhsa_enable_private_segment 0
		.amdhsa_system_sgpr_workgroup_id_x 1
		.amdhsa_system_sgpr_workgroup_id_y 0
		.amdhsa_system_sgpr_workgroup_id_z 1
		.amdhsa_system_sgpr_workgroup_info 0
		.amdhsa_system_vgpr_workitem_id 2
		.amdhsa_next_free_vgpr 32
		.amdhsa_next_free_sgpr 46
		.amdhsa_named_barrier_count 0
		.amdhsa_reserve_vcc 1
		.amdhsa_float_round_mode_32 0
		.amdhsa_float_round_mode_16_64 0
		.amdhsa_float_denorm_mode_32 3
		.amdhsa_float_denorm_mode_16_64 3
		.amdhsa_fp16_overflow 0
		.amdhsa_memory_ordered 1
		.amdhsa_forward_progress 1
		.amdhsa_inst_pref_size 21
		.amdhsa_round_robin_scheduling 0
		.amdhsa_exception_fp_ieee_invalid_op 0
		.amdhsa_exception_fp_denorm_src 0
		.amdhsa_exception_fp_ieee_div_zero 0
		.amdhsa_exception_fp_ieee_overflow 0
		.amdhsa_exception_fp_ieee_underflow 0
		.amdhsa_exception_fp_ieee_inexact 0
		.amdhsa_exception_int_div_zero 0
	.end_amdhsa_kernel
	.section	.text._ZL30rocblas_trsm_small_left_deviceILi8ELi8ELb0E19rocblas_complex_numIdES1_PKS1_PS1_Ev13rocblas_fill_18rocblas_operation_17rocblas_diagonal_iiT3_T4_lilT5_lili,"axG",@progbits,_ZL30rocblas_trsm_small_left_deviceILi8ELi8ELb0E19rocblas_complex_numIdES1_PKS1_PS1_Ev13rocblas_fill_18rocblas_operation_17rocblas_diagonal_iiT3_T4_lilT5_lili,comdat
.Lfunc_end205:
	.size	_ZL30rocblas_trsm_small_left_deviceILi8ELi8ELb0E19rocblas_complex_numIdES1_PKS1_PS1_Ev13rocblas_fill_18rocblas_operation_17rocblas_diagonal_iiT3_T4_lilT5_lili, .Lfunc_end205-_ZL30rocblas_trsm_small_left_deviceILi8ELi8ELb0E19rocblas_complex_numIdES1_PKS1_PS1_Ev13rocblas_fill_18rocblas_operation_17rocblas_diagonal_iiT3_T4_lilT5_lili
                                        ; -- End function
	.set _ZL30rocblas_trsm_small_left_deviceILi8ELi8ELb0E19rocblas_complex_numIdES1_PKS1_PS1_Ev13rocblas_fill_18rocblas_operation_17rocblas_diagonal_iiT3_T4_lilT5_lili.num_vgpr, 32
	.set _ZL30rocblas_trsm_small_left_deviceILi8ELi8ELb0E19rocblas_complex_numIdES1_PKS1_PS1_Ev13rocblas_fill_18rocblas_operation_17rocblas_diagonal_iiT3_T4_lilT5_lili.num_agpr, 0
	.set _ZL30rocblas_trsm_small_left_deviceILi8ELi8ELb0E19rocblas_complex_numIdES1_PKS1_PS1_Ev13rocblas_fill_18rocblas_operation_17rocblas_diagonal_iiT3_T4_lilT5_lili.numbered_sgpr, 46
	.set _ZL30rocblas_trsm_small_left_deviceILi8ELi8ELb0E19rocblas_complex_numIdES1_PKS1_PS1_Ev13rocblas_fill_18rocblas_operation_17rocblas_diagonal_iiT3_T4_lilT5_lili.num_named_barrier, 0
	.set _ZL30rocblas_trsm_small_left_deviceILi8ELi8ELb0E19rocblas_complex_numIdES1_PKS1_PS1_Ev13rocblas_fill_18rocblas_operation_17rocblas_diagonal_iiT3_T4_lilT5_lili.private_seg_size, 0
	.set _ZL30rocblas_trsm_small_left_deviceILi8ELi8ELb0E19rocblas_complex_numIdES1_PKS1_PS1_Ev13rocblas_fill_18rocblas_operation_17rocblas_diagonal_iiT3_T4_lilT5_lili.uses_vcc, 1
	.set _ZL30rocblas_trsm_small_left_deviceILi8ELi8ELb0E19rocblas_complex_numIdES1_PKS1_PS1_Ev13rocblas_fill_18rocblas_operation_17rocblas_diagonal_iiT3_T4_lilT5_lili.uses_flat_scratch, 0
	.set _ZL30rocblas_trsm_small_left_deviceILi8ELi8ELb0E19rocblas_complex_numIdES1_PKS1_PS1_Ev13rocblas_fill_18rocblas_operation_17rocblas_diagonal_iiT3_T4_lilT5_lili.has_dyn_sized_stack, 0
	.set _ZL30rocblas_trsm_small_left_deviceILi8ELi8ELb0E19rocblas_complex_numIdES1_PKS1_PS1_Ev13rocblas_fill_18rocblas_operation_17rocblas_diagonal_iiT3_T4_lilT5_lili.has_recursion, 0
	.set _ZL30rocblas_trsm_small_left_deviceILi8ELi8ELb0E19rocblas_complex_numIdES1_PKS1_PS1_Ev13rocblas_fill_18rocblas_operation_17rocblas_diagonal_iiT3_T4_lilT5_lili.has_indirect_call, 0
	.section	.AMDGPU.csdata,"",@progbits
; Kernel info:
; codeLenInByte = 2636
; TotalNumSgprs: 48
; NumVgprs: 32
; ScratchSize: 0
; MemoryBound: 0
; FloatMode: 240
; IeeeMode: 1
; LDSByteSize: 2048 bytes/workgroup (compile time only)
; SGPRBlocks: 0
; VGPRBlocks: 1
; NumSGPRsForWavesPerEU: 48
; NumVGPRsForWavesPerEU: 32
; NamedBarCnt: 0
; Occupancy: 16
; WaveLimiterHint : 0
; COMPUTE_PGM_RSRC2:SCRATCH_EN: 0
; COMPUTE_PGM_RSRC2:USER_SGPR: 4
; COMPUTE_PGM_RSRC2:TRAP_HANDLER: 0
; COMPUTE_PGM_RSRC2:TGID_X_EN: 1
; COMPUTE_PGM_RSRC2:TGID_Y_EN: 0
; COMPUTE_PGM_RSRC2:TGID_Z_EN: 1
; COMPUTE_PGM_RSRC2:TIDIG_COMP_CNT: 2
	.section	.text._ZL38rocblas_trsm_small_left_device_sharedBILi8ELi8ELb1E19rocblas_complex_numIdES1_PKS1_PS1_Ev13rocblas_fill_18rocblas_operation_17rocblas_diagonal_iiT3_T4_lilT5_lili,"axG",@progbits,_ZL38rocblas_trsm_small_left_device_sharedBILi8ELi8ELb1E19rocblas_complex_numIdES1_PKS1_PS1_Ev13rocblas_fill_18rocblas_operation_17rocblas_diagonal_iiT3_T4_lilT5_lili,comdat
	.globl	_ZL38rocblas_trsm_small_left_device_sharedBILi8ELi8ELb1E19rocblas_complex_numIdES1_PKS1_PS1_Ev13rocblas_fill_18rocblas_operation_17rocblas_diagonal_iiT3_T4_lilT5_lili ; -- Begin function _ZL38rocblas_trsm_small_left_device_sharedBILi8ELi8ELb1E19rocblas_complex_numIdES1_PKS1_PS1_Ev13rocblas_fill_18rocblas_operation_17rocblas_diagonal_iiT3_T4_lilT5_lili
	.p2align	8
	.type	_ZL38rocblas_trsm_small_left_device_sharedBILi8ELi8ELb1E19rocblas_complex_numIdES1_PKS1_PS1_Ev13rocblas_fill_18rocblas_operation_17rocblas_diagonal_iiT3_T4_lilT5_lili,@function
_ZL38rocblas_trsm_small_left_device_sharedBILi8ELi8ELb1E19rocblas_complex_numIdES1_PKS1_PS1_Ev13rocblas_fill_18rocblas_operation_17rocblas_diagonal_iiT3_T4_lilT5_lili: ; @_ZL38rocblas_trsm_small_left_device_sharedBILi8ELi8ELb1E19rocblas_complex_numIdES1_PKS1_PS1_Ev13rocblas_fill_18rocblas_operation_17rocblas_diagonal_iiT3_T4_lilT5_lili
; %bb.0:
	s_load_b32 s19, s[2:3], 0x68
	s_bfe_u32 s4, ttmp6, 0x40014
	s_lshr_b32 s5, ttmp7, 16
	s_add_co_i32 s4, s4, 1
	s_bfe_u32 s6, ttmp6, 0x40008
	s_mul_i32 s4, s5, s4
	s_getreg_b32 s8, hwreg(HW_REG_IB_STS2, 6, 4)
	s_add_co_i32 s6, s6, s4
	s_cmp_eq_u32 s8, 0
	s_mov_b32 s21, 0
	s_cselect_b32 s20, s5, s6
	s_wait_kmcnt 0x0
	s_cmp_ge_u32 s20, s19
	s_cbranch_scc1 .LBB206_62
; %bb.1:
	s_clause 0x1
	s_load_b32 s22, s[2:3], 0x38
	s_load_b96 s[16:18], s[2:3], 0x50
	s_load_b64 s[28:29], s[0:1], 0x4
	s_clause 0x3
	s_load_b128 s[4:7], s[2:3], 0x4
	s_load_b32 s9, s[2:3], 0x70
	s_load_b64 s[30:31], s[2:3], 0x60
	s_load_b128 s[12:15], s[2:3], 0x40
	v_and_b32_e32 v2, 0x3ff, v0
	v_bfe_u32 v3, v0, 10, 10
	v_bfe_u32 v0, v0, 20, 10
	s_delay_alu instid0(VALU_DEP_3) | instskip(NEXT) | instid1(VALU_DEP_1)
	v_dual_mov_b32 v9, 0 :: v_dual_lshlrev_b32 v8, 4, v2
	v_add_nc_u32_e32 v16, 0x400, v8
	s_wait_kmcnt 0x0
	s_ashr_i32 s23, s22, 31
	s_ashr_i32 s1, s18, 31
	s_lshr_b32 s28, s28, 16
	s_cmp_eq_u32 s4, 0x71
	s_mul_i32 s28, s28, s29
	s_cselect_b32 s0, -1, 0
	s_bfe_u32 s10, ttmp6, 0x4000c
	s_min_i32 s24, s6, 8
	s_add_co_i32 s10, s10, 1
	s_and_b32 s11, ttmp6, 15
	s_mul_i32 s10, ttmp9, s10
	s_add_co_i32 s9, s9, -1
	s_add_co_i32 s25, s24, -1
	s_add_co_i32 s11, s11, s10
	s_cmp_eq_u32 s8, 0
	v_mul_u32_u24_e32 v5, s28, v2
	s_cselect_b32 s10, ttmp9, s11
	v_mul_u32_u24_e32 v3, s29, v3
	s_lshl_b32 s8, s10, 3
	s_delay_alu instid0(SALU_CYCLE_1) | instskip(SKIP_1) | instid1(VALU_DEP_1)
	s_sub_co_i32 s7, s7, s8
	s_cmp_ge_u32 s10, s9
	v_add3_u32 v3, v5, v3, v0
	s_cselect_b32 s33, s7, 8
	s_ashr_i32 s9, s8, 31
	s_cmp_lg_u32 s5, 0x84
	v_cmp_gt_i32_e32 vcc_lo, s33, v2
	s_cselect_b32 s26, -1, 0
	s_cmp_gt_i32 s6, 0
	s_cselect_b32 s36, -1, 0
	s_cmp_lg_u32 s4, 0x6f
	s_cselect_b32 s27, -1, 0
	s_lshl_b64 s[34:35], s[8:9], 4
	s_lshl_b64 s[4:5], s[16:17], 4
	v_or_b32_e32 v1, s34, v8
	s_add_nc_u64 s[14:15], s[14:15], s[4:5]
	s_load_b256 s[4:11], s[2:3], 0x18
	s_lshl_b32 s17, s24, 4
	s_and_b32 s16, vcc_lo, s36
	v_mad_nc_u64_u32 v[10:11], v1, s18, s[14:15]
	s_add_co_i32 s17, s17, -16
	s_delay_alu instid0(VALU_DEP_1)
	v_mad_u32 v4, s35, s18, v11
	s_wait_kmcnt 0x0
	s_lshl_b64 s[2:3], s[10:11], 4
	s_get_pc_i64 s[10:11]
	s_add_nc_u64 s[10:11], s[10:11], __const._ZL38rocblas_trsm_small_left_device_sharedBILi8ELi8ELb1E19rocblas_complex_numIdES1_PKS1_PS1_Ev13rocblas_fill_18rocblas_operation_17rocblas_diagonal_iiT3_T4_lilT5_lili.step_sizes@rel64+4
	s_add_nc_u64 s[2:3], s[8:9], s[2:3]
	s_lshl_b64 s[8:9], s[22:23], 4
	s_delay_alu instid0(VALU_DEP_1)
	v_mad_u32 v11, v1, s1, v4
	v_add_nc_u64_e32 v[0:1], s[2:3], v[8:9]
	v_cmp_gt_i32_e64 s1, s24, v2
	v_lshlrev_b32_e32 v2, 7, v2
	v_lshl_add_u32 v9, v3, 7, 0x800
	s_lshl_b64 s[2:3], s[12:13], 4
	s_lshl_b64 s[12:13], s[30:31], 4
	v_add_nc_u64_e32 v[12:13], 8, v[0:1]
	v_add_nc_u32_e32 v17, v8, v2
	v_add_nc_u64_e32 v[14:15], 8, v[10:11]
	s_branch .LBB206_3
.LBB206_2:                              ;   in Loop: Header=BB206_3 Depth=1
	s_or_b32 exec_lo, exec_lo, s18
	s_add_co_i32 s20, s20, 0x10000
	s_delay_alu instid0(SALU_CYCLE_1)
	s_cmp_lt_u32 s20, s19
	s_cbranch_scc0 .LBB206_62
.LBB206_3:                              ; =>This Loop Header: Depth=1
                                        ;     Child Loop BB206_5 Depth 2
                                        ;     Child Loop BB206_16 Depth 2
	;; [unrolled: 1-line block ×3, first 2 shown]
                                        ;       Child Loop BB206_23 Depth 3
                                        ;         Child Loop BB206_24 Depth 4
                                        ;         Child Loop BB206_26 Depth 4
                                        ;           Child Loop BB206_27 Depth 5
                                        ;         Child Loop BB206_31 Depth 4
                                        ;           Child Loop BB206_33 Depth 5
                                        ;     Child Loop BB206_41 Depth 2
                                        ;       Child Loop BB206_44 Depth 3
                                        ;         Child Loop BB206_45 Depth 4
                                        ;         Child Loop BB206_48 Depth 4
                                        ;           Child Loop BB206_49 Depth 5
                                        ;         Child Loop BB206_53 Depth 4
                                        ;           Child Loop BB206_55 Depth 5
                                        ;     Child Loop BB206_61 Depth 2
	s_and_saveexec_b32 s14, s1
	s_cbranch_execz .LBB206_14
; %bb.4:                                ;   in Loop: Header=BB206_3 Depth=1
	s_delay_alu instid0(VALU_DEP_3) | instskip(SKIP_2) | instid1(VALU_DEP_2)
	v_mad_nc_u64_u32 v[0:1], s2, s20, v[12:13]
	v_mov_b32_e32 v2, v8
	s_mov_b32 s15, s24
	v_mad_u32 v1, s3, s20, v1
.LBB206_5:                              ;   Parent Loop BB206_3 Depth=1
                                        ; =>  This Inner Loop Header: Depth=2
	global_load_b128 v[4:7], v[0:1], off offset:-8
	s_wait_xcnt 0x0
	v_add_nc_u64_e32 v[0:1], s[8:9], v[0:1]
	s_add_co_i32 s15, s15, -1
	s_delay_alu instid0(SALU_CYCLE_1) | instskip(SKIP_2) | instid1(VALU_DEP_1)
	s_cmp_eq_u32 s15, 0
	s_wait_loadcnt 0x0
	v_xor_b32_e32 v3, 0x80000000, v7
	v_cndmask_b32_e64 v7, v7, v3, s0
	ds_store_b128 v2, v[4:7]
	v_add_nc_u32_e32 v2, 0x80, v2
	s_cbranch_scc0 .LBB206_5
; %bb.6:                                ;   in Loop: Header=BB206_3 Depth=1
	s_and_b32 vcc_lo, exec_lo, s26
	s_cbranch_vccz .LBB206_12
; %bb.7:                                ;   in Loop: Header=BB206_3 Depth=1
	ds_load_b128 v[0:3], v17
                                        ; implicit-def: $vgpr6_vgpr7
	s_wait_dscnt 0x0
	v_cmp_ngt_f64_e64 s15, |v[0:1]|, |v[2:3]|
	s_and_saveexec_b32 s18, s15
	s_delay_alu instid0(SALU_CYCLE_1)
	s_xor_b32 s15, exec_lo, s18
	s_cbranch_execz .LBB206_9
; %bb.8:                                ;   in Loop: Header=BB206_3 Depth=1
	v_div_scale_f64 v[4:5], null, v[2:3], v[2:3], v[0:1]
	v_div_scale_f64 v[20:21], vcc_lo, v[0:1], v[2:3], v[0:1]
	s_delay_alu instid0(VALU_DEP_2) | instskip(SKIP_1) | instid1(TRANS32_DEP_1)
	v_rcp_f64_e32 v[6:7], v[4:5]
	v_nop
	v_fma_f64 v[18:19], -v[4:5], v[6:7], 1.0
	s_delay_alu instid0(VALU_DEP_1) | instskip(NEXT) | instid1(VALU_DEP_1)
	v_fmac_f64_e32 v[6:7], v[6:7], v[18:19]
	v_fma_f64 v[18:19], -v[4:5], v[6:7], 1.0
	s_delay_alu instid0(VALU_DEP_1) | instskip(NEXT) | instid1(VALU_DEP_1)
	v_fmac_f64_e32 v[6:7], v[6:7], v[18:19]
	v_mul_f64_e32 v[18:19], v[20:21], v[6:7]
	s_delay_alu instid0(VALU_DEP_1) | instskip(NEXT) | instid1(VALU_DEP_1)
	v_fma_f64 v[4:5], -v[4:5], v[18:19], v[20:21]
	v_div_fmas_f64 v[4:5], v[4:5], v[6:7], v[18:19]
	s_delay_alu instid0(VALU_DEP_1) | instskip(NEXT) | instid1(VALU_DEP_1)
	v_div_fixup_f64 v[4:5], v[4:5], v[2:3], v[0:1]
	v_fmac_f64_e32 v[2:3], v[0:1], v[4:5]
	s_delay_alu instid0(VALU_DEP_1) | instskip(SKIP_1) | instid1(VALU_DEP_2)
	v_div_scale_f64 v[0:1], null, v[2:3], v[2:3], 1.0
	v_div_scale_f64 v[20:21], vcc_lo, 1.0, v[2:3], 1.0
	v_rcp_f64_e32 v[6:7], v[0:1]
	v_nop
	s_delay_alu instid0(TRANS32_DEP_1) | instskip(NEXT) | instid1(VALU_DEP_1)
	v_fma_f64 v[18:19], -v[0:1], v[6:7], 1.0
	v_fmac_f64_e32 v[6:7], v[6:7], v[18:19]
	s_delay_alu instid0(VALU_DEP_1) | instskip(NEXT) | instid1(VALU_DEP_1)
	v_fma_f64 v[18:19], -v[0:1], v[6:7], 1.0
	v_fmac_f64_e32 v[6:7], v[6:7], v[18:19]
	s_delay_alu instid0(VALU_DEP_1) | instskip(NEXT) | instid1(VALU_DEP_1)
	v_mul_f64_e32 v[18:19], v[20:21], v[6:7]
	v_fma_f64 v[0:1], -v[0:1], v[18:19], v[20:21]
	s_delay_alu instid0(VALU_DEP_1) | instskip(SKIP_1) | instid1(VALU_DEP_2)
	v_div_fmas_f64 v[0:1], v[0:1], v[6:7], v[18:19]
	v_add_f64_e32 v[6:7], 0, v[4:5]
	v_div_fixup_f64 v[0:1], v[0:1], v[2:3], 1.0
	v_fma_f64 v[2:3], v[4:5], 0, -1.0
	s_delay_alu instid0(VALU_DEP_2) | instskip(NEXT) | instid1(VALU_DEP_2)
	v_mul_f64_e32 v[4:5], v[6:7], v[0:1]
	v_mul_f64_e32 v[6:7], v[2:3], v[0:1]
                                        ; implicit-def: $vgpr0_vgpr1
.LBB206_9:                              ;   in Loop: Header=BB206_3 Depth=1
	s_and_not1_saveexec_b32 s15, s15
	s_cbranch_execz .LBB206_11
; %bb.10:                               ;   in Loop: Header=BB206_3 Depth=1
	v_div_scale_f64 v[4:5], null, v[0:1], v[0:1], v[2:3]
	v_div_scale_f64 v[20:21], vcc_lo, v[2:3], v[0:1], v[2:3]
	s_delay_alu instid0(VALU_DEP_2) | instskip(SKIP_1) | instid1(TRANS32_DEP_1)
	v_rcp_f64_e32 v[6:7], v[4:5]
	v_nop
	v_fma_f64 v[18:19], -v[4:5], v[6:7], 1.0
	s_delay_alu instid0(VALU_DEP_1) | instskip(NEXT) | instid1(VALU_DEP_1)
	v_fmac_f64_e32 v[6:7], v[6:7], v[18:19]
	v_fma_f64 v[18:19], -v[4:5], v[6:7], 1.0
	s_delay_alu instid0(VALU_DEP_1) | instskip(NEXT) | instid1(VALU_DEP_1)
	v_fmac_f64_e32 v[6:7], v[6:7], v[18:19]
	v_mul_f64_e32 v[18:19], v[20:21], v[6:7]
	s_delay_alu instid0(VALU_DEP_1) | instskip(NEXT) | instid1(VALU_DEP_1)
	v_fma_f64 v[4:5], -v[4:5], v[18:19], v[20:21]
	v_div_fmas_f64 v[4:5], v[4:5], v[6:7], v[18:19]
	s_delay_alu instid0(VALU_DEP_1) | instskip(NEXT) | instid1(VALU_DEP_1)
	v_div_fixup_f64 v[4:5], v[4:5], v[0:1], v[2:3]
	v_fmac_f64_e32 v[0:1], v[2:3], v[4:5]
	s_delay_alu instid0(VALU_DEP_1) | instskip(SKIP_1) | instid1(VALU_DEP_2)
	v_div_scale_f64 v[2:3], null, v[0:1], v[0:1], 1.0
	v_div_scale_f64 v[20:21], vcc_lo, 1.0, v[0:1], 1.0
	v_rcp_f64_e32 v[6:7], v[2:3]
	v_nop
	s_delay_alu instid0(TRANS32_DEP_1) | instskip(NEXT) | instid1(VALU_DEP_1)
	v_fma_f64 v[18:19], -v[2:3], v[6:7], 1.0
	v_fmac_f64_e32 v[6:7], v[6:7], v[18:19]
	s_delay_alu instid0(VALU_DEP_1) | instskip(NEXT) | instid1(VALU_DEP_1)
	v_fma_f64 v[18:19], -v[2:3], v[6:7], 1.0
	v_fmac_f64_e32 v[6:7], v[6:7], v[18:19]
	s_delay_alu instid0(VALU_DEP_1) | instskip(NEXT) | instid1(VALU_DEP_1)
	v_mul_f64_e32 v[18:19], v[20:21], v[6:7]
	v_fma_f64 v[2:3], -v[2:3], v[18:19], v[20:21]
	s_delay_alu instid0(VALU_DEP_1) | instskip(SKIP_1) | instid1(VALU_DEP_2)
	v_div_fmas_f64 v[2:3], v[2:3], v[6:7], v[18:19]
	v_fma_f64 v[6:7], v[4:5], 0, 1.0
	v_div_fixup_f64 v[0:1], v[2:3], v[0:1], 1.0
	v_add_f64_e64 v[2:3], -v[4:5], 0
	s_delay_alu instid0(VALU_DEP_2) | instskip(NEXT) | instid1(VALU_DEP_2)
	v_mul_f64_e32 v[4:5], v[6:7], v[0:1]
	v_mul_f64_e32 v[6:7], v[2:3], v[0:1]
.LBB206_11:                             ;   in Loop: Header=BB206_3 Depth=1
	s_or_b32 exec_lo, exec_lo, s15
	s_branch .LBB206_13
.LBB206_12:                             ;   in Loop: Header=BB206_3 Depth=1
	v_mov_b64_e32 v[6:7], 0
	v_mov_b64_e32 v[4:5], 1.0
.LBB206_13:                             ;   in Loop: Header=BB206_3 Depth=1
	ds_store_b128 v17, v[4:7]
.LBB206_14:                             ;   in Loop: Header=BB206_3 Depth=1
	s_or_b32 exec_lo, exec_lo, s14
	s_mul_u64 s[14:15], s[12:13], s[20:21]
	s_and_saveexec_b32 s18, s16
	s_cbranch_execz .LBB206_17
; %bb.15:                               ;   in Loop: Header=BB206_3 Depth=1
	v_add_nc_u64_e32 v[0:1], s[14:15], v[14:15]
	v_mov_b32_e32 v2, v16
	s_mov_b32 s22, s24
.LBB206_16:                             ;   Parent Loop BB206_3 Depth=1
                                        ; =>  This Inner Loop Header: Depth=2
	global_load_b128 v[4:7], v[0:1], off offset:-8
	s_wait_xcnt 0x0
	v_add_nc_u64_e32 v[0:1], 16, v[0:1]
	s_add_co_i32 s22, s22, -1
	s_delay_alu instid0(SALU_CYCLE_1) | instskip(SKIP_3) | instid1(VALU_DEP_2)
	s_cmp_lg_u32 s22, 0
	s_wait_loadcnt 0x0
	v_mul_f64_e32 v[18:19], s[6:7], v[6:7]
	v_mul_f64_e32 v[20:21], s[4:5], v[6:7]
	v_fma_f64 v[18:19], s[4:5], v[4:5], -v[18:19]
	s_delay_alu instid0(VALU_DEP_2)
	v_fmac_f64_e32 v[20:21], s[6:7], v[4:5]
	ds_store_b128 v2, v[18:21]
	v_add_nc_u32_e32 v2, 0x80, v2
	s_cbranch_scc1 .LBB206_16
.LBB206_17:                             ;   in Loop: Header=BB206_3 Depth=1
	s_or_b32 exec_lo, exec_lo, s18
	s_delay_alu instid0(SALU_CYCLE_1)
	s_and_not1_b32 vcc_lo, exec_lo, s27
	s_mov_b32 s18, -1
	s_wait_dscnt 0x0
	; wave barrier
	s_cbranch_vccnz .LBB206_38
; %bb.18:                               ;   in Loop: Header=BB206_3 Depth=1
	s_mov_b32 s22, 0
	s_mov_b32 s18, s25
	s_branch .LBB206_20
.LBB206_19:                             ;   in Loop: Header=BB206_20 Depth=2
	s_cmp_gt_i32 s18, -1
	s_cselect_b32 s23, -1, 0
	s_add_co_i32 s28, s22, 1
	s_cmp_lt_u32 s22, 2
	s_wait_xcnt 0x0
	s_cselect_b32 s22, -1, 0
	s_delay_alu instid0(SALU_CYCLE_1) | instskip(NEXT) | instid1(SALU_CYCLE_1)
	s_and_b32 s22, s23, s22
	s_and_b32 vcc_lo, exec_lo, s22
	s_mov_b32 s22, s28
	s_cbranch_vccz .LBB206_37
.LBB206_20:                             ;   Parent Loop BB206_3 Depth=1
                                        ; =>  This Loop Header: Depth=2
                                        ;       Child Loop BB206_23 Depth 3
                                        ;         Child Loop BB206_24 Depth 4
                                        ;         Child Loop BB206_26 Depth 4
                                        ;           Child Loop BB206_27 Depth 5
                                        ;         Child Loop BB206_31 Depth 4
                                        ;           Child Loop BB206_33 Depth 5
	s_load_b32 s23, s[10:11], s22 offset:0x0 scale_offset
	s_wait_kmcnt 0x0
	s_add_co_i32 s28, s23, -1
	s_delay_alu instid0(SALU_CYCLE_1)
	s_cmp_lt_i32 s18, s28
	s_cbranch_scc1 .LBB206_19
; %bb.21:                               ;   in Loop: Header=BB206_20 Depth=2
	s_lshl_b32 s31, s18, 7
	s_lshl_b32 s30, s23, 7
	v_add_nc_u32_e32 v4, s31, v16
	s_max_i32 s29, s23, 1
	s_sub_co_i32 s30, 0, s30
	s_add_co_i32 s31, s17, s31
	s_mul_i32 s33, s18, 0x90
	s_mul_i32 s34, s23, 0xffffff70
	s_branch .LBB206_23
.LBB206_22:                             ;   in Loop: Header=BB206_23 Depth=3
	v_add_nc_u32_e32 v4, s30, v4
	s_sub_co_i32 s18, s18, s23
	s_add_co_i32 s31, s31, s30
	s_add_co_i32 s33, s33, s34
	s_cmp_lt_i32 s18, s28
	s_cbranch_scc1 .LBB206_19
.LBB206_23:                             ;   Parent Loop BB206_3 Depth=1
                                        ;     Parent Loop BB206_20 Depth=2
                                        ; =>    This Loop Header: Depth=3
                                        ;         Child Loop BB206_24 Depth 4
                                        ;         Child Loop BB206_26 Depth 4
                                        ;           Child Loop BB206_27 Depth 5
                                        ;         Child Loop BB206_31 Depth 4
                                        ;           Child Loop BB206_33 Depth 5
	v_dual_mov_b32 v0, v9 :: v_dual_mov_b32 v1, v4
	s_mov_b32 s35, s29
.LBB206_24:                             ;   Parent Loop BB206_3 Depth=1
                                        ;     Parent Loop BB206_20 Depth=2
                                        ;       Parent Loop BB206_23 Depth=3
                                        ; =>      This Inner Loop Header: Depth=4
	ds_load_b128 v[18:21], v1
	v_add_nc_u32_e32 v1, 0xffffff80, v1
	s_add_co_i32 s35, s35, -1
	s_delay_alu instid0(SALU_CYCLE_1)
	s_cmp_eq_u32 s35, 0
	s_wait_dscnt 0x0
	ds_store_b128 v0, v[18:21]
	v_add_nc_u32_e32 v0, 16, v0
	s_cbranch_scc0 .LBB206_24
; %bb.25:                               ;   in Loop: Header=BB206_23 Depth=3
	s_cmp_le_i32 s25, s18
	s_mov_b32 s35, s31
	s_mov_b32 s36, s25
	s_cbranch_scc1 .LBB206_29
.LBB206_26:                             ;   Parent Loop BB206_3 Depth=1
                                        ;     Parent Loop BB206_20 Depth=2
                                        ;       Parent Loop BB206_23 Depth=3
                                        ; =>      This Loop Header: Depth=4
                                        ;           Child Loop BB206_27 Depth 5
	v_lshl_add_u32 v0, s36, 7, v16
	v_mov_b32_e32 v5, v9
	s_mov_b32 s37, s35
	s_mov_b32 s38, s29
	ds_load_b128 v[0:3], v0
.LBB206_27:                             ;   Parent Loop BB206_3 Depth=1
                                        ;     Parent Loop BB206_20 Depth=2
                                        ;       Parent Loop BB206_23 Depth=3
                                        ;         Parent Loop BB206_26 Depth=4
                                        ; =>        This Inner Loop Header: Depth=5
	v_mov_b32_e32 v6, s37
	s_add_co_i32 s38, s38, -1
	s_addk_co_i32 s37, 0xff80
	s_cmp_eq_u32 s38, 0
	ds_load_b128 v[18:21], v6
	s_wait_dscnt 0x0
	v_mul_f64_e32 v[6:7], v[2:3], v[20:21]
	v_mul_f64_e32 v[22:23], v[0:1], v[20:21]
	s_delay_alu instid0(VALU_DEP_2) | instskip(NEXT) | instid1(VALU_DEP_2)
	v_fma_f64 v[6:7], v[0:1], v[18:19], -v[6:7]
	v_fmac_f64_e32 v[22:23], v[2:3], v[18:19]
	ds_load_b128 v[18:21], v5
	s_wait_dscnt 0x0
	v_add_f64_e64 v[18:19], v[18:19], -v[6:7]
	v_add_f64_e64 v[20:21], v[20:21], -v[22:23]
	ds_store_b128 v5, v[18:21]
	v_add_nc_u32_e32 v5, 16, v5
	s_cbranch_scc0 .LBB206_27
; %bb.28:                               ;   in Loop: Header=BB206_26 Depth=4
	s_add_co_i32 s36, s36, -1
	s_add_co_i32 s35, s35, -16
	s_cmp_le_i32 s36, s18
	s_cbranch_scc0 .LBB206_26
.LBB206_29:                             ;   in Loop: Header=BB206_23 Depth=3
	s_lshl_b32 s35, s18, 7
	s_mov_b32 s36, 0
	s_mov_b32 s37, s33
	s_branch .LBB206_31
.LBB206_30:                             ;   in Loop: Header=BB206_31 Depth=4
	s_mulk_i32 s39, 0x90
	s_add_co_i32 s36, s36, 1
	v_mov_b32_e32 v6, s39
	s_addk_co_i32 s37, 0xff80
	s_cmp_eq_u32 s36, s29
	ds_load_b128 v[18:21], v6
	s_wait_dscnt 0x0
	v_mul_f64_e32 v[6:7], v[20:21], v[2:3]
	v_mul_f64_e32 v[24:25], v[18:19], v[2:3]
	s_delay_alu instid0(VALU_DEP_2) | instskip(NEXT) | instid1(VALU_DEP_2)
	v_fma_f64 v[22:23], v[18:19], v[0:1], -v[6:7]
	v_fmac_f64_e32 v[24:25], v[20:21], v[0:1]
	v_add_nc_u32_e32 v0, s38, v16
	ds_store_b128 v5, v[22:25]
	ds_store_b128 v0, v[22:25]
	s_cbranch_scc1 .LBB206_22
.LBB206_31:                             ;   Parent Loop BB206_3 Depth=1
                                        ;     Parent Loop BB206_20 Depth=2
                                        ;       Parent Loop BB206_23 Depth=3
                                        ; =>      This Loop Header: Depth=4
                                        ;           Child Loop BB206_33 Depth 5
	v_lshl_add_u32 v5, s36, 4, v9
	s_cmp_lg_u32 s36, 0
	s_cbranch_scc0 .LBB206_35
; %bb.32:                               ;   in Loop: Header=BB206_31 Depth=4
	ds_load_b128 v[0:3], v5
	v_mov_b32_e32 v6, v9
	s_sub_co_i32 s39, s18, s36
	s_mov_b32 s40, s37
	s_lshl_b32 s38, s39, 7
	s_mov_b32 s41, s36
.LBB206_33:                             ;   Parent Loop BB206_3 Depth=1
                                        ;     Parent Loop BB206_20 Depth=2
                                        ;       Parent Loop BB206_23 Depth=3
                                        ;         Parent Loop BB206_31 Depth=4
                                        ; =>        This Inner Loop Header: Depth=5
	v_mov_b32_e32 v7, s40
	s_add_co_i32 s41, s41, -1
	s_add_co_i32 s40, s40, -16
	s_cmp_eq_u32 s41, 0
	ds_load_b128 v[18:21], v6
	ds_load_b128 v[22:25], v7
	s_wait_dscnt 0x0
	v_dual_mul_f64 v[26:27], v[24:25], v[20:21] :: v_dual_add_nc_u32 v6, 16, v6
	v_mul_f64_e32 v[20:21], v[22:23], v[20:21]
	s_delay_alu instid0(VALU_DEP_2) | instskip(NEXT) | instid1(VALU_DEP_2)
	v_fma_f64 v[22:23], v[22:23], v[18:19], -v[26:27]
	v_fmac_f64_e32 v[20:21], v[24:25], v[18:19]
	s_delay_alu instid0(VALU_DEP_2) | instskip(NEXT) | instid1(VALU_DEP_2)
	v_add_f64_e64 v[0:1], v[0:1], -v[22:23]
	v_add_f64_e64 v[2:3], v[2:3], -v[20:21]
	ds_store_b128 v5, v[0:3]
	s_cbranch_scc0 .LBB206_33
; %bb.34:                               ;   in Loop: Header=BB206_31 Depth=4
	s_branch .LBB206_30
.LBB206_35:                             ;   in Loop: Header=BB206_31 Depth=4
                                        ; implicit-def: $vgpr0_vgpr1
                                        ; implicit-def: $sgpr39
                                        ; implicit-def: $sgpr38
	s_cbranch_execz .LBB206_30
; %bb.36:                               ;   in Loop: Header=BB206_31 Depth=4
	ds_load_b128 v[0:3], v9
	s_mov_b32 s38, s35
	s_mov_b32 s39, s18
	s_branch .LBB206_30
.LBB206_37:                             ;   in Loop: Header=BB206_3 Depth=1
	s_mov_b32 s18, 0
.LBB206_38:                             ;   in Loop: Header=BB206_3 Depth=1
	s_delay_alu instid0(SALU_CYCLE_1)
	s_and_b32 vcc_lo, exec_lo, s18
	s_cbranch_vccz .LBB206_59
; %bb.39:                               ;   in Loop: Header=BB206_3 Depth=1
	s_mov_b32 s22, 0
	s_mov_b32 s18, 0
	s_branch .LBB206_41
.LBB206_40:                             ;   in Loop: Header=BB206_41 Depth=2
	s_cmp_lt_i32 s18, s24
	s_cselect_b32 s23, -1, 0
	s_add_co_i32 s28, s22, 1
	s_cmp_lt_u32 s22, 2
	s_wait_xcnt 0x0
	s_cselect_b32 s22, -1, 0
	s_delay_alu instid0(SALU_CYCLE_1) | instskip(NEXT) | instid1(SALU_CYCLE_1)
	s_and_b32 s22, s23, s22
	s_and_not1_b32 vcc_lo, exec_lo, s22
	s_mov_b32 s22, s28
	s_cbranch_vccnz .LBB206_59
.LBB206_41:                             ;   Parent Loop BB206_3 Depth=1
                                        ; =>  This Loop Header: Depth=2
                                        ;       Child Loop BB206_44 Depth 3
                                        ;         Child Loop BB206_45 Depth 4
                                        ;         Child Loop BB206_48 Depth 4
                                        ;           Child Loop BB206_49 Depth 5
                                        ;         Child Loop BB206_53 Depth 4
                                        ;           Child Loop BB206_55 Depth 5
	s_load_b32 s23, s[10:11], s22 offset:0x0 scale_offset
	s_wait_kmcnt 0x0
	s_add_co_i32 s28, s23, -1
	s_delay_alu instid0(SALU_CYCLE_1) | instskip(NEXT) | instid1(SALU_CYCLE_1)
	s_add_co_i32 s29, s28, s18
	s_cmp_ge_i32 s29, s24
	s_cbranch_scc1 .LBB206_40
; %bb.42:                               ;   in Loop: Header=BB206_41 Depth=2
	v_lshl_add_u32 v4, s18, 7, v16
	s_max_i32 s29, s23, 1
	s_lshl_b32 s30, s23, 7
	s_lshl_b32 s31, s18, 4
	;; [unrolled: 1-line block ×3, first 2 shown]
	s_mul_i32 s34, s18, 0x90
	s_mul_i32 s35, s23, 0x90
	s_branch .LBB206_44
.LBB206_43:                             ;   in Loop: Header=BB206_44 Depth=3
	s_add_co_i32 s18, s18, s23
	v_add_nc_u32_e32 v4, s30, v4
	s_add_co_i32 s36, s28, s18
	s_add_co_i32 s31, s31, s33
	s_add_co_i32 s34, s34, s35
	s_cmp_ge_i32 s36, s24
	s_cbranch_scc1 .LBB206_40
.LBB206_44:                             ;   Parent Loop BB206_3 Depth=1
                                        ;     Parent Loop BB206_41 Depth=2
                                        ; =>    This Loop Header: Depth=3
                                        ;         Child Loop BB206_45 Depth 4
                                        ;         Child Loop BB206_48 Depth 4
                                        ;           Child Loop BB206_49 Depth 5
                                        ;         Child Loop BB206_53 Depth 4
                                        ;           Child Loop BB206_55 Depth 5
	v_dual_mov_b32 v0, v9 :: v_dual_mov_b32 v1, v4
	s_mov_b32 s36, s29
.LBB206_45:                             ;   Parent Loop BB206_3 Depth=1
                                        ;     Parent Loop BB206_41 Depth=2
                                        ;       Parent Loop BB206_44 Depth=3
                                        ; =>      This Inner Loop Header: Depth=4
	ds_load_b128 v[18:21], v1
	v_add_nc_u32_e32 v1, 0x80, v1
	s_add_co_i32 s36, s36, -1
	s_delay_alu instid0(SALU_CYCLE_1)
	s_cmp_eq_u32 s36, 0
	s_wait_dscnt 0x0
	ds_store_b128 v0, v[18:21]
	v_add_nc_u32_e32 v0, 16, v0
	s_cbranch_scc0 .LBB206_45
; %bb.46:                               ;   in Loop: Header=BB206_44 Depth=3
	s_cmp_lt_i32 s18, 1
	s_cbranch_scc1 .LBB206_51
; %bb.47:                               ;   in Loop: Header=BB206_44 Depth=3
	s_mov_b32 s36, 0
	s_mov_b32 s37, s31
.LBB206_48:                             ;   Parent Loop BB206_3 Depth=1
                                        ;     Parent Loop BB206_41 Depth=2
                                        ;       Parent Loop BB206_44 Depth=3
                                        ; =>      This Loop Header: Depth=4
                                        ;           Child Loop BB206_49 Depth 5
	v_lshl_add_u32 v0, s36, 7, v16
	v_mov_b32_e32 v5, v9
	s_mov_b32 s38, s37
	s_mov_b32 s39, s29
	ds_load_b128 v[0:3], v0
.LBB206_49:                             ;   Parent Loop BB206_3 Depth=1
                                        ;     Parent Loop BB206_41 Depth=2
                                        ;       Parent Loop BB206_44 Depth=3
                                        ;         Parent Loop BB206_48 Depth=4
                                        ; =>        This Inner Loop Header: Depth=5
	v_mov_b32_e32 v6, s38
	s_add_co_i32 s39, s39, -1
	s_add_co_i32 s38, s38, 16
	s_cmp_eq_u32 s39, 0
	ds_load_b128 v[18:21], v6
	s_wait_dscnt 0x0
	v_mul_f64_e32 v[6:7], v[2:3], v[20:21]
	v_mul_f64_e32 v[22:23], v[0:1], v[20:21]
	s_delay_alu instid0(VALU_DEP_2) | instskip(NEXT) | instid1(VALU_DEP_2)
	v_fma_f64 v[6:7], v[0:1], v[18:19], -v[6:7]
	v_fmac_f64_e32 v[22:23], v[2:3], v[18:19]
	ds_load_b128 v[18:21], v5
	s_wait_dscnt 0x0
	v_add_f64_e64 v[18:19], v[18:19], -v[6:7]
	v_add_f64_e64 v[20:21], v[20:21], -v[22:23]
	ds_store_b128 v5, v[18:21]
	v_add_nc_u32_e32 v5, 16, v5
	s_cbranch_scc0 .LBB206_49
; %bb.50:                               ;   in Loop: Header=BB206_48 Depth=4
	s_add_co_i32 s36, s36, 1
	s_addk_co_i32 s37, 0x80
	s_cmp_eq_u32 s36, s18
	s_cbranch_scc0 .LBB206_48
.LBB206_51:                             ;   in Loop: Header=BB206_44 Depth=3
	s_mov_b32 s36, 0
	s_mov_b32 s37, s34
	s_branch .LBB206_53
.LBB206_52:                             ;   in Loop: Header=BB206_53 Depth=4
	s_add_co_i32 s38, s36, s18
	s_add_co_i32 s36, s36, 1
	s_mul_i32 s39, s38, 0x90
	s_add_co_i32 s37, s37, 16
	v_mov_b32_e32 v6, s39
	s_cmp_eq_u32 s36, s29
	ds_load_b128 v[18:21], v6
	s_wait_dscnt 0x0
	v_mul_f64_e32 v[6:7], v[20:21], v[2:3]
	v_mul_f64_e32 v[24:25], v[18:19], v[2:3]
	s_delay_alu instid0(VALU_DEP_2) | instskip(NEXT) | instid1(VALU_DEP_2)
	v_fma_f64 v[22:23], v[18:19], v[0:1], -v[6:7]
	v_fmac_f64_e32 v[24:25], v[20:21], v[0:1]
	v_lshl_add_u32 v0, s38, 7, v16
	ds_store_b128 v5, v[22:25]
	ds_store_b128 v0, v[22:25]
	s_cbranch_scc1 .LBB206_43
.LBB206_53:                             ;   Parent Loop BB206_3 Depth=1
                                        ;     Parent Loop BB206_41 Depth=2
                                        ;       Parent Loop BB206_44 Depth=3
                                        ; =>      This Loop Header: Depth=4
                                        ;           Child Loop BB206_55 Depth 5
	v_lshl_add_u32 v5, s36, 4, v9
	s_cmp_lg_u32 s36, 0
	s_cbranch_scc0 .LBB206_57
; %bb.54:                               ;   in Loop: Header=BB206_53 Depth=4
	ds_load_b128 v[0:3], v5
	v_mov_b32_e32 v6, v9
	s_mov_b32 s38, s37
	s_mov_b32 s39, s36
.LBB206_55:                             ;   Parent Loop BB206_3 Depth=1
                                        ;     Parent Loop BB206_41 Depth=2
                                        ;       Parent Loop BB206_44 Depth=3
                                        ;         Parent Loop BB206_53 Depth=4
                                        ; =>        This Inner Loop Header: Depth=5
	v_mov_b32_e32 v7, s38
	s_add_co_i32 s39, s39, -1
	s_addk_co_i32 s38, 0x80
	s_cmp_eq_u32 s39, 0
	ds_load_b128 v[18:21], v6
	ds_load_b128 v[22:25], v7
	s_wait_dscnt 0x0
	v_dual_mul_f64 v[26:27], v[24:25], v[20:21] :: v_dual_add_nc_u32 v6, 16, v6
	v_mul_f64_e32 v[20:21], v[22:23], v[20:21]
	s_delay_alu instid0(VALU_DEP_2) | instskip(NEXT) | instid1(VALU_DEP_2)
	v_fma_f64 v[22:23], v[22:23], v[18:19], -v[26:27]
	v_fmac_f64_e32 v[20:21], v[24:25], v[18:19]
	s_delay_alu instid0(VALU_DEP_2) | instskip(NEXT) | instid1(VALU_DEP_2)
	v_add_f64_e64 v[0:1], v[0:1], -v[22:23]
	v_add_f64_e64 v[2:3], v[2:3], -v[20:21]
	ds_store_b128 v5, v[0:3]
	s_cbranch_scc0 .LBB206_55
; %bb.56:                               ;   in Loop: Header=BB206_53 Depth=4
	s_branch .LBB206_52
.LBB206_57:                             ;   in Loop: Header=BB206_53 Depth=4
                                        ; implicit-def: $vgpr0_vgpr1
	s_cbranch_execz .LBB206_52
; %bb.58:                               ;   in Loop: Header=BB206_53 Depth=4
	ds_load_b128 v[0:3], v9
	s_branch .LBB206_52
.LBB206_59:                             ;   in Loop: Header=BB206_3 Depth=1
	s_wait_dscnt 0x0
	; wave barrier
	s_and_saveexec_b32 s18, s16
	s_cbranch_execz .LBB206_2
; %bb.60:                               ;   in Loop: Header=BB206_3 Depth=1
	v_add_nc_u64_e32 v[0:1], s[14:15], v[10:11]
	v_mov_b32_e32 v2, v16
	s_mov_b32 s14, s24
.LBB206_61:                             ;   Parent Loop BB206_3 Depth=1
                                        ; =>  This Inner Loop Header: Depth=2
	ds_load_2addr_b64 v[4:7], v2 offset1:1
	v_add_nc_u32_e32 v2, 0x80, v2
	s_add_co_i32 s14, s14, -1
	s_delay_alu instid0(SALU_CYCLE_1)
	s_cmp_lg_u32 s14, 0
	s_wait_dscnt 0x0
	global_store_b128 v[0:1], v[4:7], off
	s_wait_xcnt 0x0
	v_add_nc_u64_e32 v[0:1], 16, v[0:1]
	s_cbranch_scc1 .LBB206_61
	s_branch .LBB206_2
.LBB206_62:
	s_endpgm
	.section	.rodata,"a",@progbits
	.p2align	6, 0x0
	.amdhsa_kernel _ZL38rocblas_trsm_small_left_device_sharedBILi8ELi8ELb1E19rocblas_complex_numIdES1_PKS1_PS1_Ev13rocblas_fill_18rocblas_operation_17rocblas_diagonal_iiT3_T4_lilT5_lili
		.amdhsa_group_segment_fixed_size 3072
		.amdhsa_private_segment_fixed_size 0
		.amdhsa_kernarg_size 368
		.amdhsa_user_sgpr_count 4
		.amdhsa_user_sgpr_dispatch_ptr 1
		.amdhsa_user_sgpr_queue_ptr 0
		.amdhsa_user_sgpr_kernarg_segment_ptr 1
		.amdhsa_user_sgpr_dispatch_id 0
		.amdhsa_user_sgpr_kernarg_preload_length 0
		.amdhsa_user_sgpr_kernarg_preload_offset 0
		.amdhsa_user_sgpr_private_segment_size 0
		.amdhsa_wavefront_size32 1
		.amdhsa_uses_dynamic_stack 0
		.amdhsa_enable_private_segment 0
		.amdhsa_system_sgpr_workgroup_id_x 1
		.amdhsa_system_sgpr_workgroup_id_y 0
		.amdhsa_system_sgpr_workgroup_id_z 1
		.amdhsa_system_sgpr_workgroup_info 0
		.amdhsa_system_vgpr_workitem_id 2
		.amdhsa_next_free_vgpr 28
		.amdhsa_next_free_sgpr 42
		.amdhsa_named_barrier_count 0
		.amdhsa_reserve_vcc 1
		.amdhsa_float_round_mode_32 0
		.amdhsa_float_round_mode_16_64 0
		.amdhsa_float_denorm_mode_32 3
		.amdhsa_float_denorm_mode_16_64 3
		.amdhsa_fp16_overflow 0
		.amdhsa_memory_ordered 1
		.amdhsa_forward_progress 1
		.amdhsa_inst_pref_size 21
		.amdhsa_round_robin_scheduling 0
		.amdhsa_exception_fp_ieee_invalid_op 0
		.amdhsa_exception_fp_denorm_src 0
		.amdhsa_exception_fp_ieee_div_zero 0
		.amdhsa_exception_fp_ieee_overflow 0
		.amdhsa_exception_fp_ieee_underflow 0
		.amdhsa_exception_fp_ieee_inexact 0
		.amdhsa_exception_int_div_zero 0
	.end_amdhsa_kernel
	.section	.text._ZL38rocblas_trsm_small_left_device_sharedBILi8ELi8ELb1E19rocblas_complex_numIdES1_PKS1_PS1_Ev13rocblas_fill_18rocblas_operation_17rocblas_diagonal_iiT3_T4_lilT5_lili,"axG",@progbits,_ZL38rocblas_trsm_small_left_device_sharedBILi8ELi8ELb1E19rocblas_complex_numIdES1_PKS1_PS1_Ev13rocblas_fill_18rocblas_operation_17rocblas_diagonal_iiT3_T4_lilT5_lili,comdat
.Lfunc_end206:
	.size	_ZL38rocblas_trsm_small_left_device_sharedBILi8ELi8ELb1E19rocblas_complex_numIdES1_PKS1_PS1_Ev13rocblas_fill_18rocblas_operation_17rocblas_diagonal_iiT3_T4_lilT5_lili, .Lfunc_end206-_ZL38rocblas_trsm_small_left_device_sharedBILi8ELi8ELb1E19rocblas_complex_numIdES1_PKS1_PS1_Ev13rocblas_fill_18rocblas_operation_17rocblas_diagonal_iiT3_T4_lilT5_lili
                                        ; -- End function
	.set _ZL38rocblas_trsm_small_left_device_sharedBILi8ELi8ELb1E19rocblas_complex_numIdES1_PKS1_PS1_Ev13rocblas_fill_18rocblas_operation_17rocblas_diagonal_iiT3_T4_lilT5_lili.num_vgpr, 28
	.set _ZL38rocblas_trsm_small_left_device_sharedBILi8ELi8ELb1E19rocblas_complex_numIdES1_PKS1_PS1_Ev13rocblas_fill_18rocblas_operation_17rocblas_diagonal_iiT3_T4_lilT5_lili.num_agpr, 0
	.set _ZL38rocblas_trsm_small_left_device_sharedBILi8ELi8ELb1E19rocblas_complex_numIdES1_PKS1_PS1_Ev13rocblas_fill_18rocblas_operation_17rocblas_diagonal_iiT3_T4_lilT5_lili.numbered_sgpr, 42
	.set _ZL38rocblas_trsm_small_left_device_sharedBILi8ELi8ELb1E19rocblas_complex_numIdES1_PKS1_PS1_Ev13rocblas_fill_18rocblas_operation_17rocblas_diagonal_iiT3_T4_lilT5_lili.num_named_barrier, 0
	.set _ZL38rocblas_trsm_small_left_device_sharedBILi8ELi8ELb1E19rocblas_complex_numIdES1_PKS1_PS1_Ev13rocblas_fill_18rocblas_operation_17rocblas_diagonal_iiT3_T4_lilT5_lili.private_seg_size, 0
	.set _ZL38rocblas_trsm_small_left_device_sharedBILi8ELi8ELb1E19rocblas_complex_numIdES1_PKS1_PS1_Ev13rocblas_fill_18rocblas_operation_17rocblas_diagonal_iiT3_T4_lilT5_lili.uses_vcc, 1
	.set _ZL38rocblas_trsm_small_left_device_sharedBILi8ELi8ELb1E19rocblas_complex_numIdES1_PKS1_PS1_Ev13rocblas_fill_18rocblas_operation_17rocblas_diagonal_iiT3_T4_lilT5_lili.uses_flat_scratch, 0
	.set _ZL38rocblas_trsm_small_left_device_sharedBILi8ELi8ELb1E19rocblas_complex_numIdES1_PKS1_PS1_Ev13rocblas_fill_18rocblas_operation_17rocblas_diagonal_iiT3_T4_lilT5_lili.has_dyn_sized_stack, 0
	.set _ZL38rocblas_trsm_small_left_device_sharedBILi8ELi8ELb1E19rocblas_complex_numIdES1_PKS1_PS1_Ev13rocblas_fill_18rocblas_operation_17rocblas_diagonal_iiT3_T4_lilT5_lili.has_recursion, 0
	.set _ZL38rocblas_trsm_small_left_device_sharedBILi8ELi8ELb1E19rocblas_complex_numIdES1_PKS1_PS1_Ev13rocblas_fill_18rocblas_operation_17rocblas_diagonal_iiT3_T4_lilT5_lili.has_indirect_call, 0
	.section	.AMDGPU.csdata,"",@progbits
; Kernel info:
; codeLenInByte = 2640
; TotalNumSgprs: 44
; NumVgprs: 28
; ScratchSize: 0
; MemoryBound: 0
; FloatMode: 240
; IeeeMode: 1
; LDSByteSize: 3072 bytes/workgroup (compile time only)
; SGPRBlocks: 0
; VGPRBlocks: 1
; NumSGPRsForWavesPerEU: 44
; NumVGPRsForWavesPerEU: 28
; NamedBarCnt: 0
; Occupancy: 16
; WaveLimiterHint : 0
; COMPUTE_PGM_RSRC2:SCRATCH_EN: 0
; COMPUTE_PGM_RSRC2:USER_SGPR: 4
; COMPUTE_PGM_RSRC2:TRAP_HANDLER: 0
; COMPUTE_PGM_RSRC2:TGID_X_EN: 1
; COMPUTE_PGM_RSRC2:TGID_Y_EN: 0
; COMPUTE_PGM_RSRC2:TGID_Z_EN: 1
; COMPUTE_PGM_RSRC2:TIDIG_COMP_CNT: 2
	.section	.text._ZL30rocblas_trsm_small_left_deviceILi8ELi8ELb1E19rocblas_complex_numIdES1_PKS1_PS1_Ev13rocblas_fill_18rocblas_operation_17rocblas_diagonal_iiT3_T4_lilT5_lili,"axG",@progbits,_ZL30rocblas_trsm_small_left_deviceILi8ELi8ELb1E19rocblas_complex_numIdES1_PKS1_PS1_Ev13rocblas_fill_18rocblas_operation_17rocblas_diagonal_iiT3_T4_lilT5_lili,comdat
	.globl	_ZL30rocblas_trsm_small_left_deviceILi8ELi8ELb1E19rocblas_complex_numIdES1_PKS1_PS1_Ev13rocblas_fill_18rocblas_operation_17rocblas_diagonal_iiT3_T4_lilT5_lili ; -- Begin function _ZL30rocblas_trsm_small_left_deviceILi8ELi8ELb1E19rocblas_complex_numIdES1_PKS1_PS1_Ev13rocblas_fill_18rocblas_operation_17rocblas_diagonal_iiT3_T4_lilT5_lili
	.p2align	8
	.type	_ZL30rocblas_trsm_small_left_deviceILi8ELi8ELb1E19rocblas_complex_numIdES1_PKS1_PS1_Ev13rocblas_fill_18rocblas_operation_17rocblas_diagonal_iiT3_T4_lilT5_lili,@function
_ZL30rocblas_trsm_small_left_deviceILi8ELi8ELb1E19rocblas_complex_numIdES1_PKS1_PS1_Ev13rocblas_fill_18rocblas_operation_17rocblas_diagonal_iiT3_T4_lilT5_lili: ; @_ZL30rocblas_trsm_small_left_deviceILi8ELi8ELb1E19rocblas_complex_numIdES1_PKS1_PS1_Ev13rocblas_fill_18rocblas_operation_17rocblas_diagonal_iiT3_T4_lilT5_lili
; %bb.0:
	s_load_b32 s30, s[2:3], 0x68
	s_bfe_u32 s4, ttmp6, 0x40014
	s_lshr_b32 s5, ttmp7, 16
	s_add_co_i32 s4, s4, 1
	s_bfe_u32 s6, ttmp6, 0x40008
	s_mul_i32 s4, s5, s4
	s_getreg_b32 s7, hwreg(HW_REG_IB_STS2, 6, 4)
	s_add_co_i32 s6, s6, s4
	s_cmp_eq_u32 s7, 0
	s_mov_b32 s23, 0
	s_cselect_b32 s20, s5, s6
	s_wait_kmcnt 0x0
	s_cmp_ge_u32 s20, s30
	s_cbranch_scc1 .LBB207_58
; %bb.1:
	s_clause 0x1
	s_load_b32 s26, s[2:3], 0x38
	s_load_b96 s[4:6], s[2:3], 0x50
	s_load_b64 s[28:29], s[0:1], 0x4
	s_clause 0x3
	s_load_b128 s[12:15], s[2:3], 0x4
	s_load_b32 s8, s[2:3], 0x70
	s_load_b64 s[24:25], s[2:3], 0x60
	s_load_b128 s[16:19], s[2:3], 0x40
	v_and_b32_e32 v4, 0x3ff, v0
	v_bfe_u32 v1, v0, 10, 10
	v_bfe_u32 v0, v0, 20, 10
	s_delay_alu instid0(VALU_DEP_3) | instskip(SKIP_1) | instid1(VALU_DEP_1)
	v_dual_mov_b32 v9, 0 :: v_dual_lshlrev_b32 v6, 7, v4
	v_lshlrev_b32_e32 v8, 4, v4
	v_add_nc_u32_e32 v18, v8, v6
	s_wait_kmcnt 0x0
	s_ashr_i32 s27, s26, 31
	s_ashr_i32 s9, s6, 31
	s_lshr_b32 s1, s28, 16
	s_cmp_eq_u32 s12, 0x71
	s_mul_i32 s1, s1, s29
	s_cselect_b32 s0, -1, 0
	s_lshl_b64 s[36:37], s[4:5], 4
	s_bfe_u32 s4, ttmp6, 0x4000c
	s_min_i32 s31, s14, 8
	s_add_co_i32 s4, s4, 1
	s_and_b32 s5, ttmp6, 15
	s_mul_i32 s4, ttmp9, s4
	s_add_co_i32 s14, s8, -1
	s_add_co_i32 s33, s31, -1
	s_add_co_i32 s5, s5, s4
	s_cmp_eq_u32 s7, 0
	s_mov_b32 s8, s6
	s_cselect_b32 s21, ttmp9, s5
	v_mul_u32_u24_e32 v1, s29, v1
	s_lshl_b32 s22, s21, 3
	v_mul_u32_u24_e32 v5, s1, v4
	v_or_b32_e32 v2, s22, v4
	v_cmp_gt_i32_e64 s1, s31, v4
	s_delay_alu instid0(VALU_DEP_3) | instskip(NEXT) | instid1(VALU_DEP_3)
	v_add3_u32 v5, v5, v1, v0
	v_ashrrev_i32_e32 v3, 31, v2
	s_delay_alu instid0(VALU_DEP_1)
	v_mul_u64_e32 v[2:3], s[8:9], v[2:3]
	s_load_b256 s[4:11], s[2:3], 0x18
	s_wait_xcnt 0x0
	s_sub_co_i32 s2, s15, s22
	s_cmp_ge_u32 s21, s14
	s_cselect_b32 s2, s2, 8
	s_cmp_lg_u32 s13, 0x84
	v_cmp_gt_i32_e64 s2, s2, v4
	s_cselect_b32 s3, -1, 0
	s_cmp_lg_u32 s12, 0x6f
	s_get_pc_i64 s[12:13]
	s_add_nc_u64 s[12:13], s[12:13], __const._ZL30rocblas_trsm_small_left_deviceILi8ELi8ELb1E19rocblas_complex_numIdES1_PKS1_PS1_Ev13rocblas_fill_18rocblas_operation_17rocblas_diagonal_iiT3_T4_lilT5_lili.step_sizes@rel64+4
	s_cselect_b32 s34, -1, 0
	s_lshl_b32 s35, s31, 4
	s_lshl_b64 s[14:15], s[24:25], 4
	s_add_co_i32 s35, s35, -16
	s_wait_kmcnt 0x0
	s_lshl_b64 s[10:11], s[10:11], 4
	s_delay_alu instid0(SALU_CYCLE_1)
	s_add_nc_u64 s[8:9], s[8:9], s[10:11]
	s_add_nc_u64 s[10:11], s[18:19], s[36:37]
	v_add_nc_u64_e32 v[0:1], s[8:9], v[8:9]
	v_lshl_add_u32 v9, v5, 7, 0x400
	s_lshl_b64 s[8:9], s[16:17], 4
	s_mov_b32 s36, 0
	v_lshl_add_u64 v[10:11], v[2:3], 4, s[10:11]
	s_delay_alu instid0(VALU_DEP_3) | instskip(SKIP_1) | instid1(VALU_DEP_2)
	v_add_nc_u64_e32 v[12:13], 8, v[0:1]
	s_lshl_b64 s[10:11], s[26:27], 4
	v_add_nc_u64_e32 v[14:15], 8, v[10:11]
	s_branch .LBB207_4
.LBB207_2:                              ;   in Loop: Header=BB207_4 Depth=1
	s_add_co_i32 s20, s20, 0x10000
	s_delay_alu instid0(SALU_CYCLE_1) | instskip(SKIP_1) | instid1(SALU_CYCLE_1)
	s_cmp_ge_u32 s20, s30
	s_cselect_b32 s16, -1, 0
	s_or_not1_b32 s16, s16, exec_lo
.LBB207_3:                              ;   in Loop: Header=BB207_4 Depth=1
	s_wait_xcnt 0x0
	s_or_b32 exec_lo, exec_lo, s37
	s_delay_alu instid0(SALU_CYCLE_1) | instskip(NEXT) | instid1(SALU_CYCLE_1)
	s_and_b32 s16, exec_lo, s16
	s_or_b32 s36, s16, s36
	s_delay_alu instid0(SALU_CYCLE_1)
	s_and_not1_b32 exec_lo, exec_lo, s36
	s_cbranch_execz .LBB207_58
.LBB207_4:                              ; =>This Loop Header: Depth=1
                                        ;     Child Loop BB207_6 Depth 2
                                        ;     Child Loop BB207_19 Depth 2
                                        ;       Child Loop BB207_22 Depth 3
                                        ;         Child Loop BB207_23 Depth 4
                                        ;         Child Loop BB207_25 Depth 4
                                        ;           Child Loop BB207_26 Depth 5
                                        ;         Child Loop BB207_30 Depth 4
                                        ;           Child Loop BB207_32 Depth 5
                                        ;     Child Loop BB207_40 Depth 2
                                        ;       Child Loop BB207_43 Depth 3
                                        ;         Child Loop BB207_44 Depth 4
                                        ;         Child Loop BB207_47 Depth 4
                                        ;           Child Loop BB207_48 Depth 5
                                        ;         Child Loop BB207_52 Depth 4
                                        ;           Child Loop BB207_54 Depth 5
	s_mov_b32 s21, s23
	s_and_saveexec_b32 s16, s1
	s_cbranch_execz .LBB207_15
; %bb.5:                                ;   in Loop: Header=BB207_4 Depth=1
	v_mad_nc_u64_u32 v[0:1], s8, s20, v[12:13]
	v_mov_b32_e32 v2, v8
	s_mov_b32 s17, s31
	s_delay_alu instid0(VALU_DEP_2)
	v_mad_u32 v1, s9, s20, v1
.LBB207_6:                              ;   Parent Loop BB207_4 Depth=1
                                        ; =>  This Inner Loop Header: Depth=2
	global_load_b128 v[4:7], v[0:1], off offset:-8
	s_wait_xcnt 0x0
	v_add_nc_u64_e32 v[0:1], s[10:11], v[0:1]
	s_add_co_i32 s17, s17, -1
	s_delay_alu instid0(SALU_CYCLE_1) | instskip(SKIP_2) | instid1(VALU_DEP_1)
	s_cmp_eq_u32 s17, 0
	s_wait_loadcnt 0x0
	v_xor_b32_e32 v3, 0x80000000, v7
	v_cndmask_b32_e64 v7, v7, v3, s0
	ds_store_b128 v2, v[4:7]
	v_add_nc_u32_e32 v2, 0x80, v2
	s_cbranch_scc0 .LBB207_6
; %bb.7:                                ;   in Loop: Header=BB207_4 Depth=1
	s_and_b32 vcc_lo, exec_lo, s3
	s_cbranch_vccz .LBB207_13
; %bb.8:                                ;   in Loop: Header=BB207_4 Depth=1
	ds_load_b128 v[0:3], v18
                                        ; implicit-def: $vgpr6_vgpr7
	s_wait_dscnt 0x0
	v_cmp_ngt_f64_e64 s17, |v[0:1]|, |v[2:3]|
	s_and_saveexec_b32 s18, s17
	s_delay_alu instid0(SALU_CYCLE_1)
	s_xor_b32 s17, exec_lo, s18
	s_cbranch_execz .LBB207_10
; %bb.9:                                ;   in Loop: Header=BB207_4 Depth=1
	v_div_scale_f64 v[4:5], null, v[2:3], v[2:3], v[0:1]
	v_div_scale_f64 v[20:21], vcc_lo, v[0:1], v[2:3], v[0:1]
	s_delay_alu instid0(VALU_DEP_2) | instskip(SKIP_1) | instid1(TRANS32_DEP_1)
	v_rcp_f64_e32 v[6:7], v[4:5]
	v_nop
	v_fma_f64 v[16:17], -v[4:5], v[6:7], 1.0
	s_delay_alu instid0(VALU_DEP_1) | instskip(NEXT) | instid1(VALU_DEP_1)
	v_fmac_f64_e32 v[6:7], v[6:7], v[16:17]
	v_fma_f64 v[16:17], -v[4:5], v[6:7], 1.0
	s_delay_alu instid0(VALU_DEP_1) | instskip(NEXT) | instid1(VALU_DEP_1)
	v_fmac_f64_e32 v[6:7], v[6:7], v[16:17]
	v_mul_f64_e32 v[16:17], v[20:21], v[6:7]
	s_delay_alu instid0(VALU_DEP_1) | instskip(NEXT) | instid1(VALU_DEP_1)
	v_fma_f64 v[4:5], -v[4:5], v[16:17], v[20:21]
	v_div_fmas_f64 v[4:5], v[4:5], v[6:7], v[16:17]
	s_delay_alu instid0(VALU_DEP_1) | instskip(NEXT) | instid1(VALU_DEP_1)
	v_div_fixup_f64 v[4:5], v[4:5], v[2:3], v[0:1]
	v_fmac_f64_e32 v[2:3], v[0:1], v[4:5]
	s_delay_alu instid0(VALU_DEP_1) | instskip(SKIP_1) | instid1(VALU_DEP_2)
	v_div_scale_f64 v[0:1], null, v[2:3], v[2:3], 1.0
	v_div_scale_f64 v[20:21], vcc_lo, 1.0, v[2:3], 1.0
	v_rcp_f64_e32 v[6:7], v[0:1]
	v_nop
	s_delay_alu instid0(TRANS32_DEP_1) | instskip(NEXT) | instid1(VALU_DEP_1)
	v_fma_f64 v[16:17], -v[0:1], v[6:7], 1.0
	v_fmac_f64_e32 v[6:7], v[6:7], v[16:17]
	s_delay_alu instid0(VALU_DEP_1) | instskip(NEXT) | instid1(VALU_DEP_1)
	v_fma_f64 v[16:17], -v[0:1], v[6:7], 1.0
	v_fmac_f64_e32 v[6:7], v[6:7], v[16:17]
	s_delay_alu instid0(VALU_DEP_1) | instskip(NEXT) | instid1(VALU_DEP_1)
	v_mul_f64_e32 v[16:17], v[20:21], v[6:7]
	v_fma_f64 v[0:1], -v[0:1], v[16:17], v[20:21]
	s_delay_alu instid0(VALU_DEP_1) | instskip(SKIP_1) | instid1(VALU_DEP_2)
	v_div_fmas_f64 v[0:1], v[0:1], v[6:7], v[16:17]
	v_add_f64_e32 v[6:7], 0, v[4:5]
	v_div_fixup_f64 v[0:1], v[0:1], v[2:3], 1.0
	v_fma_f64 v[2:3], v[4:5], 0, -1.0
	s_delay_alu instid0(VALU_DEP_2) | instskip(NEXT) | instid1(VALU_DEP_2)
	v_mul_f64_e32 v[4:5], v[6:7], v[0:1]
	v_mul_f64_e32 v[6:7], v[2:3], v[0:1]
                                        ; implicit-def: $vgpr0_vgpr1
.LBB207_10:                             ;   in Loop: Header=BB207_4 Depth=1
	s_and_not1_saveexec_b32 s17, s17
	s_cbranch_execz .LBB207_12
; %bb.11:                               ;   in Loop: Header=BB207_4 Depth=1
	v_div_scale_f64 v[4:5], null, v[0:1], v[0:1], v[2:3]
	v_div_scale_f64 v[20:21], vcc_lo, v[2:3], v[0:1], v[2:3]
	s_delay_alu instid0(VALU_DEP_2) | instskip(SKIP_1) | instid1(TRANS32_DEP_1)
	v_rcp_f64_e32 v[6:7], v[4:5]
	v_nop
	v_fma_f64 v[16:17], -v[4:5], v[6:7], 1.0
	s_delay_alu instid0(VALU_DEP_1) | instskip(NEXT) | instid1(VALU_DEP_1)
	v_fmac_f64_e32 v[6:7], v[6:7], v[16:17]
	v_fma_f64 v[16:17], -v[4:5], v[6:7], 1.0
	s_delay_alu instid0(VALU_DEP_1) | instskip(NEXT) | instid1(VALU_DEP_1)
	v_fmac_f64_e32 v[6:7], v[6:7], v[16:17]
	v_mul_f64_e32 v[16:17], v[20:21], v[6:7]
	s_delay_alu instid0(VALU_DEP_1) | instskip(NEXT) | instid1(VALU_DEP_1)
	v_fma_f64 v[4:5], -v[4:5], v[16:17], v[20:21]
	v_div_fmas_f64 v[4:5], v[4:5], v[6:7], v[16:17]
	s_delay_alu instid0(VALU_DEP_1) | instskip(NEXT) | instid1(VALU_DEP_1)
	v_div_fixup_f64 v[4:5], v[4:5], v[0:1], v[2:3]
	v_fmac_f64_e32 v[0:1], v[2:3], v[4:5]
	s_delay_alu instid0(VALU_DEP_1) | instskip(SKIP_1) | instid1(VALU_DEP_2)
	v_div_scale_f64 v[2:3], null, v[0:1], v[0:1], 1.0
	v_div_scale_f64 v[20:21], vcc_lo, 1.0, v[0:1], 1.0
	v_rcp_f64_e32 v[6:7], v[2:3]
	v_nop
	s_delay_alu instid0(TRANS32_DEP_1) | instskip(NEXT) | instid1(VALU_DEP_1)
	v_fma_f64 v[16:17], -v[2:3], v[6:7], 1.0
	v_fmac_f64_e32 v[6:7], v[6:7], v[16:17]
	s_delay_alu instid0(VALU_DEP_1) | instskip(NEXT) | instid1(VALU_DEP_1)
	v_fma_f64 v[16:17], -v[2:3], v[6:7], 1.0
	v_fmac_f64_e32 v[6:7], v[6:7], v[16:17]
	s_delay_alu instid0(VALU_DEP_1) | instskip(NEXT) | instid1(VALU_DEP_1)
	v_mul_f64_e32 v[16:17], v[20:21], v[6:7]
	v_fma_f64 v[2:3], -v[2:3], v[16:17], v[20:21]
	s_delay_alu instid0(VALU_DEP_1) | instskip(SKIP_1) | instid1(VALU_DEP_2)
	v_div_fmas_f64 v[2:3], v[2:3], v[6:7], v[16:17]
	v_fma_f64 v[6:7], v[4:5], 0, 1.0
	v_div_fixup_f64 v[0:1], v[2:3], v[0:1], 1.0
	v_add_f64_e64 v[2:3], -v[4:5], 0
	s_delay_alu instid0(VALU_DEP_2) | instskip(NEXT) | instid1(VALU_DEP_2)
	v_mul_f64_e32 v[4:5], v[6:7], v[0:1]
	v_mul_f64_e32 v[6:7], v[2:3], v[0:1]
.LBB207_12:                             ;   in Loop: Header=BB207_4 Depth=1
	s_or_b32 exec_lo, exec_lo, s17
	s_branch .LBB207_14
.LBB207_13:                             ;   in Loop: Header=BB207_4 Depth=1
	v_mov_b64_e32 v[6:7], 0
	v_mov_b64_e32 v[4:5], 1.0
.LBB207_14:                             ;   in Loop: Header=BB207_4 Depth=1
	ds_store_b128 v18, v[4:7]
.LBB207_15:                             ;   in Loop: Header=BB207_4 Depth=1
	s_or_b32 exec_lo, exec_lo, s16
	s_mov_b32 s16, -1
	s_wait_dscnt 0x0
	; wave barrier
	s_and_saveexec_b32 s37, s2
	s_cbranch_execz .LBB207_3
; %bb.16:                               ;   in Loop: Header=BB207_4 Depth=1
	s_mul_u64 s[16:17], s[24:25], s[20:21]
	s_and_not1_b32 vcc_lo, exec_lo, s34
	v_lshl_add_u64 v[4:5], s[16:17], 4, v[10:11]
	s_mul_u64 s[16:17], s[14:15], s[20:21]
	s_mov_b32 s18, -1
	s_cbranch_vccnz .LBB207_37
; %bb.17:                               ;   in Loop: Header=BB207_4 Depth=1
	v_add_nc_u64_e32 v[6:7], s[16:17], v[14:15]
	s_mov_b32 s21, 0
	s_mov_b32 s18, s33
	s_branch .LBB207_19
.LBB207_18:                             ;   in Loop: Header=BB207_19 Depth=2
	s_cmp_gt_i32 s18, -1
	s_cselect_b32 s19, -1, 0
	s_add_co_i32 s22, s21, 1
	s_cmp_lt_u32 s21, 2
	s_wait_xcnt 0x0
	s_cselect_b32 s21, -1, 0
	s_delay_alu instid0(SALU_CYCLE_1)
	s_and_b32 s19, s19, s21
	s_mov_b32 s21, s22
	s_and_b32 vcc_lo, exec_lo, s19
	s_cbranch_vccz .LBB207_36
.LBB207_19:                             ;   Parent Loop BB207_4 Depth=1
                                        ; =>  This Loop Header: Depth=2
                                        ;       Child Loop BB207_22 Depth 3
                                        ;         Child Loop BB207_23 Depth 4
                                        ;         Child Loop BB207_25 Depth 4
                                        ;           Child Loop BB207_26 Depth 5
                                        ;         Child Loop BB207_30 Depth 4
                                        ;           Child Loop BB207_32 Depth 5
	s_load_b32 s22, s[12:13], s21 offset:0x0 scale_offset
	s_wait_kmcnt 0x0
	s_add_co_i32 s38, s22, -1
	s_delay_alu instid0(SALU_CYCLE_1)
	s_cmp_lt_i32 s18, s38
	s_cbranch_scc1 .LBB207_18
; %bb.20:                               ;   in Loop: Header=BB207_19 Depth=2
	s_lshl_b32 s19, s18, 7
	s_lshl_b32 s26, s22, 7
	s_max_i32 s39, s22, 1
	s_add_co_i32 s40, s35, s19
	s_sub_co_i32 s41, 0, s26
	s_mul_i32 s42, s18, 0x90
	s_mul_i32 s43, s22, 0xffffff70
	s_branch .LBB207_22
.LBB207_21:                             ;   in Loop: Header=BB207_22 Depth=3
	s_sub_co_i32 s18, s18, s22
	s_add_co_i32 s40, s40, s41
	s_add_co_i32 s42, s42, s43
	s_cmp_lt_i32 s18, s38
	s_cbranch_scc1 .LBB207_18
.LBB207_22:                             ;   Parent Loop BB207_4 Depth=1
                                        ;     Parent Loop BB207_19 Depth=2
                                        ; =>    This Loop Header: Depth=3
                                        ;         Child Loop BB207_23 Depth 4
                                        ;         Child Loop BB207_25 Depth 4
                                        ;           Child Loop BB207_26 Depth 5
                                        ;         Child Loop BB207_30 Depth 4
                                        ;           Child Loop BB207_32 Depth 5
	s_ashr_i32 s19, s18, 31
	v_mov_b32_e32 v2, v9
	s_wait_xcnt 0x0
	v_lshl_add_u64 v[0:1], s[18:19], 4, v[6:7]
	s_mov_b32 s26, s39
.LBB207_23:                             ;   Parent Loop BB207_4 Depth=1
                                        ;     Parent Loop BB207_19 Depth=2
                                        ;       Parent Loop BB207_22 Depth=3
                                        ; =>      This Inner Loop Header: Depth=4
	global_load_b128 v[20:23], v[0:1], off offset:-8
	s_wait_xcnt 0x0
	v_add_nc_u64_e32 v[0:1], -16, v[0:1]
	s_add_co_i32 s26, s26, -1
	s_delay_alu instid0(SALU_CYCLE_1) | instskip(SKIP_3) | instid1(VALU_DEP_2)
	s_cmp_eq_u32 s26, 0
	s_wait_loadcnt 0x0
	v_mul_f64_e32 v[16:17], s[6:7], v[22:23]
	v_mul_f64_e32 v[24:25], s[4:5], v[22:23]
	v_fma_f64 v[22:23], s[4:5], v[20:21], -v[16:17]
	s_delay_alu instid0(VALU_DEP_2)
	v_fmac_f64_e32 v[24:25], s[6:7], v[20:21]
	ds_store_b128 v2, v[22:25]
	v_add_nc_u32_e32 v2, 16, v2
	s_cbranch_scc0 .LBB207_23
; %bb.24:                               ;   in Loop: Header=BB207_22 Depth=3
	s_cmp_le_i32 s33, s18
	s_mov_b32 s28, s40
	s_mov_b32 s26, s33
	s_cbranch_scc1 .LBB207_28
.LBB207_25:                             ;   Parent Loop BB207_4 Depth=1
                                        ;     Parent Loop BB207_19 Depth=2
                                        ;       Parent Loop BB207_22 Depth=3
                                        ; =>      This Loop Header: Depth=4
                                        ;           Child Loop BB207_26 Depth 5
	s_ashr_i32 s27, s26, 31
	v_mov_b32_e32 v16, v9
	s_wait_xcnt 0x0
	v_lshl_add_u64 v[0:1], s[26:27], 4, v[4:5]
	s_mov_b32 s27, s28
	s_mov_b32 s29, s39
	global_load_b128 v[0:3], v[0:1], off
.LBB207_26:                             ;   Parent Loop BB207_4 Depth=1
                                        ;     Parent Loop BB207_19 Depth=2
                                        ;       Parent Loop BB207_22 Depth=3
                                        ;         Parent Loop BB207_25 Depth=4
                                        ; =>        This Inner Loop Header: Depth=5
	v_mov_b32_e32 v17, s27
	s_add_co_i32 s29, s29, -1
	s_addk_co_i32 s27, 0xff80
	s_cmp_eq_u32 s29, 0
	ds_load_b128 v[20:23], v17
	s_wait_loadcnt_dscnt 0x0
	v_mul_f64_e32 v[24:25], v[2:3], v[22:23]
	v_mul_f64_e32 v[26:27], v[0:1], v[22:23]
	s_delay_alu instid0(VALU_DEP_2) | instskip(NEXT) | instid1(VALU_DEP_2)
	v_fma_f64 v[24:25], v[0:1], v[20:21], -v[24:25]
	v_fmac_f64_e32 v[26:27], v[2:3], v[20:21]
	ds_load_b128 v[20:23], v16
	s_wait_dscnt 0x0
	v_add_f64_e64 v[20:21], v[20:21], -v[24:25]
	v_add_f64_e64 v[22:23], v[22:23], -v[26:27]
	ds_store_b128 v16, v[20:23]
	v_add_nc_u32_e32 v16, 16, v16
	s_cbranch_scc0 .LBB207_26
; %bb.27:                               ;   in Loop: Header=BB207_25 Depth=4
	s_add_co_i32 s26, s26, -1
	s_add_co_i32 s28, s28, -16
	s_cmp_le_i32 s26, s18
	s_cbranch_scc0 .LBB207_25
.LBB207_28:                             ;   in Loop: Header=BB207_22 Depth=3
	s_mov_b32 s44, 0
	s_mov_b32 s45, s42
	s_branch .LBB207_30
.LBB207_29:                             ;   in Loop: Header=BB207_30 Depth=4
	s_mulk_i32 s28, 0x90
	s_add_co_i32 s44, s44, 1
	v_mov_b32_e32 v17, s28
	s_addk_co_i32 s45, 0xff80
	s_cmp_eq_u32 s44, s39
	ds_load_b128 v[20:23], v17
	s_wait_dscnt 0x0
	s_wait_xcnt 0x0
	v_mul_f64_e32 v[24:25], v[22:23], v[2:3]
	v_mul_f64_e32 v[26:27], v[20:21], v[2:3]
	s_delay_alu instid0(VALU_DEP_2) | instskip(NEXT) | instid1(VALU_DEP_2)
	v_fma_f64 v[24:25], v[20:21], v[0:1], -v[24:25]
	v_fmac_f64_e32 v[26:27], v[22:23], v[0:1]
	v_lshl_add_u64 v[0:1], s[26:27], 4, v[4:5]
	ds_store_b128 v16, v[24:27]
	global_store_b128 v[0:1], v[24:27], off
	s_cbranch_scc1 .LBB207_21
.LBB207_30:                             ;   Parent Loop BB207_4 Depth=1
                                        ;     Parent Loop BB207_19 Depth=2
                                        ;       Parent Loop BB207_22 Depth=3
                                        ; =>      This Loop Header: Depth=4
                                        ;           Child Loop BB207_32 Depth 5
	v_lshl_add_u32 v16, s44, 4, v9
	s_cmp_lg_u32 s44, 0
	s_cbranch_scc0 .LBB207_34
; %bb.31:                               ;   in Loop: Header=BB207_30 Depth=4
	s_wait_xcnt 0x0
	ds_load_b128 v[0:3], v16
	v_mov_b32_e32 v17, v9
	s_mov_b32 s26, s45
	s_mov_b32 s27, s44
.LBB207_32:                             ;   Parent Loop BB207_4 Depth=1
                                        ;     Parent Loop BB207_19 Depth=2
                                        ;       Parent Loop BB207_22 Depth=3
                                        ;         Parent Loop BB207_30 Depth=4
                                        ; =>        This Inner Loop Header: Depth=5
	v_mov_b32_e32 v19, s26
	s_add_co_i32 s27, s27, -1
	s_add_co_i32 s26, s26, -16
	s_cmp_eq_u32 s27, 0
	ds_load_b128 v[20:23], v17
	ds_load_b128 v[24:27], v19
	s_wait_dscnt 0x0
	v_dual_mul_f64 v[28:29], v[26:27], v[22:23] :: v_dual_add_nc_u32 v17, 16, v17
	v_mul_f64_e32 v[22:23], v[24:25], v[22:23]
	s_delay_alu instid0(VALU_DEP_2) | instskip(NEXT) | instid1(VALU_DEP_2)
	v_fma_f64 v[24:25], v[24:25], v[20:21], -v[28:29]
	v_fmac_f64_e32 v[22:23], v[26:27], v[20:21]
	s_delay_alu instid0(VALU_DEP_2) | instskip(NEXT) | instid1(VALU_DEP_2)
	v_add_f64_e64 v[0:1], v[0:1], -v[24:25]
	v_add_f64_e64 v[2:3], v[2:3], -v[22:23]
	ds_store_b128 v16, v[0:3]
	s_cbranch_scc0 .LBB207_32
; %bb.33:                               ;   in Loop: Header=BB207_30 Depth=4
	s_sub_co_i32 s28, s18, s44
	s_delay_alu instid0(SALU_CYCLE_1) | instskip(NEXT) | instid1(SALU_CYCLE_1)
	s_ashr_i32 s29, s28, 31
	s_mov_b64 s[26:27], s[28:29]
	s_branch .LBB207_29
.LBB207_34:                             ;   in Loop: Header=BB207_30 Depth=4
                                        ; implicit-def: $vgpr0_vgpr1
                                        ; implicit-def: $sgpr28
                                        ; implicit-def: $sgpr26_sgpr27
	s_cbranch_execz .LBB207_29
; %bb.35:                               ;   in Loop: Header=BB207_30 Depth=4
	s_wait_xcnt 0x0
	ds_load_b128 v[0:3], v9
	s_mov_b64 s[26:27], s[18:19]
	s_mov_b32 s28, s18
	s_branch .LBB207_29
.LBB207_36:                             ;   in Loop: Header=BB207_4 Depth=1
	s_mov_b32 s18, 0
.LBB207_37:                             ;   in Loop: Header=BB207_4 Depth=1
	s_delay_alu instid0(SALU_CYCLE_1)
	s_and_b32 vcc_lo, exec_lo, s18
	s_cbranch_vccz .LBB207_2
; %bb.38:                               ;   in Loop: Header=BB207_4 Depth=1
	v_add_nc_u64_e32 v[6:7], s[16:17], v[14:15]
	s_mov_b32 s16, 0
	s_mov_b32 s21, 0
	s_branch .LBB207_40
.LBB207_39:                             ;   in Loop: Header=BB207_40 Depth=2
	s_cmp_lt_i32 s16, s31
	s_cselect_b32 s17, -1, 0
	s_add_co_i32 s18, s21, 1
	s_cmp_lt_u32 s21, 2
	s_mov_b32 s21, s18
	s_cselect_b32 s19, -1, 0
	s_delay_alu instid0(SALU_CYCLE_1) | instskip(NEXT) | instid1(SALU_CYCLE_1)
	s_and_b32 s17, s17, s19
	s_and_not1_b32 vcc_lo, exec_lo, s17
	s_cbranch_vccnz .LBB207_2
.LBB207_40:                             ;   Parent Loop BB207_4 Depth=1
                                        ; =>  This Loop Header: Depth=2
                                        ;       Child Loop BB207_43 Depth 3
                                        ;         Child Loop BB207_44 Depth 4
                                        ;         Child Loop BB207_47 Depth 4
                                        ;           Child Loop BB207_48 Depth 5
                                        ;         Child Loop BB207_52 Depth 4
                                        ;           Child Loop BB207_54 Depth 5
	s_load_b32 s18, s[12:13], s21 offset:0x0 scale_offset
	s_wait_kmcnt 0x0
	s_add_co_i32 s28, s18, -1
	s_delay_alu instid0(SALU_CYCLE_1) | instskip(NEXT) | instid1(SALU_CYCLE_1)
	s_add_co_i32 s17, s28, s16
	s_cmp_ge_i32 s17, s31
	s_cbranch_scc1 .LBB207_39
; %bb.41:                               ;   in Loop: Header=BB207_40 Depth=2
	s_ashr_i32 s17, s16, 31
	s_ashr_i32 s19, s18, 31
	v_lshl_add_u64 v[16:17], s[16:17], 4, v[6:7]
	s_max_i32 s29, s18, 1
	s_lshl_b64 s[26:27], s[18:19], 4
	s_lshl_b32 s17, s16, 4
	s_lshl_b32 s19, s18, 4
	s_mul_i32 s38, s16, 0x90
	s_mul_i32 s39, s18, 0x90
	s_branch .LBB207_43
.LBB207_42:                             ;   in Loop: Header=BB207_43 Depth=3
	v_add_nc_u64_e32 v[16:17], s[26:27], v[16:17]
	s_add_co_i32 s16, s16, s18
	s_add_co_i32 s17, s17, s19
	;; [unrolled: 1-line block ×4, first 2 shown]
	s_cmp_ge_i32 s22, s31
	s_cbranch_scc1 .LBB207_39
.LBB207_43:                             ;   Parent Loop BB207_4 Depth=1
                                        ;     Parent Loop BB207_40 Depth=2
                                        ; =>    This Loop Header: Depth=3
                                        ;         Child Loop BB207_44 Depth 4
                                        ;         Child Loop BB207_47 Depth 4
                                        ;           Child Loop BB207_48 Depth 5
                                        ;         Child Loop BB207_52 Depth 4
                                        ;           Child Loop BB207_54 Depth 5
	s_wait_xcnt 0x0
	v_mov_b64_e32 v[0:1], v[16:17]
	v_mov_b32_e32 v2, v9
	s_mov_b32 s22, s29
.LBB207_44:                             ;   Parent Loop BB207_4 Depth=1
                                        ;     Parent Loop BB207_40 Depth=2
                                        ;       Parent Loop BB207_43 Depth=3
                                        ; =>      This Inner Loop Header: Depth=4
	global_load_b128 v[20:23], v[0:1], off offset:-8
	s_wait_xcnt 0x0
	v_add_nc_u64_e32 v[0:1], 16, v[0:1]
	s_add_co_i32 s22, s22, -1
	s_delay_alu instid0(SALU_CYCLE_1) | instskip(SKIP_3) | instid1(VALU_DEP_2)
	s_cmp_eq_u32 s22, 0
	s_wait_loadcnt 0x0
	v_mul_f64_e32 v[26:27], s[6:7], v[22:23]
	v_mul_f64_e32 v[24:25], s[4:5], v[22:23]
	v_fma_f64 v[22:23], s[4:5], v[20:21], -v[26:27]
	s_delay_alu instid0(VALU_DEP_2)
	v_fmac_f64_e32 v[24:25], s[6:7], v[20:21]
	ds_store_b128 v2, v[22:25]
	v_add_nc_u32_e32 v2, 16, v2
	s_cbranch_scc0 .LBB207_44
; %bb.45:                               ;   in Loop: Header=BB207_43 Depth=3
	s_cmp_lt_i32 s16, 1
	s_cbranch_scc1 .LBB207_50
; %bb.46:                               ;   in Loop: Header=BB207_43 Depth=3
	s_mov_b32 s22, 0
	s_mov_b32 s40, s17
.LBB207_47:                             ;   Parent Loop BB207_4 Depth=1
                                        ;     Parent Loop BB207_40 Depth=2
                                        ;       Parent Loop BB207_43 Depth=3
                                        ; =>      This Loop Header: Depth=4
                                        ;           Child Loop BB207_48 Depth 5
	s_wait_xcnt 0x0
	v_lshl_add_u64 v[0:1], s[22:23], 4, v[4:5]
	v_mov_b32_e32 v19, v9
	s_mov_b32 s41, s40
	s_mov_b32 s42, s29
	global_load_b128 v[0:3], v[0:1], off
.LBB207_48:                             ;   Parent Loop BB207_4 Depth=1
                                        ;     Parent Loop BB207_40 Depth=2
                                        ;       Parent Loop BB207_43 Depth=3
                                        ;         Parent Loop BB207_47 Depth=4
                                        ; =>        This Inner Loop Header: Depth=5
	v_mov_b32_e32 v20, s41
	s_add_co_i32 s42, s42, -1
	s_add_co_i32 s41, s41, 16
	s_cmp_eq_u32 s42, 0
	ds_load_b128 v[20:23], v20
	s_wait_loadcnt_dscnt 0x0
	v_mul_f64_e32 v[24:25], v[2:3], v[22:23]
	v_mul_f64_e32 v[26:27], v[0:1], v[22:23]
	s_delay_alu instid0(VALU_DEP_2) | instskip(NEXT) | instid1(VALU_DEP_2)
	v_fma_f64 v[24:25], v[0:1], v[20:21], -v[24:25]
	v_fmac_f64_e32 v[26:27], v[2:3], v[20:21]
	ds_load_b128 v[20:23], v19
	s_wait_dscnt 0x0
	v_add_f64_e64 v[20:21], v[20:21], -v[24:25]
	v_add_f64_e64 v[22:23], v[22:23], -v[26:27]
	ds_store_b128 v19, v[20:23]
	v_add_nc_u32_e32 v19, 16, v19
	s_cbranch_scc0 .LBB207_48
; %bb.49:                               ;   in Loop: Header=BB207_47 Depth=4
	s_add_co_i32 s22, s22, 1
	s_addk_co_i32 s40, 0x80
	s_cmp_eq_u32 s22, s16
	s_cbranch_scc0 .LBB207_47
.LBB207_50:                             ;   in Loop: Header=BB207_43 Depth=3
	s_mov_b32 s22, 0
	s_mov_b32 s40, s38
	s_branch .LBB207_52
.LBB207_51:                             ;   in Loop: Header=BB207_52 Depth=4
	s_add_co_i32 s42, s22, s16
	s_add_co_i32 s22, s22, 1
	s_mul_i32 s41, s42, 0x90
	s_ashr_i32 s43, s42, 31
	v_mov_b32_e32 v20, s41
	s_add_co_i32 s40, s40, 16
	s_cmp_eq_u32 s22, s29
	ds_load_b128 v[20:23], v20
	s_wait_dscnt 0x0
	s_wait_xcnt 0x0
	v_mul_f64_e32 v[24:25], v[22:23], v[2:3]
	v_mul_f64_e32 v[26:27], v[20:21], v[2:3]
	s_delay_alu instid0(VALU_DEP_2) | instskip(NEXT) | instid1(VALU_DEP_2)
	v_fma_f64 v[24:25], v[20:21], v[0:1], -v[24:25]
	v_fmac_f64_e32 v[26:27], v[22:23], v[0:1]
	s_wait_xcnt 0x0
	v_lshl_add_u64 v[0:1], s[42:43], 4, v[4:5]
	ds_store_b128 v19, v[24:27]
	global_store_b128 v[0:1], v[24:27], off
	s_cbranch_scc1 .LBB207_42
.LBB207_52:                             ;   Parent Loop BB207_4 Depth=1
                                        ;     Parent Loop BB207_40 Depth=2
                                        ;       Parent Loop BB207_43 Depth=3
                                        ; =>      This Loop Header: Depth=4
                                        ;           Child Loop BB207_54 Depth 5
	v_lshl_add_u32 v19, s22, 4, v9
	s_cmp_lg_u32 s22, 0
	s_cbranch_scc0 .LBB207_56
; %bb.53:                               ;   in Loop: Header=BB207_52 Depth=4
	s_wait_xcnt 0x0
	ds_load_b128 v[0:3], v19
	v_mov_b32_e32 v20, v9
	s_mov_b32 s41, s40
	s_mov_b32 s42, s22
.LBB207_54:                             ;   Parent Loop BB207_4 Depth=1
                                        ;     Parent Loop BB207_40 Depth=2
                                        ;       Parent Loop BB207_43 Depth=3
                                        ;         Parent Loop BB207_52 Depth=4
                                        ; =>        This Inner Loop Header: Depth=5
	v_mov_b32_e32 v21, s41
	s_add_co_i32 s42, s42, -1
	s_addk_co_i32 s41, 0x80
	s_cmp_eq_u32 s42, 0
	ds_load_b128 v[22:25], v20
	ds_load_b128 v[26:29], v21
	v_add_nc_u32_e32 v20, 16, v20
	s_wait_dscnt 0x0
	v_mul_f64_e32 v[30:31], v[28:29], v[24:25]
	v_mul_f64_e32 v[24:25], v[26:27], v[24:25]
	s_delay_alu instid0(VALU_DEP_2) | instskip(NEXT) | instid1(VALU_DEP_2)
	v_fma_f64 v[26:27], v[26:27], v[22:23], -v[30:31]
	v_fmac_f64_e32 v[24:25], v[28:29], v[22:23]
	s_delay_alu instid0(VALU_DEP_2) | instskip(NEXT) | instid1(VALU_DEP_2)
	v_add_f64_e64 v[0:1], v[0:1], -v[26:27]
	v_add_f64_e64 v[2:3], v[2:3], -v[24:25]
	ds_store_b128 v19, v[0:3]
	s_cbranch_scc0 .LBB207_54
; %bb.55:                               ;   in Loop: Header=BB207_52 Depth=4
	s_branch .LBB207_51
.LBB207_56:                             ;   in Loop: Header=BB207_52 Depth=4
                                        ; implicit-def: $vgpr0_vgpr1
	s_cbranch_execz .LBB207_51
; %bb.57:                               ;   in Loop: Header=BB207_52 Depth=4
	s_wait_xcnt 0x0
	ds_load_b128 v[0:3], v9
	s_branch .LBB207_51
.LBB207_58:
	s_endpgm
	.section	.rodata,"a",@progbits
	.p2align	6, 0x0
	.amdhsa_kernel _ZL30rocblas_trsm_small_left_deviceILi8ELi8ELb1E19rocblas_complex_numIdES1_PKS1_PS1_Ev13rocblas_fill_18rocblas_operation_17rocblas_diagonal_iiT3_T4_lilT5_lili
		.amdhsa_group_segment_fixed_size 2048
		.amdhsa_private_segment_fixed_size 0
		.amdhsa_kernarg_size 368
		.amdhsa_user_sgpr_count 4
		.amdhsa_user_sgpr_dispatch_ptr 1
		.amdhsa_user_sgpr_queue_ptr 0
		.amdhsa_user_sgpr_kernarg_segment_ptr 1
		.amdhsa_user_sgpr_dispatch_id 0
		.amdhsa_user_sgpr_kernarg_preload_length 0
		.amdhsa_user_sgpr_kernarg_preload_offset 0
		.amdhsa_user_sgpr_private_segment_size 0
		.amdhsa_wavefront_size32 1
		.amdhsa_uses_dynamic_stack 0
		.amdhsa_enable_private_segment 0
		.amdhsa_system_sgpr_workgroup_id_x 1
		.amdhsa_system_sgpr_workgroup_id_y 0
		.amdhsa_system_sgpr_workgroup_id_z 1
		.amdhsa_system_sgpr_workgroup_info 0
		.amdhsa_system_vgpr_workitem_id 2
		.amdhsa_next_free_vgpr 32
		.amdhsa_next_free_sgpr 46
		.amdhsa_named_barrier_count 0
		.amdhsa_reserve_vcc 1
		.amdhsa_float_round_mode_32 0
		.amdhsa_float_round_mode_16_64 0
		.amdhsa_float_denorm_mode_32 3
		.amdhsa_float_denorm_mode_16_64 3
		.amdhsa_fp16_overflow 0
		.amdhsa_memory_ordered 1
		.amdhsa_forward_progress 1
		.amdhsa_inst_pref_size 21
		.amdhsa_round_robin_scheduling 0
		.amdhsa_exception_fp_ieee_invalid_op 0
		.amdhsa_exception_fp_denorm_src 0
		.amdhsa_exception_fp_ieee_div_zero 0
		.amdhsa_exception_fp_ieee_overflow 0
		.amdhsa_exception_fp_ieee_underflow 0
		.amdhsa_exception_fp_ieee_inexact 0
		.amdhsa_exception_int_div_zero 0
	.end_amdhsa_kernel
	.section	.text._ZL30rocblas_trsm_small_left_deviceILi8ELi8ELb1E19rocblas_complex_numIdES1_PKS1_PS1_Ev13rocblas_fill_18rocblas_operation_17rocblas_diagonal_iiT3_T4_lilT5_lili,"axG",@progbits,_ZL30rocblas_trsm_small_left_deviceILi8ELi8ELb1E19rocblas_complex_numIdES1_PKS1_PS1_Ev13rocblas_fill_18rocblas_operation_17rocblas_diagonal_iiT3_T4_lilT5_lili,comdat
.Lfunc_end207:
	.size	_ZL30rocblas_trsm_small_left_deviceILi8ELi8ELb1E19rocblas_complex_numIdES1_PKS1_PS1_Ev13rocblas_fill_18rocblas_operation_17rocblas_diagonal_iiT3_T4_lilT5_lili, .Lfunc_end207-_ZL30rocblas_trsm_small_left_deviceILi8ELi8ELb1E19rocblas_complex_numIdES1_PKS1_PS1_Ev13rocblas_fill_18rocblas_operation_17rocblas_diagonal_iiT3_T4_lilT5_lili
                                        ; -- End function
	.set _ZL30rocblas_trsm_small_left_deviceILi8ELi8ELb1E19rocblas_complex_numIdES1_PKS1_PS1_Ev13rocblas_fill_18rocblas_operation_17rocblas_diagonal_iiT3_T4_lilT5_lili.num_vgpr, 32
	.set _ZL30rocblas_trsm_small_left_deviceILi8ELi8ELb1E19rocblas_complex_numIdES1_PKS1_PS1_Ev13rocblas_fill_18rocblas_operation_17rocblas_diagonal_iiT3_T4_lilT5_lili.num_agpr, 0
	.set _ZL30rocblas_trsm_small_left_deviceILi8ELi8ELb1E19rocblas_complex_numIdES1_PKS1_PS1_Ev13rocblas_fill_18rocblas_operation_17rocblas_diagonal_iiT3_T4_lilT5_lili.numbered_sgpr, 46
	.set _ZL30rocblas_trsm_small_left_deviceILi8ELi8ELb1E19rocblas_complex_numIdES1_PKS1_PS1_Ev13rocblas_fill_18rocblas_operation_17rocblas_diagonal_iiT3_T4_lilT5_lili.num_named_barrier, 0
	.set _ZL30rocblas_trsm_small_left_deviceILi8ELi8ELb1E19rocblas_complex_numIdES1_PKS1_PS1_Ev13rocblas_fill_18rocblas_operation_17rocblas_diagonal_iiT3_T4_lilT5_lili.private_seg_size, 0
	.set _ZL30rocblas_trsm_small_left_deviceILi8ELi8ELb1E19rocblas_complex_numIdES1_PKS1_PS1_Ev13rocblas_fill_18rocblas_operation_17rocblas_diagonal_iiT3_T4_lilT5_lili.uses_vcc, 1
	.set _ZL30rocblas_trsm_small_left_deviceILi8ELi8ELb1E19rocblas_complex_numIdES1_PKS1_PS1_Ev13rocblas_fill_18rocblas_operation_17rocblas_diagonal_iiT3_T4_lilT5_lili.uses_flat_scratch, 0
	.set _ZL30rocblas_trsm_small_left_deviceILi8ELi8ELb1E19rocblas_complex_numIdES1_PKS1_PS1_Ev13rocblas_fill_18rocblas_operation_17rocblas_diagonal_iiT3_T4_lilT5_lili.has_dyn_sized_stack, 0
	.set _ZL30rocblas_trsm_small_left_deviceILi8ELi8ELb1E19rocblas_complex_numIdES1_PKS1_PS1_Ev13rocblas_fill_18rocblas_operation_17rocblas_diagonal_iiT3_T4_lilT5_lili.has_recursion, 0
	.set _ZL30rocblas_trsm_small_left_deviceILi8ELi8ELb1E19rocblas_complex_numIdES1_PKS1_PS1_Ev13rocblas_fill_18rocblas_operation_17rocblas_diagonal_iiT3_T4_lilT5_lili.has_indirect_call, 0
	.section	.AMDGPU.csdata,"",@progbits
; Kernel info:
; codeLenInByte = 2632
; TotalNumSgprs: 48
; NumVgprs: 32
; ScratchSize: 0
; MemoryBound: 0
; FloatMode: 240
; IeeeMode: 1
; LDSByteSize: 2048 bytes/workgroup (compile time only)
; SGPRBlocks: 0
; VGPRBlocks: 1
; NumSGPRsForWavesPerEU: 48
; NumVGPRsForWavesPerEU: 32
; NamedBarCnt: 0
; Occupancy: 16
; WaveLimiterHint : 0
; COMPUTE_PGM_RSRC2:SCRATCH_EN: 0
; COMPUTE_PGM_RSRC2:USER_SGPR: 4
; COMPUTE_PGM_RSRC2:TRAP_HANDLER: 0
; COMPUTE_PGM_RSRC2:TGID_X_EN: 1
; COMPUTE_PGM_RSRC2:TGID_Y_EN: 0
; COMPUTE_PGM_RSRC2:TGID_Z_EN: 1
; COMPUTE_PGM_RSRC2:TIDIG_COMP_CNT: 2
	.section	.text._ZL31rocblas_trsm_small_right_deviceI19rocblas_complex_numIdES1_PKS1_PS1_Li8EEv13rocblas_fill_18rocblas_operation_17rocblas_diagonal_iiT0_T1_lilT2_lili,"axG",@progbits,_ZL31rocblas_trsm_small_right_deviceI19rocblas_complex_numIdES1_PKS1_PS1_Li8EEv13rocblas_fill_18rocblas_operation_17rocblas_diagonal_iiT0_T1_lilT2_lili,comdat
	.globl	_ZL31rocblas_trsm_small_right_deviceI19rocblas_complex_numIdES1_PKS1_PS1_Li8EEv13rocblas_fill_18rocblas_operation_17rocblas_diagonal_iiT0_T1_lilT2_lili ; -- Begin function _ZL31rocblas_trsm_small_right_deviceI19rocblas_complex_numIdES1_PKS1_PS1_Li8EEv13rocblas_fill_18rocblas_operation_17rocblas_diagonal_iiT0_T1_lilT2_lili
	.p2align	8
	.type	_ZL31rocblas_trsm_small_right_deviceI19rocblas_complex_numIdES1_PKS1_PS1_Li8EEv13rocblas_fill_18rocblas_operation_17rocblas_diagonal_iiT0_T1_lilT2_lili,@function
_ZL31rocblas_trsm_small_right_deviceI19rocblas_complex_numIdES1_PKS1_PS1_Li8EEv13rocblas_fill_18rocblas_operation_17rocblas_diagonal_iiT0_T1_lilT2_lili: ; @_ZL31rocblas_trsm_small_right_deviceI19rocblas_complex_numIdES1_PKS1_PS1_Li8EEv13rocblas_fill_18rocblas_operation_17rocblas_diagonal_iiT0_T1_lilT2_lili
; %bb.0:
	s_load_b32 s3, s[0:1], 0x68
	s_bfe_u32 s2, ttmp6, 0x40014
	s_lshr_b32 s5, ttmp7, 16
	s_add_co_i32 s2, s2, 1
	s_bfe_u32 s6, ttmp6, 0x40008
	s_mul_i32 s2, s5, s2
	s_getreg_b32 s4, hwreg(HW_REG_IB_STS2, 6, 4)
	s_add_co_i32 s6, s6, s2
	s_cmp_eq_u32 s4, 0
	s_mov_b32 s25, 0
	s_cselect_b32 s24, s5, s6
	s_wait_kmcnt 0x0
	s_cmp_ge_u32 s24, s3
	s_cbranch_scc1 .LBB208_146
; %bb.1:
	s_clause 0x6
	s_load_b32 s26, s[0:1], 0x38
	s_load_b96 s[20:22], s[0:1], 0x50
	s_load_b128 s[16:19], s[0:1], 0x0
	s_load_b32 s30, s[0:1], 0x10
	s_load_b32 s5, s[0:1], 0x70
	s_load_b64 s[28:29], s[0:1], 0x60
	s_load_b128 s[12:15], s[0:1], 0x40
	v_dual_lshlrev_b32 v28, 4, v0 :: v_dual_lshlrev_b32 v3, 7, v0
	s_delay_alu instid0(VALU_DEP_1) | instskip(NEXT) | instid1(VALU_DEP_2)
	v_or_b32_e32 v34, 0x400, v28
	v_dual_mov_b32 v3, 0x3ff00000 :: v_dual_add_nc_u32 v36, v28, v3
	s_wait_kmcnt 0x0
	s_ashr_i32 s27, s26, 31
	s_ashr_i32 s23, s22, 31
	s_cmp_lg_u32 s16, 0x7a
	s_cselect_b32 s34, -1, 0
	s_cmp_eq_u32 s17, 0x71
	s_cselect_b32 s2, -1, 0
	s_bfe_u32 s6, ttmp6, 0x4000c
	s_min_i32 s31, s30, 8
	s_add_co_i32 s6, s6, 1
	s_add_co_i32 s35, s5, -1
	s_and_b32 s5, ttmp6, 15
	s_mul_i32 s6, ttmp9, s6
	s_add_co_i32 s33, s31, -1
	s_add_co_i32 s36, s5, s6
	s_cmp_eq_u32 s4, 0
	s_load_b256 s[4:11], s[0:1], 0x18
	s_wait_xcnt 0x0
	s_cselect_b32 s0, ttmp9, s36
	s_mul_i32 s38, s31, 0x90
	s_lshl_b32 s1, s0, 3
	s_delay_alu instid0(SALU_CYCLE_1)
	s_sub_co_i32 s1, s19, s1
	s_cmp_ge_u32 s0, s35
	s_cselect_b32 s19, s1, 8
	s_ashr_i32 s1, s0, 31
	v_cmp_gt_i32_e32 vcc_lo, s19, v0
	s_lshl_b64 s[36:37], s[0:1], 7
	s_cmp_eq_u32 s18, 0x84
	v_cmp_gt_i32_e64 s0, s31, v0
	s_cselect_b32 s1, -1, 0
	s_cmp_gt_i32 s30, 0
	s_cselect_b32 s35, -1, 0
	s_cmp_lg_u32 s17, 0x6f
	s_cselect_b32 s17, -1, 0
	s_cmp_lg_u32 s16, 0x79
	s_cselect_b32 s16, -1, 0
	s_or_b32 s18, s34, s17
	s_or_b32 s19, s16, s17
	s_cmp_gt_i32 s30, 3
	v_cndmask_b32_e64 v35, 0, 1, s16
	s_cselect_b32 s34, -1, 0
	s_wait_kmcnt 0x0
	s_lshl_b64 s[16:17], s[10:11], 4
	s_lshl_b64 s[10:11], s[12:13], 4
	;; [unrolled: 1-line block ×3, first 2 shown]
	s_lshl_b32 s26, s31, 7
	s_delay_alu instid0(SALU_CYCLE_1) | instskip(SKIP_3) | instid1(VALU_DEP_1)
	v_dual_mov_b32 v2, 0 :: v_dual_bitop2_b32 v6, s26, v28 bitop3:0x54
	s_lshl_b64 s[20:21], s[20:21], 4
	s_add_nc_u64 s[8:9], s[8:9], s[16:17]
	s_add_nc_u64 s[16:17], s[36:37], s[20:21]
	v_mov_b32_e32 v29, v2
	s_add_nc_u64 s[14:15], s[14:15], s[16:17]
	s_and_b32 s35, vcc_lo, s35
	s_add_co_i32 s20, s38, 0xffffff40
	s_add_co_i32 s21, s26, 0xffffff80
	v_add_nc_u64_e32 v[4:5], s[8:9], v[28:29]
	v_add_nc_u64_e32 v[0:1], s[14:15], v[28:29]
	v_add_nc_u32_e32 v29, 0x380, v6
	s_lshl_b64 s[14:15], s[22:23], 4
	s_lshl_b32 s23, s31, 4
	s_lshl_b64 s[8:9], s[28:29], 4
	s_add_co_i32 s22, s38, 0xfffffdf0
	v_add_nc_u64_e32 v[30:31], 8, v[4:5]
	v_add_nc_u64_e32 v[32:33], 8, v[0:1]
	s_add_co_i32 s23, s23, -16
	s_branch .LBB208_3
.LBB208_2:                              ;   in Loop: Header=BB208_3 Depth=1
	s_or_b32 exec_lo, exec_lo, s26
	s_add_co_i32 s24, s24, 0x10000
	s_delay_alu instid0(SALU_CYCLE_1)
	s_cmp_lt_u32 s24, s3
	s_cbranch_scc0 .LBB208_146
.LBB208_3:                              ; =>This Loop Header: Depth=1
                                        ;     Child Loop BB208_5 Depth 2
                                        ;     Child Loop BB208_10 Depth 2
	;; [unrolled: 1-line block ×3, first 2 shown]
                                        ;       Child Loop BB208_17 Depth 3
                                        ;     Child Loop BB208_39 Depth 2
                                        ;       Child Loop BB208_40 Depth 3
                                        ;     Child Loop BB208_48 Depth 2
	;; [unrolled: 2-line block ×8, first 2 shown]
	s_and_saveexec_b32 s16, s0
	s_cbranch_execz .LBB208_8
; %bb.4:                                ;   in Loop: Header=BB208_3 Depth=1
	s_delay_alu instid0(VALU_DEP_2) | instskip(SKIP_2) | instid1(VALU_DEP_2)
	v_mad_nc_u64_u32 v[4:5], s10, s24, v[30:31]
	v_mov_b32_e32 v6, v28
	s_mov_b32 s17, s31
	v_mad_u32 v5, s11, s24, v5
.LBB208_5:                              ;   Parent Loop BB208_3 Depth=1
                                        ; =>  This Inner Loop Header: Depth=2
	global_load_b128 v[8:11], v[4:5], off offset:-8
	s_wait_xcnt 0x0
	v_add_nc_u64_e32 v[4:5], s[12:13], v[4:5]
	s_add_co_i32 s17, s17, -1
	s_delay_alu instid0(SALU_CYCLE_1) | instskip(SKIP_2) | instid1(VALU_DEP_1)
	s_cmp_eq_u32 s17, 0
	s_wait_loadcnt 0x0
	v_xor_b32_e32 v7, 0x80000000, v11
	v_cndmask_b32_e64 v11, v11, v7, s2
	ds_store_b128 v6, v[8:11]
	v_add_nc_u32_e32 v6, 0x80, v6
	s_cbranch_scc0 .LBB208_5
; %bb.6:                                ;   in Loop: Header=BB208_3 Depth=1
	s_and_b32 vcc_lo, exec_lo, s1
	s_cbranch_vccz .LBB208_8
; %bb.7:                                ;   in Loop: Header=BB208_3 Depth=1
	v_dual_mov_b32 v4, v2 :: v_dual_mov_b32 v5, v2
	ds_store_b128 v36, v[2:5]
.LBB208_8:                              ;   in Loop: Header=BB208_3 Depth=1
	s_or_b32 exec_lo, exec_lo, s16
	s_mul_u64 s[16:17], s[8:9], s[24:25]
	s_and_saveexec_b32 s26, s35
	s_cbranch_execz .LBB208_11
; %bb.9:                                ;   in Loop: Header=BB208_3 Depth=1
	v_add_nc_u64_e32 v[4:5], s[16:17], v[32:33]
	v_mov_b32_e32 v6, v34
	s_mov_b32 s27, s30
.LBB208_10:                             ;   Parent Loop BB208_3 Depth=1
                                        ; =>  This Inner Loop Header: Depth=2
	global_load_b128 v[8:11], v[4:5], off offset:-8
	s_wait_xcnt 0x0
	v_add_nc_u64_e32 v[4:5], s[14:15], v[4:5]
	s_add_co_i32 s27, s27, -1
	s_delay_alu instid0(SALU_CYCLE_1) | instskip(SKIP_3) | instid1(VALU_DEP_2)
	s_cmp_lg_u32 s27, 0
	s_wait_loadcnt 0x0
	v_mul_f64_e32 v[14:15], s[6:7], v[10:11]
	v_mul_f64_e32 v[12:13], s[4:5], v[10:11]
	v_fma_f64 v[10:11], s[4:5], v[8:9], -v[14:15]
	s_delay_alu instid0(VALU_DEP_2)
	v_fmac_f64_e32 v[12:13], s[6:7], v[8:9]
	ds_store_b128 v6, v[10:13]
	v_add_nc_u32_e32 v6, 0x80, v6
	s_cbranch_scc1 .LBB208_10
.LBB208_11:                             ;   in Loop: Header=BB208_3 Depth=1
	s_or_b32 exec_lo, exec_lo, s26
	s_delay_alu instid0(SALU_CYCLE_1)
	s_and_b32 vcc_lo, exec_lo, s19
	s_mov_b32 s26, -1
	s_wait_dscnt 0x0
	; wave barrier
	s_cbranch_vccz .LBB208_111
; %bb.12:                               ;   in Loop: Header=BB208_3 Depth=1
	s_and_b32 vcc_lo, exec_lo, s18
	s_cbranch_vccz .LBB208_78
; %bb.13:                               ;   in Loop: Header=BB208_3 Depth=1
	v_cmp_ne_u32_e32 vcc_lo, 1, v35
	s_cbranch_vccnz .LBB208_46
; %bb.14:                               ;   in Loop: Header=BB208_3 Depth=1
	s_and_not1_b32 vcc_lo, exec_lo, s34
	s_mov_b32 s28, 0
	s_cbranch_vccnz .LBB208_36
; %bb.15:                               ;   in Loop: Header=BB208_3 Depth=1
	s_mov_b32 s26, 0
	s_mov_b32 s27, 0
.LBB208_16:                             ;   Parent Loop BB208_3 Depth=1
                                        ; =>  This Loop Header: Depth=2
                                        ;       Child Loop BB208_17 Depth 3
	s_delay_alu instid0(SALU_CYCLE_1) | instskip(SKIP_3) | instid1(SALU_CYCLE_1)
	s_lshl_b32 s37, s27, 7
	s_or_b32 s36, s27, 1
	s_or_b32 s28, s27, 2
	;; [unrolled: 1-line block ×3, first 2 shown]
	v_dual_add_nc_u32 v40, s37, v34 :: v_dual_add_nc_u32 v37, s29, v34
	v_lshl_add_u32 v39, s36, 7, v34
	v_lshl_add_u32 v38, s28, 7, v34
	ds_load_b128 v[20:23], v40
	ds_load_b128 v[16:19], v39
	;; [unrolled: 1-line block ×4, first 2 shown]
	v_mov_b32_e32 v12, v34
	s_cmp_eq_u32 s27, 0
	s_mov_b32 s29, s26
	s_mov_b32 s38, s27
	s_cbranch_scc1 .LBB208_18
.LBB208_17:                             ;   Parent Loop BB208_3 Depth=1
                                        ;     Parent Loop BB208_16 Depth=2
                                        ; =>    This Inner Loop Header: Depth=3
	ds_load_b128 v[24:27], v12
	v_dual_mov_b32 v13, s29 :: v_dual_add_nc_u32 v12, 0x80, v12
	s_add_co_i32 s38, s38, -1
	s_addk_co_i32 s29, 0x80
	ds_load_b128 v[42:45], v13
	ds_load_b128 v[46:49], v13 offset:16
	ds_load_b128 v[50:53], v13 offset:32
	;; [unrolled: 1-line block ×3, first 2 shown]
	s_cmp_eq_u32 s38, 0
	s_wait_dscnt 0x3
	v_mul_f64_e32 v[14:15], v[26:27], v[44:45]
	v_mul_f64_e32 v[44:45], v[24:25], v[44:45]
	s_delay_alu instid0(VALU_DEP_2) | instskip(NEXT) | instid1(VALU_DEP_2)
	v_fma_f64 v[14:15], v[24:25], v[42:43], -v[14:15]
	v_fmac_f64_e32 v[44:45], v[26:27], v[42:43]
	s_wait_dscnt 0x2
	v_mul_f64_e32 v[42:43], v[24:25], v[48:49]
	s_delay_alu instid0(VALU_DEP_3) | instskip(SKIP_1) | instid1(VALU_DEP_3)
	v_add_f64_e64 v[20:21], v[20:21], -v[14:15]
	v_mul_f64_e32 v[14:15], v[26:27], v[48:49]
	v_fmac_f64_e32 v[42:43], v[26:27], v[46:47]
	v_add_f64_e64 v[22:23], v[22:23], -v[44:45]
	s_delay_alu instid0(VALU_DEP_3) | instskip(NEXT) | instid1(VALU_DEP_3)
	v_fma_f64 v[14:15], v[24:25], v[46:47], -v[14:15]
	v_add_f64_e64 v[18:19], v[18:19], -v[42:43]
	s_wait_dscnt 0x1
	v_mul_f64_e32 v[42:43], v[24:25], v[52:53]
	s_delay_alu instid0(VALU_DEP_3) | instskip(SKIP_1) | instid1(VALU_DEP_3)
	v_add_f64_e64 v[16:17], v[16:17], -v[14:15]
	v_mul_f64_e32 v[14:15], v[26:27], v[52:53]
	v_fmac_f64_e32 v[42:43], v[26:27], v[50:51]
	s_delay_alu instid0(VALU_DEP_2) | instskip(NEXT) | instid1(VALU_DEP_2)
	v_fma_f64 v[14:15], v[24:25], v[50:51], -v[14:15]
	v_add_f64_e64 v[10:11], v[10:11], -v[42:43]
	s_delay_alu instid0(VALU_DEP_2) | instskip(SKIP_2) | instid1(VALU_DEP_1)
	v_add_f64_e64 v[8:9], v[8:9], -v[14:15]
	s_wait_dscnt 0x0
	v_mul_f64_e32 v[14:15], v[26:27], v[56:57]
	v_fma_f64 v[14:15], v[24:25], v[54:55], -v[14:15]
	v_mul_f64_e32 v[24:25], v[24:25], v[56:57]
	s_delay_alu instid0(VALU_DEP_2) | instskip(NEXT) | instid1(VALU_DEP_2)
	v_add_f64_e64 v[4:5], v[4:5], -v[14:15]
	v_fmac_f64_e32 v[24:25], v[26:27], v[54:55]
	s_delay_alu instid0(VALU_DEP_1)
	v_add_f64_e64 v[6:7], v[6:7], -v[24:25]
	s_cbranch_scc0 .LBB208_17
.LBB208_18:                             ;   in Loop: Header=BB208_16 Depth=2
	s_lshl_b32 s29, s27, 4
	s_delay_alu instid0(SALU_CYCLE_1) | instskip(NEXT) | instid1(SALU_CYCLE_1)
	s_add_co_i32 s37, s29, s37
	v_mov_b32_e32 v12, s37
	ds_load_b128 v[24:27], v12
                                        ; implicit-def: $vgpr14_vgpr15
	s_wait_dscnt 0x0
	v_cmp_ngt_f64_e64 s38, |v[24:25]|, |v[26:27]|
	s_and_b32 vcc_lo, exec_lo, s38
	s_mov_b32 s38, -1
	s_cbranch_vccz .LBB208_20
; %bb.19:                               ;   in Loop: Header=BB208_16 Depth=2
	v_div_scale_f64 v[12:13], null, v[26:27], v[26:27], v[24:25]
	v_div_scale_f64 v[44:45], vcc_lo, v[24:25], v[26:27], v[24:25]
	s_mov_b32 s38, 0
	v_rcp_f64_e32 v[14:15], v[12:13]
	v_nop
	s_delay_alu instid0(TRANS32_DEP_1) | instskip(NEXT) | instid1(VALU_DEP_1)
	v_fma_f64 v[42:43], -v[12:13], v[14:15], 1.0
	v_fmac_f64_e32 v[14:15], v[14:15], v[42:43]
	s_delay_alu instid0(VALU_DEP_1) | instskip(NEXT) | instid1(VALU_DEP_1)
	v_fma_f64 v[42:43], -v[12:13], v[14:15], 1.0
	v_fmac_f64_e32 v[14:15], v[14:15], v[42:43]
	s_delay_alu instid0(VALU_DEP_1) | instskip(NEXT) | instid1(VALU_DEP_1)
	v_mul_f64_e32 v[42:43], v[44:45], v[14:15]
	v_fma_f64 v[12:13], -v[12:13], v[42:43], v[44:45]
	s_delay_alu instid0(VALU_DEP_1) | instskip(NEXT) | instid1(VALU_DEP_1)
	v_div_fmas_f64 v[12:13], v[12:13], v[14:15], v[42:43]
	v_div_fixup_f64 v[12:13], v[12:13], v[26:27], v[24:25]
	s_delay_alu instid0(VALU_DEP_1) | instskip(NEXT) | instid1(VALU_DEP_1)
	v_fma_f64 v[14:15], v[24:25], v[12:13], v[26:27]
	v_div_scale_f64 v[42:43], null, v[14:15], v[14:15], 1.0
	v_div_scale_f64 v[48:49], vcc_lo, 1.0, v[14:15], 1.0
	s_delay_alu instid0(VALU_DEP_2) | instskip(SKIP_1) | instid1(TRANS32_DEP_1)
	v_rcp_f64_e32 v[44:45], v[42:43]
	v_nop
	v_fma_f64 v[46:47], -v[42:43], v[44:45], 1.0
	s_delay_alu instid0(VALU_DEP_1) | instskip(NEXT) | instid1(VALU_DEP_1)
	v_fmac_f64_e32 v[44:45], v[44:45], v[46:47]
	v_fma_f64 v[46:47], -v[42:43], v[44:45], 1.0
	s_delay_alu instid0(VALU_DEP_1) | instskip(NEXT) | instid1(VALU_DEP_1)
	v_fmac_f64_e32 v[44:45], v[44:45], v[46:47]
	v_mul_f64_e32 v[46:47], v[48:49], v[44:45]
	s_delay_alu instid0(VALU_DEP_1) | instskip(NEXT) | instid1(VALU_DEP_1)
	v_fma_f64 v[42:43], -v[42:43], v[46:47], v[48:49]
	v_div_fmas_f64 v[42:43], v[42:43], v[44:45], v[46:47]
	v_fma_f64 v[44:45], v[20:21], v[12:13], v[22:23]
	s_delay_alu instid0(VALU_DEP_2) | instskip(SKIP_1) | instid1(VALU_DEP_2)
	v_div_fixup_f64 v[14:15], v[42:43], v[14:15], 1.0
	v_fma_f64 v[42:43], v[22:23], v[12:13], -v[20:21]
	v_mul_f64_e32 v[12:13], v[44:45], v[14:15]
	s_delay_alu instid0(VALU_DEP_2)
	v_mul_f64_e32 v[14:15], v[42:43], v[14:15]
.LBB208_20:                             ;   in Loop: Header=BB208_16 Depth=2
	s_and_not1_b32 vcc_lo, exec_lo, s38
	s_cbranch_vccnz .LBB208_22
; %bb.21:                               ;   in Loop: Header=BB208_16 Depth=2
	v_div_scale_f64 v[12:13], null, v[24:25], v[24:25], v[26:27]
	v_div_scale_f64 v[44:45], vcc_lo, v[26:27], v[24:25], v[26:27]
	s_delay_alu instid0(VALU_DEP_2) | instskip(SKIP_1) | instid1(TRANS32_DEP_1)
	v_rcp_f64_e32 v[14:15], v[12:13]
	v_nop
	v_fma_f64 v[42:43], -v[12:13], v[14:15], 1.0
	s_delay_alu instid0(VALU_DEP_1) | instskip(NEXT) | instid1(VALU_DEP_1)
	v_fmac_f64_e32 v[14:15], v[14:15], v[42:43]
	v_fma_f64 v[42:43], -v[12:13], v[14:15], 1.0
	s_delay_alu instid0(VALU_DEP_1) | instskip(NEXT) | instid1(VALU_DEP_1)
	v_fmac_f64_e32 v[14:15], v[14:15], v[42:43]
	v_mul_f64_e32 v[42:43], v[44:45], v[14:15]
	s_delay_alu instid0(VALU_DEP_1) | instskip(NEXT) | instid1(VALU_DEP_1)
	v_fma_f64 v[12:13], -v[12:13], v[42:43], v[44:45]
	v_div_fmas_f64 v[12:13], v[12:13], v[14:15], v[42:43]
	s_delay_alu instid0(VALU_DEP_1) | instskip(NEXT) | instid1(VALU_DEP_1)
	v_div_fixup_f64 v[12:13], v[12:13], v[24:25], v[26:27]
	v_fmac_f64_e32 v[24:25], v[26:27], v[12:13]
	s_delay_alu instid0(VALU_DEP_1) | instskip(SKIP_1) | instid1(VALU_DEP_2)
	v_div_scale_f64 v[14:15], null, v[24:25], v[24:25], 1.0
	v_div_scale_f64 v[44:45], vcc_lo, 1.0, v[24:25], 1.0
	v_rcp_f64_e32 v[26:27], v[14:15]
	v_nop
	s_delay_alu instid0(TRANS32_DEP_1) | instskip(NEXT) | instid1(VALU_DEP_1)
	v_fma_f64 v[42:43], -v[14:15], v[26:27], 1.0
	v_fmac_f64_e32 v[26:27], v[26:27], v[42:43]
	s_delay_alu instid0(VALU_DEP_1) | instskip(NEXT) | instid1(VALU_DEP_1)
	v_fma_f64 v[42:43], -v[14:15], v[26:27], 1.0
	v_fmac_f64_e32 v[26:27], v[26:27], v[42:43]
	s_delay_alu instid0(VALU_DEP_1) | instskip(NEXT) | instid1(VALU_DEP_1)
	v_mul_f64_e32 v[42:43], v[44:45], v[26:27]
	v_fma_f64 v[14:15], -v[14:15], v[42:43], v[44:45]
	s_delay_alu instid0(VALU_DEP_1) | instskip(SKIP_2) | instid1(VALU_DEP_3)
	v_div_fmas_f64 v[14:15], v[14:15], v[26:27], v[42:43]
	v_fma_f64 v[26:27], v[22:23], v[12:13], v[20:21]
	v_fma_f64 v[20:21], -v[20:21], v[12:13], v[22:23]
	v_div_fixup_f64 v[14:15], v[14:15], v[24:25], 1.0
	s_delay_alu instid0(VALU_DEP_1) | instskip(NEXT) | instid1(VALU_DEP_3)
	v_mul_f64_e32 v[12:13], v[26:27], v[14:15]
	v_mul_f64_e32 v[14:15], v[20:21], v[14:15]
.LBB208_22:                             ;   in Loop: Header=BB208_16 Depth=2
	v_mov_b32_e32 v20, s37
	ds_load_b128 v[24:27], v20 offset:16
	ds_load_b128 v[20:23], v20 offset:144
	ds_store_b128 v40, v[12:15]
	s_wait_dscnt 0x2
	v_mul_f64_e32 v[42:43], v[14:15], v[26:27]
	v_mul_f64_e32 v[26:27], v[12:13], v[26:27]
	s_wait_dscnt 0x1
	v_cmp_ngt_f64_e64 s38, |v[20:21]|, |v[22:23]|
	s_delay_alu instid0(VALU_DEP_3) | instskip(NEXT) | instid1(VALU_DEP_3)
	v_fma_f64 v[42:43], v[12:13], v[24:25], -v[42:43]
	v_fmac_f64_e32 v[26:27], v[14:15], v[24:25]
	s_and_b32 vcc_lo, exec_lo, s38
	s_mov_b32 s38, -1
	s_delay_alu instid0(VALU_DEP_2) | instskip(NEXT) | instid1(VALU_DEP_2)
	v_add_f64_e64 v[24:25], v[16:17], -v[42:43]
	v_add_f64_e64 v[26:27], v[18:19], -v[26:27]
                                        ; implicit-def: $vgpr18_vgpr19
	s_cbranch_vccz .LBB208_24
; %bb.23:                               ;   in Loop: Header=BB208_16 Depth=2
	v_div_scale_f64 v[16:17], null, v[22:23], v[22:23], v[20:21]
	v_div_scale_f64 v[42:43], vcc_lo, v[20:21], v[22:23], v[20:21]
	s_mov_b32 s38, 0
	v_rcp_f64_e32 v[18:19], v[16:17]
	v_nop
	s_delay_alu instid0(TRANS32_DEP_1) | instskip(NEXT) | instid1(VALU_DEP_1)
	v_fma_f64 v[40:41], -v[16:17], v[18:19], 1.0
	v_fmac_f64_e32 v[18:19], v[18:19], v[40:41]
	s_delay_alu instid0(VALU_DEP_1) | instskip(NEXT) | instid1(VALU_DEP_1)
	v_fma_f64 v[40:41], -v[16:17], v[18:19], 1.0
	v_fmac_f64_e32 v[18:19], v[18:19], v[40:41]
	s_delay_alu instid0(VALU_DEP_1) | instskip(NEXT) | instid1(VALU_DEP_1)
	v_mul_f64_e32 v[40:41], v[42:43], v[18:19]
	v_fma_f64 v[16:17], -v[16:17], v[40:41], v[42:43]
	s_delay_alu instid0(VALU_DEP_1) | instskip(NEXT) | instid1(VALU_DEP_1)
	v_div_fmas_f64 v[16:17], v[16:17], v[18:19], v[40:41]
	v_div_fixup_f64 v[16:17], v[16:17], v[22:23], v[20:21]
	s_delay_alu instid0(VALU_DEP_1) | instskip(NEXT) | instid1(VALU_DEP_1)
	v_fma_f64 v[18:19], v[20:21], v[16:17], v[22:23]
	v_div_scale_f64 v[40:41], null, v[18:19], v[18:19], 1.0
	v_div_scale_f64 v[46:47], vcc_lo, 1.0, v[18:19], 1.0
	s_delay_alu instid0(VALU_DEP_2) | instskip(SKIP_1) | instid1(TRANS32_DEP_1)
	v_rcp_f64_e32 v[42:43], v[40:41]
	v_nop
	v_fma_f64 v[44:45], -v[40:41], v[42:43], 1.0
	s_delay_alu instid0(VALU_DEP_1) | instskip(NEXT) | instid1(VALU_DEP_1)
	v_fmac_f64_e32 v[42:43], v[42:43], v[44:45]
	v_fma_f64 v[44:45], -v[40:41], v[42:43], 1.0
	s_delay_alu instid0(VALU_DEP_1) | instskip(NEXT) | instid1(VALU_DEP_1)
	v_fmac_f64_e32 v[42:43], v[42:43], v[44:45]
	v_mul_f64_e32 v[44:45], v[46:47], v[42:43]
	s_delay_alu instid0(VALU_DEP_1) | instskip(NEXT) | instid1(VALU_DEP_1)
	v_fma_f64 v[40:41], -v[40:41], v[44:45], v[46:47]
	v_div_fmas_f64 v[40:41], v[40:41], v[42:43], v[44:45]
	v_fma_f64 v[42:43], v[16:17], v[24:25], v[26:27]
	s_delay_alu instid0(VALU_DEP_2) | instskip(SKIP_1) | instid1(VALU_DEP_2)
	v_div_fixup_f64 v[18:19], v[40:41], v[18:19], 1.0
	v_fma_f64 v[40:41], v[16:17], v[26:27], -v[24:25]
	v_mul_f64_e32 v[16:17], v[42:43], v[18:19]
	s_delay_alu instid0(VALU_DEP_2)
	v_mul_f64_e32 v[18:19], v[40:41], v[18:19]
.LBB208_24:                             ;   in Loop: Header=BB208_16 Depth=2
	s_and_not1_b32 vcc_lo, exec_lo, s38
	s_cbranch_vccnz .LBB208_26
; %bb.25:                               ;   in Loop: Header=BB208_16 Depth=2
	v_div_scale_f64 v[16:17], null, v[20:21], v[20:21], v[22:23]
	v_div_scale_f64 v[42:43], vcc_lo, v[22:23], v[20:21], v[22:23]
	s_delay_alu instid0(VALU_DEP_2) | instskip(SKIP_1) | instid1(TRANS32_DEP_1)
	v_rcp_f64_e32 v[18:19], v[16:17]
	v_nop
	v_fma_f64 v[40:41], -v[16:17], v[18:19], 1.0
	s_delay_alu instid0(VALU_DEP_1) | instskip(NEXT) | instid1(VALU_DEP_1)
	v_fmac_f64_e32 v[18:19], v[18:19], v[40:41]
	v_fma_f64 v[40:41], -v[16:17], v[18:19], 1.0
	s_delay_alu instid0(VALU_DEP_1) | instskip(NEXT) | instid1(VALU_DEP_1)
	v_fmac_f64_e32 v[18:19], v[18:19], v[40:41]
	v_mul_f64_e32 v[40:41], v[42:43], v[18:19]
	s_delay_alu instid0(VALU_DEP_1) | instskip(NEXT) | instid1(VALU_DEP_1)
	v_fma_f64 v[16:17], -v[16:17], v[40:41], v[42:43]
	v_div_fmas_f64 v[16:17], v[16:17], v[18:19], v[40:41]
	s_delay_alu instid0(VALU_DEP_1) | instskip(NEXT) | instid1(VALU_DEP_1)
	v_div_fixup_f64 v[16:17], v[16:17], v[20:21], v[22:23]
	v_fmac_f64_e32 v[20:21], v[22:23], v[16:17]
	s_delay_alu instid0(VALU_DEP_1) | instskip(SKIP_1) | instid1(VALU_DEP_2)
	v_div_scale_f64 v[18:19], null, v[20:21], v[20:21], 1.0
	v_div_scale_f64 v[42:43], vcc_lo, 1.0, v[20:21], 1.0
	v_rcp_f64_e32 v[22:23], v[18:19]
	v_nop
	s_delay_alu instid0(TRANS32_DEP_1) | instskip(NEXT) | instid1(VALU_DEP_1)
	v_fma_f64 v[40:41], -v[18:19], v[22:23], 1.0
	v_fmac_f64_e32 v[22:23], v[22:23], v[40:41]
	s_delay_alu instid0(VALU_DEP_1) | instskip(NEXT) | instid1(VALU_DEP_1)
	v_fma_f64 v[40:41], -v[18:19], v[22:23], 1.0
	v_fmac_f64_e32 v[22:23], v[22:23], v[40:41]
	s_delay_alu instid0(VALU_DEP_1) | instskip(NEXT) | instid1(VALU_DEP_1)
	v_mul_f64_e32 v[40:41], v[42:43], v[22:23]
	v_fma_f64 v[18:19], -v[18:19], v[40:41], v[42:43]
	s_delay_alu instid0(VALU_DEP_1) | instskip(SKIP_1) | instid1(VALU_DEP_2)
	v_div_fmas_f64 v[18:19], v[18:19], v[22:23], v[40:41]
	v_fma_f64 v[22:23], v[16:17], v[26:27], v[24:25]
	v_div_fixup_f64 v[18:19], v[18:19], v[20:21], 1.0
	v_fma_f64 v[20:21], -v[16:17], v[24:25], v[26:27]
	s_delay_alu instid0(VALU_DEP_2) | instskip(NEXT) | instid1(VALU_DEP_2)
	v_mul_f64_e32 v[16:17], v[22:23], v[18:19]
	v_mul_f64_e32 v[18:19], v[20:21], v[18:19]
.LBB208_26:                             ;   in Loop: Header=BB208_16 Depth=2
	v_mov_b32_e32 v20, s37
	s_add_co_i32 s38, s37, 0x90
	s_lshl_b32 s36, s36, 4
	ds_store_b128 v39, v[16:19]
	s_sub_co_i32 s36, s38, s36
	ds_load_b128 v[24:27], v20 offset:32
	s_add_co_i32 s36, s36, s29
	s_delay_alu instid0(SALU_CYCLE_1)
	v_mov_b32_e32 v40, s36
	ds_load_b128 v[40:43], v40 offset:32
	s_wait_dscnt 0x1
	v_mul_f64_e32 v[44:45], v[14:15], v[26:27]
	v_mul_f64_e32 v[26:27], v[12:13], v[26:27]
	ds_load_b128 v[20:23], v20 offset:288
	s_wait_dscnt 0x1
	v_mul_f64_e32 v[46:47], v[18:19], v[42:43]
	v_mul_f64_e32 v[42:43], v[16:17], v[42:43]
	s_wait_dscnt 0x0
	v_cmp_ngt_f64_e64 s39, |v[20:21]|, |v[22:23]|
	v_fma_f64 v[44:45], v[12:13], v[24:25], -v[44:45]
	v_fmac_f64_e32 v[26:27], v[14:15], v[24:25]
	v_fma_f64 v[24:25], v[16:17], v[40:41], -v[46:47]
	v_fmac_f64_e32 v[42:43], v[18:19], v[40:41]
	s_and_b32 vcc_lo, exec_lo, s39
	s_mov_b32 s39, -1
	s_delay_alu instid0(VALU_DEP_4) | instskip(NEXT) | instid1(VALU_DEP_4)
	v_add_f64_e64 v[8:9], v[8:9], -v[44:45]
	v_add_f64_e64 v[10:11], v[10:11], -v[26:27]
	s_delay_alu instid0(VALU_DEP_2) | instskip(NEXT) | instid1(VALU_DEP_2)
	v_add_f64_e64 v[8:9], v[8:9], -v[24:25]
	v_add_f64_e64 v[10:11], v[10:11], -v[42:43]
                                        ; implicit-def: $vgpr26_vgpr27
	s_cbranch_vccz .LBB208_28
; %bb.27:                               ;   in Loop: Header=BB208_16 Depth=2
	v_div_scale_f64 v[24:25], null, v[22:23], v[22:23], v[20:21]
	v_div_scale_f64 v[42:43], vcc_lo, v[20:21], v[22:23], v[20:21]
	s_mov_b32 s39, 0
	v_rcp_f64_e32 v[26:27], v[24:25]
	v_nop
	s_delay_alu instid0(TRANS32_DEP_1) | instskip(NEXT) | instid1(VALU_DEP_1)
	v_fma_f64 v[40:41], -v[24:25], v[26:27], 1.0
	v_fmac_f64_e32 v[26:27], v[26:27], v[40:41]
	s_delay_alu instid0(VALU_DEP_1) | instskip(NEXT) | instid1(VALU_DEP_1)
	v_fma_f64 v[40:41], -v[24:25], v[26:27], 1.0
	v_fmac_f64_e32 v[26:27], v[26:27], v[40:41]
	s_delay_alu instid0(VALU_DEP_1) | instskip(NEXT) | instid1(VALU_DEP_1)
	v_mul_f64_e32 v[40:41], v[42:43], v[26:27]
	v_fma_f64 v[24:25], -v[24:25], v[40:41], v[42:43]
	s_delay_alu instid0(VALU_DEP_1) | instskip(NEXT) | instid1(VALU_DEP_1)
	v_div_fmas_f64 v[24:25], v[24:25], v[26:27], v[40:41]
	v_div_fixup_f64 v[24:25], v[24:25], v[22:23], v[20:21]
	s_delay_alu instid0(VALU_DEP_1) | instskip(NEXT) | instid1(VALU_DEP_1)
	v_fma_f64 v[26:27], v[20:21], v[24:25], v[22:23]
	v_div_scale_f64 v[40:41], null, v[26:27], v[26:27], 1.0
	v_div_scale_f64 v[46:47], vcc_lo, 1.0, v[26:27], 1.0
	s_delay_alu instid0(VALU_DEP_2) | instskip(SKIP_1) | instid1(TRANS32_DEP_1)
	v_rcp_f64_e32 v[42:43], v[40:41]
	v_nop
	v_fma_f64 v[44:45], -v[40:41], v[42:43], 1.0
	s_delay_alu instid0(VALU_DEP_1) | instskip(NEXT) | instid1(VALU_DEP_1)
	v_fmac_f64_e32 v[42:43], v[42:43], v[44:45]
	v_fma_f64 v[44:45], -v[40:41], v[42:43], 1.0
	s_delay_alu instid0(VALU_DEP_1) | instskip(NEXT) | instid1(VALU_DEP_1)
	v_fmac_f64_e32 v[42:43], v[42:43], v[44:45]
	v_mul_f64_e32 v[44:45], v[46:47], v[42:43]
	s_delay_alu instid0(VALU_DEP_1) | instskip(NEXT) | instid1(VALU_DEP_1)
	v_fma_f64 v[40:41], -v[40:41], v[44:45], v[46:47]
	v_div_fmas_f64 v[40:41], v[40:41], v[42:43], v[44:45]
	v_fma_f64 v[42:43], v[24:25], v[8:9], v[10:11]
	s_delay_alu instid0(VALU_DEP_2) | instskip(SKIP_1) | instid1(VALU_DEP_2)
	v_div_fixup_f64 v[26:27], v[40:41], v[26:27], 1.0
	v_fma_f64 v[40:41], v[24:25], v[10:11], -v[8:9]
	v_mul_f64_e32 v[24:25], v[42:43], v[26:27]
	s_delay_alu instid0(VALU_DEP_2)
	v_mul_f64_e32 v[26:27], v[40:41], v[26:27]
.LBB208_28:                             ;   in Loop: Header=BB208_16 Depth=2
	s_and_not1_b32 vcc_lo, exec_lo, s39
	s_cbranch_vccnz .LBB208_30
; %bb.29:                               ;   in Loop: Header=BB208_16 Depth=2
	v_div_scale_f64 v[24:25], null, v[20:21], v[20:21], v[22:23]
	v_div_scale_f64 v[42:43], vcc_lo, v[22:23], v[20:21], v[22:23]
	s_delay_alu instid0(VALU_DEP_2) | instskip(SKIP_1) | instid1(TRANS32_DEP_1)
	v_rcp_f64_e32 v[26:27], v[24:25]
	v_nop
	v_fma_f64 v[40:41], -v[24:25], v[26:27], 1.0
	s_delay_alu instid0(VALU_DEP_1) | instskip(NEXT) | instid1(VALU_DEP_1)
	v_fmac_f64_e32 v[26:27], v[26:27], v[40:41]
	v_fma_f64 v[40:41], -v[24:25], v[26:27], 1.0
	s_delay_alu instid0(VALU_DEP_1) | instskip(NEXT) | instid1(VALU_DEP_1)
	v_fmac_f64_e32 v[26:27], v[26:27], v[40:41]
	v_mul_f64_e32 v[40:41], v[42:43], v[26:27]
	s_delay_alu instid0(VALU_DEP_1) | instskip(NEXT) | instid1(VALU_DEP_1)
	v_fma_f64 v[24:25], -v[24:25], v[40:41], v[42:43]
	v_div_fmas_f64 v[24:25], v[24:25], v[26:27], v[40:41]
	s_delay_alu instid0(VALU_DEP_1) | instskip(NEXT) | instid1(VALU_DEP_1)
	v_div_fixup_f64 v[24:25], v[24:25], v[20:21], v[22:23]
	v_fmac_f64_e32 v[20:21], v[22:23], v[24:25]
	s_delay_alu instid0(VALU_DEP_1) | instskip(SKIP_1) | instid1(VALU_DEP_2)
	v_div_scale_f64 v[22:23], null, v[20:21], v[20:21], 1.0
	v_div_scale_f64 v[42:43], vcc_lo, 1.0, v[20:21], 1.0
	v_rcp_f64_e32 v[26:27], v[22:23]
	v_nop
	s_delay_alu instid0(TRANS32_DEP_1) | instskip(NEXT) | instid1(VALU_DEP_1)
	v_fma_f64 v[40:41], -v[22:23], v[26:27], 1.0
	v_fmac_f64_e32 v[26:27], v[26:27], v[40:41]
	s_delay_alu instid0(VALU_DEP_1) | instskip(NEXT) | instid1(VALU_DEP_1)
	v_fma_f64 v[40:41], -v[22:23], v[26:27], 1.0
	v_fmac_f64_e32 v[26:27], v[26:27], v[40:41]
	s_delay_alu instid0(VALU_DEP_1) | instskip(NEXT) | instid1(VALU_DEP_1)
	v_mul_f64_e32 v[40:41], v[42:43], v[26:27]
	v_fma_f64 v[22:23], -v[22:23], v[40:41], v[42:43]
	s_delay_alu instid0(VALU_DEP_1) | instskip(SKIP_2) | instid1(VALU_DEP_3)
	v_div_fmas_f64 v[22:23], v[22:23], v[26:27], v[40:41]
	v_fma_f64 v[26:27], v[24:25], v[10:11], v[8:9]
	v_fma_f64 v[8:9], -v[24:25], v[8:9], v[10:11]
	v_div_fixup_f64 v[20:21], v[22:23], v[20:21], 1.0
	s_delay_alu instid0(VALU_DEP_1) | instskip(NEXT) | instid1(VALU_DEP_3)
	v_mul_f64_e32 v[24:25], v[26:27], v[20:21]
	v_mul_f64_e32 v[26:27], v[8:9], v[20:21]
.LBB208_30:                             ;   in Loop: Header=BB208_16 Depth=2
	v_mov_b32_e32 v8, s37
	s_lshl_b32 s28, s28, 4
	ds_load_b128 v[20:23], v8 offset:48
	ds_load_b128 v[8:11], v8 offset:432
	s_sub_co_i32 s28, s38, s28
	ds_store_b128 v38, v[24:27]
	s_add_co_i32 s28, s28, s29
	v_mov_b32_e32 v39, s36
	ds_load_b128 v[40:43], v39 offset:48
	s_wait_dscnt 0x3
	v_dual_mul_f64 v[48:49], v[14:15], v[22:23] :: v_dual_mov_b32 v39, s28
	v_mul_f64_e32 v[22:23], v[12:13], v[22:23]
	s_wait_dscnt 0x2
	v_cmp_ngt_f64_e64 s28, |v[8:9]|, |v[10:11]|
	s_wait_dscnt 0x0
	v_mul_f64_e32 v[50:51], v[18:19], v[42:43]
	v_mul_f64_e32 v[42:43], v[16:17], v[42:43]
	ds_load_b128 v[44:47], v39 offset:192
	v_fma_f64 v[12:13], v[12:13], v[20:21], -v[48:49]
	v_fmac_f64_e32 v[22:23], v[14:15], v[20:21]
	s_and_b32 vcc_lo, exec_lo, s28
	s_mov_b32 s28, -1
	s_wait_dscnt 0x0
	v_mul_f64_e32 v[14:15], v[26:27], v[46:47]
	v_mul_f64_e32 v[20:21], v[24:25], v[46:47]
	v_fma_f64 v[16:17], v[16:17], v[40:41], -v[50:51]
	v_fmac_f64_e32 v[42:43], v[18:19], v[40:41]
	v_add_f64_e64 v[4:5], v[4:5], -v[12:13]
	v_add_f64_e64 v[6:7], v[6:7], -v[22:23]
	v_fma_f64 v[12:13], v[24:25], v[44:45], -v[14:15]
	v_fmac_f64_e32 v[20:21], v[26:27], v[44:45]
	s_delay_alu instid0(VALU_DEP_4) | instskip(NEXT) | instid1(VALU_DEP_4)
	v_add_f64_e64 v[4:5], v[4:5], -v[16:17]
	v_add_f64_e64 v[6:7], v[6:7], -v[42:43]
	s_delay_alu instid0(VALU_DEP_2) | instskip(NEXT) | instid1(VALU_DEP_2)
	v_add_f64_e64 v[12:13], v[4:5], -v[12:13]
	v_add_f64_e64 v[14:15], v[6:7], -v[20:21]
                                        ; implicit-def: $vgpr6_vgpr7
	s_cbranch_vccz .LBB208_32
; %bb.31:                               ;   in Loop: Header=BB208_16 Depth=2
	v_div_scale_f64 v[4:5], null, v[10:11], v[10:11], v[8:9]
	v_div_scale_f64 v[18:19], vcc_lo, v[8:9], v[10:11], v[8:9]
	s_mov_b32 s28, 0
	v_rcp_f64_e32 v[6:7], v[4:5]
	v_nop
	s_delay_alu instid0(TRANS32_DEP_1) | instskip(NEXT) | instid1(VALU_DEP_1)
	v_fma_f64 v[16:17], -v[4:5], v[6:7], 1.0
	v_fmac_f64_e32 v[6:7], v[6:7], v[16:17]
	s_delay_alu instid0(VALU_DEP_1) | instskip(NEXT) | instid1(VALU_DEP_1)
	v_fma_f64 v[16:17], -v[4:5], v[6:7], 1.0
	v_fmac_f64_e32 v[6:7], v[6:7], v[16:17]
	s_delay_alu instid0(VALU_DEP_1) | instskip(NEXT) | instid1(VALU_DEP_1)
	v_mul_f64_e32 v[16:17], v[18:19], v[6:7]
	v_fma_f64 v[4:5], -v[4:5], v[16:17], v[18:19]
	s_delay_alu instid0(VALU_DEP_1) | instskip(NEXT) | instid1(VALU_DEP_1)
	v_div_fmas_f64 v[4:5], v[4:5], v[6:7], v[16:17]
	v_div_fixup_f64 v[4:5], v[4:5], v[10:11], v[8:9]
	s_delay_alu instid0(VALU_DEP_1) | instskip(NEXT) | instid1(VALU_DEP_1)
	v_fma_f64 v[6:7], v[8:9], v[4:5], v[10:11]
	v_div_scale_f64 v[16:17], null, v[6:7], v[6:7], 1.0
	v_div_scale_f64 v[22:23], vcc_lo, 1.0, v[6:7], 1.0
	s_delay_alu instid0(VALU_DEP_2) | instskip(SKIP_1) | instid1(TRANS32_DEP_1)
	v_rcp_f64_e32 v[18:19], v[16:17]
	v_nop
	v_fma_f64 v[20:21], -v[16:17], v[18:19], 1.0
	s_delay_alu instid0(VALU_DEP_1) | instskip(NEXT) | instid1(VALU_DEP_1)
	v_fmac_f64_e32 v[18:19], v[18:19], v[20:21]
	v_fma_f64 v[20:21], -v[16:17], v[18:19], 1.0
	s_delay_alu instid0(VALU_DEP_1) | instskip(NEXT) | instid1(VALU_DEP_1)
	v_fmac_f64_e32 v[18:19], v[18:19], v[20:21]
	v_mul_f64_e32 v[20:21], v[22:23], v[18:19]
	s_delay_alu instid0(VALU_DEP_1) | instskip(NEXT) | instid1(VALU_DEP_1)
	v_fma_f64 v[16:17], -v[16:17], v[20:21], v[22:23]
	v_div_fmas_f64 v[16:17], v[16:17], v[18:19], v[20:21]
	v_fma_f64 v[18:19], v[4:5], v[12:13], v[14:15]
	s_delay_alu instid0(VALU_DEP_2) | instskip(SKIP_1) | instid1(VALU_DEP_2)
	v_div_fixup_f64 v[6:7], v[16:17], v[6:7], 1.0
	v_fma_f64 v[16:17], v[4:5], v[14:15], -v[12:13]
	v_mul_f64_e32 v[4:5], v[18:19], v[6:7]
	s_delay_alu instid0(VALU_DEP_2)
	v_mul_f64_e32 v[6:7], v[16:17], v[6:7]
.LBB208_32:                             ;   in Loop: Header=BB208_16 Depth=2
	s_and_not1_b32 vcc_lo, exec_lo, s28
	s_cbranch_vccnz .LBB208_34
; %bb.33:                               ;   in Loop: Header=BB208_16 Depth=2
	v_div_scale_f64 v[4:5], null, v[8:9], v[8:9], v[10:11]
	v_div_scale_f64 v[18:19], vcc_lo, v[10:11], v[8:9], v[10:11]
	s_delay_alu instid0(VALU_DEP_2) | instskip(SKIP_1) | instid1(TRANS32_DEP_1)
	v_rcp_f64_e32 v[6:7], v[4:5]
	v_nop
	v_fma_f64 v[16:17], -v[4:5], v[6:7], 1.0
	s_delay_alu instid0(VALU_DEP_1) | instskip(NEXT) | instid1(VALU_DEP_1)
	v_fmac_f64_e32 v[6:7], v[6:7], v[16:17]
	v_fma_f64 v[16:17], -v[4:5], v[6:7], 1.0
	s_delay_alu instid0(VALU_DEP_1) | instskip(NEXT) | instid1(VALU_DEP_1)
	v_fmac_f64_e32 v[6:7], v[6:7], v[16:17]
	v_mul_f64_e32 v[16:17], v[18:19], v[6:7]
	s_delay_alu instid0(VALU_DEP_1) | instskip(NEXT) | instid1(VALU_DEP_1)
	v_fma_f64 v[4:5], -v[4:5], v[16:17], v[18:19]
	v_div_fmas_f64 v[4:5], v[4:5], v[6:7], v[16:17]
	s_delay_alu instid0(VALU_DEP_1) | instskip(NEXT) | instid1(VALU_DEP_1)
	v_div_fixup_f64 v[4:5], v[4:5], v[8:9], v[10:11]
	v_fmac_f64_e32 v[8:9], v[10:11], v[4:5]
	s_delay_alu instid0(VALU_DEP_1) | instskip(SKIP_1) | instid1(VALU_DEP_2)
	v_div_scale_f64 v[6:7], null, v[8:9], v[8:9], 1.0
	v_div_scale_f64 v[18:19], vcc_lo, 1.0, v[8:9], 1.0
	v_rcp_f64_e32 v[10:11], v[6:7]
	v_nop
	s_delay_alu instid0(TRANS32_DEP_1) | instskip(NEXT) | instid1(VALU_DEP_1)
	v_fma_f64 v[16:17], -v[6:7], v[10:11], 1.0
	v_fmac_f64_e32 v[10:11], v[10:11], v[16:17]
	s_delay_alu instid0(VALU_DEP_1) | instskip(NEXT) | instid1(VALU_DEP_1)
	v_fma_f64 v[16:17], -v[6:7], v[10:11], 1.0
	v_fmac_f64_e32 v[10:11], v[10:11], v[16:17]
	s_delay_alu instid0(VALU_DEP_1) | instskip(NEXT) | instid1(VALU_DEP_1)
	v_mul_f64_e32 v[16:17], v[18:19], v[10:11]
	v_fma_f64 v[6:7], -v[6:7], v[16:17], v[18:19]
	s_delay_alu instid0(VALU_DEP_1) | instskip(SKIP_1) | instid1(VALU_DEP_2)
	v_div_fmas_f64 v[6:7], v[6:7], v[10:11], v[16:17]
	v_fma_f64 v[10:11], v[4:5], v[14:15], v[12:13]
	v_div_fixup_f64 v[6:7], v[6:7], v[8:9], 1.0
	v_fma_f64 v[8:9], -v[4:5], v[12:13], v[14:15]
	s_delay_alu instid0(VALU_DEP_2) | instskip(NEXT) | instid1(VALU_DEP_2)
	v_mul_f64_e32 v[4:5], v[10:11], v[6:7]
	v_mul_f64_e32 v[6:7], v[8:9], v[6:7]
.LBB208_34:                             ;   in Loop: Header=BB208_16 Depth=2
	s_add_co_i32 s28, s27, 4
	s_add_co_i32 s27, s27, 7
	;; [unrolled: 1-line block ×3, first 2 shown]
	s_cmp_ge_i32 s27, s31
	ds_store_b128 v37, v[4:7]
	s_cbranch_scc1 .LBB208_36
; %bb.35:                               ;   in Loop: Header=BB208_16 Depth=2
	s_mov_b32 s27, s28
	s_branch .LBB208_16
.LBB208_36:                             ;   in Loop: Header=BB208_3 Depth=1
	s_cmp_ge_i32 s28, s31
	s_cbranch_scc1 .LBB208_45
; %bb.37:                               ;   in Loop: Header=BB208_3 Depth=1
	s_lshl_b32 s26, s28, 4
	s_branch .LBB208_39
.LBB208_38:                             ;   in Loop: Header=BB208_39 Depth=2
	s_add_co_i32 s28, s28, 1
	s_add_co_i32 s26, s26, 16
	s_cmp_ge_i32 s28, s31
	ds_store_b128 v16, v[12:15]
	s_cbranch_scc1 .LBB208_45
.LBB208_39:                             ;   Parent Loop BB208_3 Depth=1
                                        ; =>  This Loop Header: Depth=2
                                        ;       Child Loop BB208_40 Depth 3
	s_lshl_b32 s27, s28, 7
	s_cmp_eq_u32 s28, 0
	v_dual_add_nc_u32 v16, s27, v34 :: v_dual_mov_b32 v8, v34
	s_mov_b32 s29, s26
	s_mov_b32 s36, s28
	ds_load_b128 v[4:7], v16
	s_cbranch_scc1 .LBB208_41
.LBB208_40:                             ;   Parent Loop BB208_3 Depth=1
                                        ;     Parent Loop BB208_39 Depth=2
                                        ; =>    This Inner Loop Header: Depth=3
	v_mov_b32_e32 v9, s29
	s_add_co_i32 s36, s36, -1
	s_addk_co_i32 s29, 0x80
	s_cmp_eq_u32 s36, 0
	ds_load_b128 v[10:13], v8
	ds_load_b128 v[18:21], v9
	v_add_nc_u32_e32 v8, 0x80, v8
	s_wait_dscnt 0x0
	v_mul_f64_e32 v[14:15], v[20:21], v[12:13]
	v_mul_f64_e32 v[12:13], v[18:19], v[12:13]
	s_delay_alu instid0(VALU_DEP_2) | instskip(NEXT) | instid1(VALU_DEP_2)
	v_fma_f64 v[14:15], v[18:19], v[10:11], -v[14:15]
	v_fmac_f64_e32 v[12:13], v[20:21], v[10:11]
	s_delay_alu instid0(VALU_DEP_2) | instskip(NEXT) | instid1(VALU_DEP_2)
	v_add_f64_e64 v[4:5], v[4:5], -v[14:15]
	v_add_f64_e64 v[6:7], v[6:7], -v[12:13]
	s_cbranch_scc0 .LBB208_40
.LBB208_41:                             ;   in Loop: Header=BB208_39 Depth=2
	s_lshl_b32 s29, s28, 4
                                        ; implicit-def: $vgpr12_vgpr13
	s_delay_alu instid0(SALU_CYCLE_1) | instskip(NEXT) | instid1(SALU_CYCLE_1)
	s_add_co_i32 s27, s29, s27
	v_mov_b32_e32 v8, s27
	ds_load_b128 v[8:11], v8
	s_wait_dscnt 0x0
	v_cmp_ngt_f64_e64 s27, |v[8:9]|, |v[10:11]|
	s_and_b32 vcc_lo, exec_lo, s27
	s_mov_b32 s27, -1
	s_cbranch_vccz .LBB208_43
; %bb.42:                               ;   in Loop: Header=BB208_39 Depth=2
	v_div_scale_f64 v[12:13], null, v[10:11], v[10:11], v[8:9]
	v_div_scale_f64 v[20:21], vcc_lo, v[8:9], v[10:11], v[8:9]
	s_mov_b32 s27, 0
	v_rcp_f64_e32 v[14:15], v[12:13]
	v_nop
	s_delay_alu instid0(TRANS32_DEP_1) | instskip(NEXT) | instid1(VALU_DEP_1)
	v_fma_f64 v[18:19], -v[12:13], v[14:15], 1.0
	v_fmac_f64_e32 v[14:15], v[14:15], v[18:19]
	s_delay_alu instid0(VALU_DEP_1) | instskip(NEXT) | instid1(VALU_DEP_1)
	v_fma_f64 v[18:19], -v[12:13], v[14:15], 1.0
	v_fmac_f64_e32 v[14:15], v[14:15], v[18:19]
	s_delay_alu instid0(VALU_DEP_1) | instskip(NEXT) | instid1(VALU_DEP_1)
	v_mul_f64_e32 v[18:19], v[20:21], v[14:15]
	v_fma_f64 v[12:13], -v[12:13], v[18:19], v[20:21]
	s_delay_alu instid0(VALU_DEP_1) | instskip(NEXT) | instid1(VALU_DEP_1)
	v_div_fmas_f64 v[12:13], v[12:13], v[14:15], v[18:19]
	v_div_fixup_f64 v[12:13], v[12:13], v[10:11], v[8:9]
	s_delay_alu instid0(VALU_DEP_1) | instskip(NEXT) | instid1(VALU_DEP_1)
	v_fma_f64 v[14:15], v[8:9], v[12:13], v[10:11]
	v_div_scale_f64 v[18:19], null, v[14:15], v[14:15], 1.0
	v_div_scale_f64 v[24:25], vcc_lo, 1.0, v[14:15], 1.0
	s_delay_alu instid0(VALU_DEP_2) | instskip(SKIP_1) | instid1(TRANS32_DEP_1)
	v_rcp_f64_e32 v[20:21], v[18:19]
	v_nop
	v_fma_f64 v[22:23], -v[18:19], v[20:21], 1.0
	s_delay_alu instid0(VALU_DEP_1) | instskip(NEXT) | instid1(VALU_DEP_1)
	v_fmac_f64_e32 v[20:21], v[20:21], v[22:23]
	v_fma_f64 v[22:23], -v[18:19], v[20:21], 1.0
	s_delay_alu instid0(VALU_DEP_1) | instskip(NEXT) | instid1(VALU_DEP_1)
	v_fmac_f64_e32 v[20:21], v[20:21], v[22:23]
	v_mul_f64_e32 v[22:23], v[24:25], v[20:21]
	s_delay_alu instid0(VALU_DEP_1) | instskip(NEXT) | instid1(VALU_DEP_1)
	v_fma_f64 v[18:19], -v[18:19], v[22:23], v[24:25]
	v_div_fmas_f64 v[18:19], v[18:19], v[20:21], v[22:23]
	v_fma_f64 v[20:21], v[4:5], v[12:13], v[6:7]
	s_delay_alu instid0(VALU_DEP_2) | instskip(SKIP_1) | instid1(VALU_DEP_2)
	v_div_fixup_f64 v[14:15], v[18:19], v[14:15], 1.0
	v_fma_f64 v[18:19], v[6:7], v[12:13], -v[4:5]
	v_mul_f64_e32 v[12:13], v[20:21], v[14:15]
	s_delay_alu instid0(VALU_DEP_2)
	v_mul_f64_e32 v[14:15], v[18:19], v[14:15]
.LBB208_43:                             ;   in Loop: Header=BB208_39 Depth=2
	s_and_not1_b32 vcc_lo, exec_lo, s27
	s_cbranch_vccnz .LBB208_38
; %bb.44:                               ;   in Loop: Header=BB208_39 Depth=2
	v_div_scale_f64 v[12:13], null, v[8:9], v[8:9], v[10:11]
	v_div_scale_f64 v[20:21], vcc_lo, v[10:11], v[8:9], v[10:11]
	s_delay_alu instid0(VALU_DEP_2) | instskip(SKIP_1) | instid1(TRANS32_DEP_1)
	v_rcp_f64_e32 v[14:15], v[12:13]
	v_nop
	v_fma_f64 v[18:19], -v[12:13], v[14:15], 1.0
	s_delay_alu instid0(VALU_DEP_1) | instskip(NEXT) | instid1(VALU_DEP_1)
	v_fmac_f64_e32 v[14:15], v[14:15], v[18:19]
	v_fma_f64 v[18:19], -v[12:13], v[14:15], 1.0
	s_delay_alu instid0(VALU_DEP_1) | instskip(NEXT) | instid1(VALU_DEP_1)
	v_fmac_f64_e32 v[14:15], v[14:15], v[18:19]
	v_mul_f64_e32 v[18:19], v[20:21], v[14:15]
	s_delay_alu instid0(VALU_DEP_1) | instskip(NEXT) | instid1(VALU_DEP_1)
	v_fma_f64 v[12:13], -v[12:13], v[18:19], v[20:21]
	v_div_fmas_f64 v[12:13], v[12:13], v[14:15], v[18:19]
	s_delay_alu instid0(VALU_DEP_1) | instskip(NEXT) | instid1(VALU_DEP_1)
	v_div_fixup_f64 v[12:13], v[12:13], v[8:9], v[10:11]
	v_fmac_f64_e32 v[8:9], v[10:11], v[12:13]
	s_delay_alu instid0(VALU_DEP_1) | instskip(SKIP_1) | instid1(VALU_DEP_2)
	v_div_scale_f64 v[10:11], null, v[8:9], v[8:9], 1.0
	v_div_scale_f64 v[20:21], vcc_lo, 1.0, v[8:9], 1.0
	v_rcp_f64_e32 v[14:15], v[10:11]
	v_nop
	s_delay_alu instid0(TRANS32_DEP_1) | instskip(NEXT) | instid1(VALU_DEP_1)
	v_fma_f64 v[18:19], -v[10:11], v[14:15], 1.0
	v_fmac_f64_e32 v[14:15], v[14:15], v[18:19]
	s_delay_alu instid0(VALU_DEP_1) | instskip(NEXT) | instid1(VALU_DEP_1)
	v_fma_f64 v[18:19], -v[10:11], v[14:15], 1.0
	v_fmac_f64_e32 v[14:15], v[14:15], v[18:19]
	s_delay_alu instid0(VALU_DEP_1) | instskip(NEXT) | instid1(VALU_DEP_1)
	v_mul_f64_e32 v[18:19], v[20:21], v[14:15]
	v_fma_f64 v[10:11], -v[10:11], v[18:19], v[20:21]
	s_delay_alu instid0(VALU_DEP_1) | instskip(SKIP_2) | instid1(VALU_DEP_3)
	v_div_fmas_f64 v[10:11], v[10:11], v[14:15], v[18:19]
	v_fma_f64 v[14:15], v[6:7], v[12:13], v[4:5]
	v_fma_f64 v[4:5], -v[4:5], v[12:13], v[6:7]
	v_div_fixup_f64 v[8:9], v[10:11], v[8:9], 1.0
	s_delay_alu instid0(VALU_DEP_1) | instskip(NEXT) | instid1(VALU_DEP_3)
	v_mul_f64_e32 v[12:13], v[14:15], v[8:9]
	v_mul_f64_e32 v[14:15], v[4:5], v[8:9]
	s_branch .LBB208_38
.LBB208_45:                             ;   in Loop: Header=BB208_3 Depth=1
	s_mov_b32 s26, 0
.LBB208_46:                             ;   in Loop: Header=BB208_3 Depth=1
	s_delay_alu instid0(SALU_CYCLE_1)
	s_and_b32 vcc_lo, exec_lo, s26
	s_cbranch_vccz .LBB208_77
; %bb.47:                               ;   in Loop: Header=BB208_3 Depth=1
	s_mov_b32 s28, s33
	s_and_not1_b32 vcc_lo, exec_lo, s34
	s_mov_b32 s26, s20
	s_mov_b32 s27, s33
	s_cbranch_vccnz .LBB208_68
.LBB208_48:                             ;   Parent Loop BB208_3 Depth=1
                                        ; =>  This Loop Header: Depth=2
                                        ;       Child Loop BB208_49 Depth 3
	s_add_co_i32 s36, s27, -1
	s_add_co_i32 s28, s27, -3
	v_lshl_add_u32 v40, s27, 7, v34
	s_add_co_i32 s29, s27, -2
	v_lshl_add_u32 v39, s36, 7, v34
	s_lshl_b32 s37, s28, 7
	v_lshl_add_u32 v38, s29, 7, v34
	v_dual_mov_b32 v12, v29 :: v_dual_add_nc_u32 v37, s37, v34
	ds_load_b128 v[20:23], v40
	ds_load_b128 v[16:19], v39
	;; [unrolled: 1-line block ×4, first 2 shown]
	s_cmp_le_i32 s33, s27
	s_mov_b32 s37, s26
	s_mov_b32 s38, s33
	s_cbranch_scc1 .LBB208_50
.LBB208_49:                             ;   Parent Loop BB208_3 Depth=1
                                        ;     Parent Loop BB208_48 Depth=2
                                        ; =>    This Inner Loop Header: Depth=3
	ds_load_b128 v[24:27], v12
	v_dual_mov_b32 v13, s37 :: v_dual_add_nc_u32 v12, 0xffffff80, v12
	s_add_co_i32 s38, s38, -1
	s_addk_co_i32 s37, 0xff80
	ds_load_b128 v[42:45], v13
	ds_load_b128 v[46:49], v13 offset:16
	ds_load_b128 v[50:53], v13 offset:32
	;; [unrolled: 1-line block ×3, first 2 shown]
	s_cmp_le_i32 s38, s27
	s_wait_dscnt 0x0
	v_mul_f64_e32 v[14:15], v[26:27], v[56:57]
	v_mul_f64_e32 v[56:57], v[24:25], v[56:57]
	s_delay_alu instid0(VALU_DEP_2) | instskip(NEXT) | instid1(VALU_DEP_2)
	v_fma_f64 v[14:15], v[24:25], v[54:55], -v[14:15]
	v_fmac_f64_e32 v[56:57], v[26:27], v[54:55]
	s_delay_alu instid0(VALU_DEP_2) | instskip(SKIP_2) | instid1(VALU_DEP_4)
	v_add_f64_e64 v[20:21], v[20:21], -v[14:15]
	v_mul_f64_e32 v[14:15], v[26:27], v[52:53]
	v_mul_f64_e32 v[52:53], v[24:25], v[52:53]
	v_add_f64_e64 v[22:23], v[22:23], -v[56:57]
	s_delay_alu instid0(VALU_DEP_3) | instskip(NEXT) | instid1(VALU_DEP_3)
	v_fma_f64 v[14:15], v[24:25], v[50:51], -v[14:15]
	v_fmac_f64_e32 v[52:53], v[26:27], v[50:51]
	s_delay_alu instid0(VALU_DEP_2) | instskip(SKIP_2) | instid1(VALU_DEP_4)
	v_add_f64_e64 v[16:17], v[16:17], -v[14:15]
	v_mul_f64_e32 v[14:15], v[26:27], v[48:49]
	v_mul_f64_e32 v[48:49], v[24:25], v[48:49]
	v_add_f64_e64 v[18:19], v[18:19], -v[52:53]
	s_delay_alu instid0(VALU_DEP_3) | instskip(NEXT) | instid1(VALU_DEP_3)
	v_fma_f64 v[14:15], v[24:25], v[46:47], -v[14:15]
	v_fmac_f64_e32 v[48:49], v[26:27], v[46:47]
	s_delay_alu instid0(VALU_DEP_2) | instskip(SKIP_1) | instid1(VALU_DEP_3)
	v_add_f64_e64 v[8:9], v[8:9], -v[14:15]
	v_mul_f64_e32 v[14:15], v[26:27], v[44:45]
	v_add_f64_e64 v[10:11], v[10:11], -v[48:49]
	s_delay_alu instid0(VALU_DEP_2) | instskip(SKIP_1) | instid1(VALU_DEP_2)
	v_fma_f64 v[14:15], v[24:25], v[42:43], -v[14:15]
	v_mul_f64_e32 v[24:25], v[24:25], v[44:45]
	v_add_f64_e64 v[4:5], v[4:5], -v[14:15]
	s_delay_alu instid0(VALU_DEP_2) | instskip(NEXT) | instid1(VALU_DEP_1)
	v_fmac_f64_e32 v[24:25], v[26:27], v[42:43]
	v_add_f64_e64 v[6:7], v[6:7], -v[24:25]
	s_cbranch_scc0 .LBB208_49
.LBB208_50:                             ;   in Loop: Header=BB208_48 Depth=2
	s_lshl_b32 s38, s27, 4
	s_lshl_b32 s37, s27, 7
	s_delay_alu instid0(SALU_CYCLE_1) | instskip(NEXT) | instid1(SALU_CYCLE_1)
	s_add_co_i32 s37, s38, s37
	v_mov_b32_e32 v12, s37
	ds_load_b128 v[24:27], v12
                                        ; implicit-def: $vgpr14_vgpr15
	s_wait_dscnt 0x0
	v_cmp_ngt_f64_e64 s39, |v[24:25]|, |v[26:27]|
	s_and_b32 vcc_lo, exec_lo, s39
	s_mov_b32 s39, -1
	s_cbranch_vccz .LBB208_52
; %bb.51:                               ;   in Loop: Header=BB208_48 Depth=2
	v_div_scale_f64 v[12:13], null, v[26:27], v[26:27], v[24:25]
	v_div_scale_f64 v[44:45], vcc_lo, v[24:25], v[26:27], v[24:25]
	s_mov_b32 s39, 0
	v_rcp_f64_e32 v[14:15], v[12:13]
	v_nop
	s_delay_alu instid0(TRANS32_DEP_1) | instskip(NEXT) | instid1(VALU_DEP_1)
	v_fma_f64 v[42:43], -v[12:13], v[14:15], 1.0
	v_fmac_f64_e32 v[14:15], v[14:15], v[42:43]
	s_delay_alu instid0(VALU_DEP_1) | instskip(NEXT) | instid1(VALU_DEP_1)
	v_fma_f64 v[42:43], -v[12:13], v[14:15], 1.0
	v_fmac_f64_e32 v[14:15], v[14:15], v[42:43]
	s_delay_alu instid0(VALU_DEP_1) | instskip(NEXT) | instid1(VALU_DEP_1)
	v_mul_f64_e32 v[42:43], v[44:45], v[14:15]
	v_fma_f64 v[12:13], -v[12:13], v[42:43], v[44:45]
	s_delay_alu instid0(VALU_DEP_1) | instskip(NEXT) | instid1(VALU_DEP_1)
	v_div_fmas_f64 v[12:13], v[12:13], v[14:15], v[42:43]
	v_div_fixup_f64 v[12:13], v[12:13], v[26:27], v[24:25]
	s_delay_alu instid0(VALU_DEP_1) | instskip(NEXT) | instid1(VALU_DEP_1)
	v_fma_f64 v[14:15], v[24:25], v[12:13], v[26:27]
	v_div_scale_f64 v[42:43], null, v[14:15], v[14:15], 1.0
	v_div_scale_f64 v[48:49], vcc_lo, 1.0, v[14:15], 1.0
	s_delay_alu instid0(VALU_DEP_2) | instskip(SKIP_1) | instid1(TRANS32_DEP_1)
	v_rcp_f64_e32 v[44:45], v[42:43]
	v_nop
	v_fma_f64 v[46:47], -v[42:43], v[44:45], 1.0
	s_delay_alu instid0(VALU_DEP_1) | instskip(NEXT) | instid1(VALU_DEP_1)
	v_fmac_f64_e32 v[44:45], v[44:45], v[46:47]
	v_fma_f64 v[46:47], -v[42:43], v[44:45], 1.0
	s_delay_alu instid0(VALU_DEP_1) | instskip(NEXT) | instid1(VALU_DEP_1)
	v_fmac_f64_e32 v[44:45], v[44:45], v[46:47]
	v_mul_f64_e32 v[46:47], v[48:49], v[44:45]
	s_delay_alu instid0(VALU_DEP_1) | instskip(NEXT) | instid1(VALU_DEP_1)
	v_fma_f64 v[42:43], -v[42:43], v[46:47], v[48:49]
	v_div_fmas_f64 v[42:43], v[42:43], v[44:45], v[46:47]
	v_fma_f64 v[44:45], v[20:21], v[12:13], v[22:23]
	s_delay_alu instid0(VALU_DEP_2) | instskip(SKIP_1) | instid1(VALU_DEP_2)
	v_div_fixup_f64 v[14:15], v[42:43], v[14:15], 1.0
	v_fma_f64 v[42:43], v[22:23], v[12:13], -v[20:21]
	v_mul_f64_e32 v[12:13], v[44:45], v[14:15]
	s_delay_alu instid0(VALU_DEP_2)
	v_mul_f64_e32 v[14:15], v[42:43], v[14:15]
.LBB208_52:                             ;   in Loop: Header=BB208_48 Depth=2
	s_and_not1_b32 vcc_lo, exec_lo, s39
	s_cbranch_vccnz .LBB208_54
; %bb.53:                               ;   in Loop: Header=BB208_48 Depth=2
	v_div_scale_f64 v[12:13], null, v[24:25], v[24:25], v[26:27]
	v_div_scale_f64 v[44:45], vcc_lo, v[26:27], v[24:25], v[26:27]
	s_delay_alu instid0(VALU_DEP_2) | instskip(SKIP_1) | instid1(TRANS32_DEP_1)
	v_rcp_f64_e32 v[14:15], v[12:13]
	v_nop
	v_fma_f64 v[42:43], -v[12:13], v[14:15], 1.0
	s_delay_alu instid0(VALU_DEP_1) | instskip(NEXT) | instid1(VALU_DEP_1)
	v_fmac_f64_e32 v[14:15], v[14:15], v[42:43]
	v_fma_f64 v[42:43], -v[12:13], v[14:15], 1.0
	s_delay_alu instid0(VALU_DEP_1) | instskip(NEXT) | instid1(VALU_DEP_1)
	v_fmac_f64_e32 v[14:15], v[14:15], v[42:43]
	v_mul_f64_e32 v[42:43], v[44:45], v[14:15]
	s_delay_alu instid0(VALU_DEP_1) | instskip(NEXT) | instid1(VALU_DEP_1)
	v_fma_f64 v[12:13], -v[12:13], v[42:43], v[44:45]
	v_div_fmas_f64 v[12:13], v[12:13], v[14:15], v[42:43]
	s_delay_alu instid0(VALU_DEP_1) | instskip(NEXT) | instid1(VALU_DEP_1)
	v_div_fixup_f64 v[12:13], v[12:13], v[24:25], v[26:27]
	v_fmac_f64_e32 v[24:25], v[26:27], v[12:13]
	s_delay_alu instid0(VALU_DEP_1) | instskip(SKIP_1) | instid1(VALU_DEP_2)
	v_div_scale_f64 v[14:15], null, v[24:25], v[24:25], 1.0
	v_div_scale_f64 v[44:45], vcc_lo, 1.0, v[24:25], 1.0
	v_rcp_f64_e32 v[26:27], v[14:15]
	v_nop
	s_delay_alu instid0(TRANS32_DEP_1) | instskip(NEXT) | instid1(VALU_DEP_1)
	v_fma_f64 v[42:43], -v[14:15], v[26:27], 1.0
	v_fmac_f64_e32 v[26:27], v[26:27], v[42:43]
	s_delay_alu instid0(VALU_DEP_1) | instskip(NEXT) | instid1(VALU_DEP_1)
	v_fma_f64 v[42:43], -v[14:15], v[26:27], 1.0
	v_fmac_f64_e32 v[26:27], v[26:27], v[42:43]
	s_delay_alu instid0(VALU_DEP_1) | instskip(NEXT) | instid1(VALU_DEP_1)
	v_mul_f64_e32 v[42:43], v[44:45], v[26:27]
	v_fma_f64 v[14:15], -v[14:15], v[42:43], v[44:45]
	s_delay_alu instid0(VALU_DEP_1) | instskip(SKIP_2) | instid1(VALU_DEP_3)
	v_div_fmas_f64 v[14:15], v[14:15], v[26:27], v[42:43]
	v_fma_f64 v[26:27], v[22:23], v[12:13], v[20:21]
	v_fma_f64 v[20:21], -v[20:21], v[12:13], v[22:23]
	v_div_fixup_f64 v[14:15], v[14:15], v[24:25], 1.0
	s_delay_alu instid0(VALU_DEP_1) | instskip(NEXT) | instid1(VALU_DEP_3)
	v_mul_f64_e32 v[12:13], v[26:27], v[14:15]
	v_mul_f64_e32 v[14:15], v[20:21], v[14:15]
.LBB208_54:                             ;   in Loop: Header=BB208_48 Depth=2
	s_add_co_i32 s39, s37, -16
	ds_store_b128 v40, v[12:15]
	v_mov_b32_e32 v20, s39
	s_lshl_b32 s39, s36, 7
	s_delay_alu instid0(SALU_CYCLE_1) | instskip(NEXT) | instid1(SALU_CYCLE_1)
	s_add_co_i32 s39, s38, s39
	s_add_co_i32 s39, s39, -16
	ds_load_b128 v[24:27], v20
	s_wait_dscnt 0x0
	v_dual_mul_f64 v[42:43], v[14:15], v[26:27] :: v_dual_mov_b32 v20, s39
	v_mul_f64_e32 v[26:27], v[12:13], v[26:27]
	ds_load_b128 v[20:23], v20
	s_wait_dscnt 0x0
	v_cmp_ngt_f64_e64 s40, |v[20:21]|, |v[22:23]|
	v_fma_f64 v[42:43], v[12:13], v[24:25], -v[42:43]
	v_fmac_f64_e32 v[26:27], v[14:15], v[24:25]
	s_and_b32 vcc_lo, exec_lo, s40
	s_mov_b32 s40, -1
	s_delay_alu instid0(VALU_DEP_2) | instskip(NEXT) | instid1(VALU_DEP_2)
	v_add_f64_e64 v[24:25], v[16:17], -v[42:43]
	v_add_f64_e64 v[26:27], v[18:19], -v[26:27]
                                        ; implicit-def: $vgpr18_vgpr19
	s_cbranch_vccz .LBB208_56
; %bb.55:                               ;   in Loop: Header=BB208_48 Depth=2
	v_div_scale_f64 v[16:17], null, v[22:23], v[22:23], v[20:21]
	v_div_scale_f64 v[42:43], vcc_lo, v[20:21], v[22:23], v[20:21]
	s_mov_b32 s40, 0
	v_rcp_f64_e32 v[18:19], v[16:17]
	v_nop
	s_delay_alu instid0(TRANS32_DEP_1) | instskip(NEXT) | instid1(VALU_DEP_1)
	v_fma_f64 v[40:41], -v[16:17], v[18:19], 1.0
	v_fmac_f64_e32 v[18:19], v[18:19], v[40:41]
	s_delay_alu instid0(VALU_DEP_1) | instskip(NEXT) | instid1(VALU_DEP_1)
	v_fma_f64 v[40:41], -v[16:17], v[18:19], 1.0
	v_fmac_f64_e32 v[18:19], v[18:19], v[40:41]
	s_delay_alu instid0(VALU_DEP_1) | instskip(NEXT) | instid1(VALU_DEP_1)
	v_mul_f64_e32 v[40:41], v[42:43], v[18:19]
	v_fma_f64 v[16:17], -v[16:17], v[40:41], v[42:43]
	s_delay_alu instid0(VALU_DEP_1) | instskip(NEXT) | instid1(VALU_DEP_1)
	v_div_fmas_f64 v[16:17], v[16:17], v[18:19], v[40:41]
	v_div_fixup_f64 v[16:17], v[16:17], v[22:23], v[20:21]
	s_delay_alu instid0(VALU_DEP_1) | instskip(NEXT) | instid1(VALU_DEP_1)
	v_fma_f64 v[18:19], v[20:21], v[16:17], v[22:23]
	v_div_scale_f64 v[40:41], null, v[18:19], v[18:19], 1.0
	v_div_scale_f64 v[46:47], vcc_lo, 1.0, v[18:19], 1.0
	s_delay_alu instid0(VALU_DEP_2) | instskip(SKIP_1) | instid1(TRANS32_DEP_1)
	v_rcp_f64_e32 v[42:43], v[40:41]
	v_nop
	v_fma_f64 v[44:45], -v[40:41], v[42:43], 1.0
	s_delay_alu instid0(VALU_DEP_1) | instskip(NEXT) | instid1(VALU_DEP_1)
	v_fmac_f64_e32 v[42:43], v[42:43], v[44:45]
	v_fma_f64 v[44:45], -v[40:41], v[42:43], 1.0
	s_delay_alu instid0(VALU_DEP_1) | instskip(NEXT) | instid1(VALU_DEP_1)
	v_fmac_f64_e32 v[42:43], v[42:43], v[44:45]
	v_mul_f64_e32 v[44:45], v[46:47], v[42:43]
	s_delay_alu instid0(VALU_DEP_1) | instskip(NEXT) | instid1(VALU_DEP_1)
	v_fma_f64 v[40:41], -v[40:41], v[44:45], v[46:47]
	v_div_fmas_f64 v[40:41], v[40:41], v[42:43], v[44:45]
	v_fma_f64 v[42:43], v[16:17], v[24:25], v[26:27]
	s_delay_alu instid0(VALU_DEP_2) | instskip(SKIP_1) | instid1(VALU_DEP_2)
	v_div_fixup_f64 v[18:19], v[40:41], v[18:19], 1.0
	v_fma_f64 v[40:41], v[16:17], v[26:27], -v[24:25]
	v_mul_f64_e32 v[16:17], v[42:43], v[18:19]
	s_delay_alu instid0(VALU_DEP_2)
	v_mul_f64_e32 v[18:19], v[40:41], v[18:19]
.LBB208_56:                             ;   in Loop: Header=BB208_48 Depth=2
	s_and_not1_b32 vcc_lo, exec_lo, s40
	s_cbranch_vccnz .LBB208_58
; %bb.57:                               ;   in Loop: Header=BB208_48 Depth=2
	v_div_scale_f64 v[16:17], null, v[20:21], v[20:21], v[22:23]
	v_div_scale_f64 v[42:43], vcc_lo, v[22:23], v[20:21], v[22:23]
	s_delay_alu instid0(VALU_DEP_2) | instskip(SKIP_1) | instid1(TRANS32_DEP_1)
	v_rcp_f64_e32 v[18:19], v[16:17]
	v_nop
	v_fma_f64 v[40:41], -v[16:17], v[18:19], 1.0
	s_delay_alu instid0(VALU_DEP_1) | instskip(NEXT) | instid1(VALU_DEP_1)
	v_fmac_f64_e32 v[18:19], v[18:19], v[40:41]
	v_fma_f64 v[40:41], -v[16:17], v[18:19], 1.0
	s_delay_alu instid0(VALU_DEP_1) | instskip(NEXT) | instid1(VALU_DEP_1)
	v_fmac_f64_e32 v[18:19], v[18:19], v[40:41]
	v_mul_f64_e32 v[40:41], v[42:43], v[18:19]
	s_delay_alu instid0(VALU_DEP_1) | instskip(NEXT) | instid1(VALU_DEP_1)
	v_fma_f64 v[16:17], -v[16:17], v[40:41], v[42:43]
	v_div_fmas_f64 v[16:17], v[16:17], v[18:19], v[40:41]
	s_delay_alu instid0(VALU_DEP_1) | instskip(NEXT) | instid1(VALU_DEP_1)
	v_div_fixup_f64 v[16:17], v[16:17], v[20:21], v[22:23]
	v_fmac_f64_e32 v[20:21], v[22:23], v[16:17]
	s_delay_alu instid0(VALU_DEP_1) | instskip(SKIP_1) | instid1(VALU_DEP_2)
	v_div_scale_f64 v[18:19], null, v[20:21], v[20:21], 1.0
	v_div_scale_f64 v[42:43], vcc_lo, 1.0, v[20:21], 1.0
	v_rcp_f64_e32 v[22:23], v[18:19]
	v_nop
	s_delay_alu instid0(TRANS32_DEP_1) | instskip(NEXT) | instid1(VALU_DEP_1)
	v_fma_f64 v[40:41], -v[18:19], v[22:23], 1.0
	v_fmac_f64_e32 v[22:23], v[22:23], v[40:41]
	s_delay_alu instid0(VALU_DEP_1) | instskip(NEXT) | instid1(VALU_DEP_1)
	v_fma_f64 v[40:41], -v[18:19], v[22:23], 1.0
	v_fmac_f64_e32 v[22:23], v[22:23], v[40:41]
	s_delay_alu instid0(VALU_DEP_1) | instskip(NEXT) | instid1(VALU_DEP_1)
	v_mul_f64_e32 v[40:41], v[42:43], v[22:23]
	v_fma_f64 v[18:19], -v[18:19], v[40:41], v[42:43]
	s_delay_alu instid0(VALU_DEP_1) | instskip(SKIP_1) | instid1(VALU_DEP_2)
	v_div_fmas_f64 v[18:19], v[18:19], v[22:23], v[40:41]
	v_fma_f64 v[22:23], v[16:17], v[26:27], v[24:25]
	v_div_fixup_f64 v[18:19], v[18:19], v[20:21], 1.0
	v_fma_f64 v[20:21], -v[16:17], v[24:25], v[26:27]
	s_delay_alu instid0(VALU_DEP_2) | instskip(NEXT) | instid1(VALU_DEP_2)
	v_mul_f64_e32 v[16:17], v[22:23], v[18:19]
	v_mul_f64_e32 v[18:19], v[20:21], v[18:19]
.LBB208_58:                             ;   in Loop: Header=BB208_48 Depth=2
	s_sub_co_i32 s40, s37, 32
	ds_store_b128 v39, v[16:19]
	v_mov_b32_e32 v20, s40
	s_lshl_b32 s40, s36, 4
	s_lshl_b32 s36, s29, 4
	s_sub_co_i32 s39, s39, s40
	s_lshl_b32 s29, s29, 7
	s_add_co_i32 s40, s39, s36
	s_add_co_i32 s38, s38, s29
	v_mov_b32_e32 v24, s40
	ds_load_b128 v[20:23], v20
	s_sub_co_i32 s29, s38, 32
	ds_load_b128 v[24:27], v24
	s_wait_dscnt 0x1
	v_mul_f64_e32 v[40:41], v[14:15], v[22:23]
	v_mul_f64_e32 v[22:23], v[12:13], v[22:23]
	s_wait_dscnt 0x0
	v_mul_f64_e32 v[42:43], v[18:19], v[26:27]
	v_mul_f64_e32 v[26:27], v[16:17], v[26:27]
	s_delay_alu instid0(VALU_DEP_4) | instskip(NEXT) | instid1(VALU_DEP_4)
	v_fma_f64 v[40:41], v[12:13], v[20:21], -v[40:41]
	v_fmac_f64_e32 v[22:23], v[14:15], v[20:21]
	s_delay_alu instid0(VALU_DEP_4) | instskip(NEXT) | instid1(VALU_DEP_4)
	v_fma_f64 v[20:21], v[16:17], v[24:25], -v[42:43]
	v_fmac_f64_e32 v[26:27], v[18:19], v[24:25]
	s_delay_alu instid0(VALU_DEP_4) | instskip(NEXT) | instid1(VALU_DEP_4)
	v_add_f64_e64 v[24:25], v[8:9], -v[40:41]
	v_dual_add_f64 v[22:23], v[10:11], -v[22:23] :: v_dual_mov_b32 v8, s29
	ds_load_b128 v[8:11], v8
	s_wait_dscnt 0x0
	v_cmp_ngt_f64_e64 s38, |v[8:9]|, |v[10:11]|
	v_add_f64_e64 v[24:25], v[24:25], -v[20:21]
	v_add_f64_e64 v[26:27], v[22:23], -v[26:27]
                                        ; implicit-def: $vgpr22_vgpr23
	s_and_b32 vcc_lo, exec_lo, s38
	s_mov_b32 s38, -1
	s_cbranch_vccz .LBB208_60
; %bb.59:                               ;   in Loop: Header=BB208_48 Depth=2
	v_div_scale_f64 v[20:21], null, v[10:11], v[10:11], v[8:9]
	v_div_scale_f64 v[42:43], vcc_lo, v[8:9], v[10:11], v[8:9]
	s_mov_b32 s38, 0
	v_rcp_f64_e32 v[22:23], v[20:21]
	v_nop
	s_delay_alu instid0(TRANS32_DEP_1) | instskip(NEXT) | instid1(VALU_DEP_1)
	v_fma_f64 v[40:41], -v[20:21], v[22:23], 1.0
	v_fmac_f64_e32 v[22:23], v[22:23], v[40:41]
	s_delay_alu instid0(VALU_DEP_1) | instskip(NEXT) | instid1(VALU_DEP_1)
	v_fma_f64 v[40:41], -v[20:21], v[22:23], 1.0
	v_fmac_f64_e32 v[22:23], v[22:23], v[40:41]
	s_delay_alu instid0(VALU_DEP_1) | instskip(NEXT) | instid1(VALU_DEP_1)
	v_mul_f64_e32 v[40:41], v[42:43], v[22:23]
	v_fma_f64 v[20:21], -v[20:21], v[40:41], v[42:43]
	s_delay_alu instid0(VALU_DEP_1) | instskip(NEXT) | instid1(VALU_DEP_1)
	v_div_fmas_f64 v[20:21], v[20:21], v[22:23], v[40:41]
	v_div_fixup_f64 v[20:21], v[20:21], v[10:11], v[8:9]
	s_delay_alu instid0(VALU_DEP_1) | instskip(NEXT) | instid1(VALU_DEP_1)
	v_fma_f64 v[22:23], v[8:9], v[20:21], v[10:11]
	v_div_scale_f64 v[40:41], null, v[22:23], v[22:23], 1.0
	v_div_scale_f64 v[46:47], vcc_lo, 1.0, v[22:23], 1.0
	s_delay_alu instid0(VALU_DEP_2) | instskip(SKIP_1) | instid1(TRANS32_DEP_1)
	v_rcp_f64_e32 v[42:43], v[40:41]
	v_nop
	v_fma_f64 v[44:45], -v[40:41], v[42:43], 1.0
	s_delay_alu instid0(VALU_DEP_1) | instskip(NEXT) | instid1(VALU_DEP_1)
	v_fmac_f64_e32 v[42:43], v[42:43], v[44:45]
	v_fma_f64 v[44:45], -v[40:41], v[42:43], 1.0
	s_delay_alu instid0(VALU_DEP_1) | instskip(NEXT) | instid1(VALU_DEP_1)
	v_fmac_f64_e32 v[42:43], v[42:43], v[44:45]
	v_mul_f64_e32 v[44:45], v[46:47], v[42:43]
	s_delay_alu instid0(VALU_DEP_1) | instskip(NEXT) | instid1(VALU_DEP_1)
	v_fma_f64 v[40:41], -v[40:41], v[44:45], v[46:47]
	v_div_fmas_f64 v[40:41], v[40:41], v[42:43], v[44:45]
	v_fma_f64 v[42:43], v[20:21], v[24:25], v[26:27]
	s_delay_alu instid0(VALU_DEP_2) | instskip(SKIP_1) | instid1(VALU_DEP_2)
	v_div_fixup_f64 v[22:23], v[40:41], v[22:23], 1.0
	v_fma_f64 v[40:41], v[20:21], v[26:27], -v[24:25]
	v_mul_f64_e32 v[20:21], v[42:43], v[22:23]
	s_delay_alu instid0(VALU_DEP_2)
	v_mul_f64_e32 v[22:23], v[40:41], v[22:23]
.LBB208_60:                             ;   in Loop: Header=BB208_48 Depth=2
	s_and_not1_b32 vcc_lo, exec_lo, s38
	s_cbranch_vccnz .LBB208_62
; %bb.61:                               ;   in Loop: Header=BB208_48 Depth=2
	v_div_scale_f64 v[20:21], null, v[8:9], v[8:9], v[10:11]
	v_div_scale_f64 v[42:43], vcc_lo, v[10:11], v[8:9], v[10:11]
	s_delay_alu instid0(VALU_DEP_2) | instskip(SKIP_1) | instid1(TRANS32_DEP_1)
	v_rcp_f64_e32 v[22:23], v[20:21]
	v_nop
	v_fma_f64 v[40:41], -v[20:21], v[22:23], 1.0
	s_delay_alu instid0(VALU_DEP_1) | instskip(NEXT) | instid1(VALU_DEP_1)
	v_fmac_f64_e32 v[22:23], v[22:23], v[40:41]
	v_fma_f64 v[40:41], -v[20:21], v[22:23], 1.0
	s_delay_alu instid0(VALU_DEP_1) | instskip(NEXT) | instid1(VALU_DEP_1)
	v_fmac_f64_e32 v[22:23], v[22:23], v[40:41]
	v_mul_f64_e32 v[40:41], v[42:43], v[22:23]
	s_delay_alu instid0(VALU_DEP_1) | instskip(NEXT) | instid1(VALU_DEP_1)
	v_fma_f64 v[20:21], -v[20:21], v[40:41], v[42:43]
	v_div_fmas_f64 v[20:21], v[20:21], v[22:23], v[40:41]
	s_delay_alu instid0(VALU_DEP_1) | instskip(NEXT) | instid1(VALU_DEP_1)
	v_div_fixup_f64 v[20:21], v[20:21], v[8:9], v[10:11]
	v_fmac_f64_e32 v[8:9], v[10:11], v[20:21]
	s_delay_alu instid0(VALU_DEP_1) | instskip(SKIP_1) | instid1(VALU_DEP_2)
	v_div_scale_f64 v[10:11], null, v[8:9], v[8:9], 1.0
	v_div_scale_f64 v[42:43], vcc_lo, 1.0, v[8:9], 1.0
	v_rcp_f64_e32 v[22:23], v[10:11]
	v_nop
	s_delay_alu instid0(TRANS32_DEP_1) | instskip(NEXT) | instid1(VALU_DEP_1)
	v_fma_f64 v[40:41], -v[10:11], v[22:23], 1.0
	v_fmac_f64_e32 v[22:23], v[22:23], v[40:41]
	s_delay_alu instid0(VALU_DEP_1) | instskip(NEXT) | instid1(VALU_DEP_1)
	v_fma_f64 v[40:41], -v[10:11], v[22:23], 1.0
	v_fmac_f64_e32 v[22:23], v[22:23], v[40:41]
	s_delay_alu instid0(VALU_DEP_1) | instskip(NEXT) | instid1(VALU_DEP_1)
	v_mul_f64_e32 v[40:41], v[42:43], v[22:23]
	v_fma_f64 v[10:11], -v[10:11], v[40:41], v[42:43]
	s_delay_alu instid0(VALU_DEP_1) | instskip(SKIP_1) | instid1(VALU_DEP_2)
	v_div_fmas_f64 v[10:11], v[10:11], v[22:23], v[40:41]
	v_fma_f64 v[22:23], v[20:21], v[26:27], v[24:25]
	v_div_fixup_f64 v[8:9], v[10:11], v[8:9], 1.0
	v_fma_f64 v[10:11], -v[20:21], v[24:25], v[26:27]
	s_delay_alu instid0(VALU_DEP_2) | instskip(NEXT) | instid1(VALU_DEP_2)
	v_mul_f64_e32 v[20:21], v[22:23], v[8:9]
	v_mul_f64_e32 v[22:23], v[10:11], v[8:9]
.LBB208_62:                             ;   in Loop: Header=BB208_48 Depth=2
	s_sub_co_i32 s37, s37, 48
	s_lshl_b32 s28, s28, 4
	v_mov_b32_e32 v8, s37
	s_add_co_i32 s37, s39, s28
	s_sub_co_i32 s36, s29, s36
	v_mov_b32_e32 v24, s37
	s_add_co_i32 s28, s36, s28
	ds_load_b128 v[8:11], v8
	ds_store_b128 v38, v[20:23]
	ds_load_b128 v[24:27], v24
	s_wait_dscnt 0x2
	v_mul_f64_e32 v[40:41], v[14:15], v[10:11]
	v_mul_f64_e32 v[42:43], v[12:13], v[10:11]
	s_wait_dscnt 0x0
	v_mul_f64_e32 v[44:45], v[18:19], v[26:27]
	v_mul_f64_e32 v[26:27], v[16:17], v[26:27]
	s_delay_alu instid0(VALU_DEP_4) | instskip(NEXT) | instid1(VALU_DEP_4)
	v_fma_f64 v[40:41], v[12:13], v[8:9], -v[40:41]
	v_fmac_f64_e32 v[42:43], v[14:15], v[8:9]
	s_delay_alu instid0(VALU_DEP_4) | instskip(NEXT) | instid1(VALU_DEP_4)
	v_dual_fma_f64 v[16:17], v[16:17], v[24:25], -v[44:45] :: v_dual_mov_b32 v8, s28
	v_fmac_f64_e32 v[26:27], v[18:19], v[24:25]
	s_add_co_i32 s28, s29, 0xffffff70
	ds_load_b128 v[12:15], v8
	v_mov_b32_e32 v8, s28
	ds_load_b128 v[8:11], v8
	s_wait_dscnt 0x1
	v_mul_f64_e32 v[46:47], v[22:23], v[14:15]
	v_mul_f64_e32 v[14:15], v[20:21], v[14:15]
	v_add_f64_e64 v[4:5], v[4:5], -v[40:41]
	v_add_f64_e64 v[6:7], v[6:7], -v[42:43]
	s_wait_dscnt 0x0
	v_cmp_ngt_f64_e64 s28, |v[8:9]|, |v[10:11]|
	v_fma_f64 v[18:19], v[20:21], v[12:13], -v[46:47]
	v_fmac_f64_e32 v[14:15], v[22:23], v[12:13]
	v_add_f64_e64 v[4:5], v[4:5], -v[16:17]
	v_add_f64_e64 v[6:7], v[6:7], -v[26:27]
	s_and_b32 vcc_lo, exec_lo, s28
	s_mov_b32 s28, -1
	s_delay_alu instid0(VALU_DEP_2) | instskip(NEXT) | instid1(VALU_DEP_2)
	v_add_f64_e64 v[12:13], v[4:5], -v[18:19]
	v_add_f64_e64 v[14:15], v[6:7], -v[14:15]
                                        ; implicit-def: $vgpr6_vgpr7
	s_cbranch_vccz .LBB208_64
; %bb.63:                               ;   in Loop: Header=BB208_48 Depth=2
	v_div_scale_f64 v[4:5], null, v[10:11], v[10:11], v[8:9]
	v_div_scale_f64 v[18:19], vcc_lo, v[8:9], v[10:11], v[8:9]
	s_mov_b32 s28, 0
	v_rcp_f64_e32 v[6:7], v[4:5]
	v_nop
	s_delay_alu instid0(TRANS32_DEP_1) | instskip(NEXT) | instid1(VALU_DEP_1)
	v_fma_f64 v[16:17], -v[4:5], v[6:7], 1.0
	v_fmac_f64_e32 v[6:7], v[6:7], v[16:17]
	s_delay_alu instid0(VALU_DEP_1) | instskip(NEXT) | instid1(VALU_DEP_1)
	v_fma_f64 v[16:17], -v[4:5], v[6:7], 1.0
	v_fmac_f64_e32 v[6:7], v[6:7], v[16:17]
	s_delay_alu instid0(VALU_DEP_1) | instskip(NEXT) | instid1(VALU_DEP_1)
	v_mul_f64_e32 v[16:17], v[18:19], v[6:7]
	v_fma_f64 v[4:5], -v[4:5], v[16:17], v[18:19]
	s_delay_alu instid0(VALU_DEP_1) | instskip(NEXT) | instid1(VALU_DEP_1)
	v_div_fmas_f64 v[4:5], v[4:5], v[6:7], v[16:17]
	v_div_fixup_f64 v[4:5], v[4:5], v[10:11], v[8:9]
	s_delay_alu instid0(VALU_DEP_1) | instskip(NEXT) | instid1(VALU_DEP_1)
	v_fma_f64 v[6:7], v[8:9], v[4:5], v[10:11]
	v_div_scale_f64 v[16:17], null, v[6:7], v[6:7], 1.0
	v_div_scale_f64 v[22:23], vcc_lo, 1.0, v[6:7], 1.0
	s_delay_alu instid0(VALU_DEP_2) | instskip(SKIP_1) | instid1(TRANS32_DEP_1)
	v_rcp_f64_e32 v[18:19], v[16:17]
	v_nop
	v_fma_f64 v[20:21], -v[16:17], v[18:19], 1.0
	s_delay_alu instid0(VALU_DEP_1) | instskip(NEXT) | instid1(VALU_DEP_1)
	v_fmac_f64_e32 v[18:19], v[18:19], v[20:21]
	v_fma_f64 v[20:21], -v[16:17], v[18:19], 1.0
	s_delay_alu instid0(VALU_DEP_1) | instskip(NEXT) | instid1(VALU_DEP_1)
	v_fmac_f64_e32 v[18:19], v[18:19], v[20:21]
	v_mul_f64_e32 v[20:21], v[22:23], v[18:19]
	s_delay_alu instid0(VALU_DEP_1) | instskip(NEXT) | instid1(VALU_DEP_1)
	v_fma_f64 v[16:17], -v[16:17], v[20:21], v[22:23]
	v_div_fmas_f64 v[16:17], v[16:17], v[18:19], v[20:21]
	v_fma_f64 v[18:19], v[4:5], v[12:13], v[14:15]
	s_delay_alu instid0(VALU_DEP_2) | instskip(SKIP_1) | instid1(VALU_DEP_2)
	v_div_fixup_f64 v[6:7], v[16:17], v[6:7], 1.0
	v_fma_f64 v[16:17], v[4:5], v[14:15], -v[12:13]
	v_mul_f64_e32 v[4:5], v[18:19], v[6:7]
	s_delay_alu instid0(VALU_DEP_2)
	v_mul_f64_e32 v[6:7], v[16:17], v[6:7]
.LBB208_64:                             ;   in Loop: Header=BB208_48 Depth=2
	s_and_not1_b32 vcc_lo, exec_lo, s28
	s_cbranch_vccnz .LBB208_66
; %bb.65:                               ;   in Loop: Header=BB208_48 Depth=2
	v_div_scale_f64 v[4:5], null, v[8:9], v[8:9], v[10:11]
	v_div_scale_f64 v[18:19], vcc_lo, v[10:11], v[8:9], v[10:11]
	s_delay_alu instid0(VALU_DEP_2) | instskip(SKIP_1) | instid1(TRANS32_DEP_1)
	v_rcp_f64_e32 v[6:7], v[4:5]
	v_nop
	v_fma_f64 v[16:17], -v[4:5], v[6:7], 1.0
	s_delay_alu instid0(VALU_DEP_1) | instskip(NEXT) | instid1(VALU_DEP_1)
	v_fmac_f64_e32 v[6:7], v[6:7], v[16:17]
	v_fma_f64 v[16:17], -v[4:5], v[6:7], 1.0
	s_delay_alu instid0(VALU_DEP_1) | instskip(NEXT) | instid1(VALU_DEP_1)
	v_fmac_f64_e32 v[6:7], v[6:7], v[16:17]
	v_mul_f64_e32 v[16:17], v[18:19], v[6:7]
	s_delay_alu instid0(VALU_DEP_1) | instskip(NEXT) | instid1(VALU_DEP_1)
	v_fma_f64 v[4:5], -v[4:5], v[16:17], v[18:19]
	v_div_fmas_f64 v[4:5], v[4:5], v[6:7], v[16:17]
	s_delay_alu instid0(VALU_DEP_1) | instskip(NEXT) | instid1(VALU_DEP_1)
	v_div_fixup_f64 v[4:5], v[4:5], v[8:9], v[10:11]
	v_fmac_f64_e32 v[8:9], v[10:11], v[4:5]
	s_delay_alu instid0(VALU_DEP_1) | instskip(SKIP_1) | instid1(VALU_DEP_2)
	v_div_scale_f64 v[6:7], null, v[8:9], v[8:9], 1.0
	v_div_scale_f64 v[18:19], vcc_lo, 1.0, v[8:9], 1.0
	v_rcp_f64_e32 v[10:11], v[6:7]
	v_nop
	s_delay_alu instid0(TRANS32_DEP_1) | instskip(NEXT) | instid1(VALU_DEP_1)
	v_fma_f64 v[16:17], -v[6:7], v[10:11], 1.0
	v_fmac_f64_e32 v[10:11], v[10:11], v[16:17]
	s_delay_alu instid0(VALU_DEP_1) | instskip(NEXT) | instid1(VALU_DEP_1)
	v_fma_f64 v[16:17], -v[6:7], v[10:11], 1.0
	v_fmac_f64_e32 v[10:11], v[10:11], v[16:17]
	s_delay_alu instid0(VALU_DEP_1) | instskip(NEXT) | instid1(VALU_DEP_1)
	v_mul_f64_e32 v[16:17], v[18:19], v[10:11]
	v_fma_f64 v[6:7], -v[6:7], v[16:17], v[18:19]
	s_delay_alu instid0(VALU_DEP_1) | instskip(SKIP_1) | instid1(VALU_DEP_2)
	v_div_fmas_f64 v[6:7], v[6:7], v[10:11], v[16:17]
	v_fma_f64 v[10:11], v[4:5], v[14:15], v[12:13]
	v_div_fixup_f64 v[6:7], v[6:7], v[8:9], 1.0
	v_fma_f64 v[8:9], -v[4:5], v[12:13], v[14:15]
	s_delay_alu instid0(VALU_DEP_2) | instskip(NEXT) | instid1(VALU_DEP_2)
	v_mul_f64_e32 v[4:5], v[10:11], v[6:7]
	v_mul_f64_e32 v[6:7], v[8:9], v[6:7]
.LBB208_66:                             ;   in Loop: Header=BB208_48 Depth=2
	s_add_co_i32 s28, s27, -4
	s_sub_co_i32 s26, s26, 64
	s_cmp_lt_i32 s27, 7
	ds_store_b128 v37, v[4:7]
	s_cbranch_scc1 .LBB208_68
; %bb.67:                               ;   in Loop: Header=BB208_48 Depth=2
	s_mov_b32 s27, s28
	s_branch .LBB208_48
.LBB208_68:                             ;   in Loop: Header=BB208_3 Depth=1
	s_cmp_lt_i32 s28, 0
	s_cbranch_scc1 .LBB208_77
; %bb.69:                               ;   in Loop: Header=BB208_3 Depth=1
	s_lshl_b32 s26, s28, 4
	s_delay_alu instid0(SALU_CYCLE_1)
	s_add_co_i32 s26, s21, s26
	s_branch .LBB208_71
.LBB208_70:                             ;   in Loop: Header=BB208_71 Depth=2
	s_add_co_i32 s27, s28, -1
	s_add_co_i32 s26, s26, -16
	s_cmp_lt_i32 s28, 1
	s_mov_b32 s28, s27
	ds_store_b128 v16, v[12:15]
	s_cbranch_scc1 .LBB208_77
.LBB208_71:                             ;   Parent Loop BB208_3 Depth=1
                                        ; =>  This Loop Header: Depth=2
                                        ;       Child Loop BB208_72 Depth 3
	s_lshl_b32 s27, s28, 7
	s_cmp_le_i32 s33, s28
	v_dual_add_nc_u32 v16, s27, v34 :: v_dual_mov_b32 v8, v29
	s_mov_b32 s29, s26
	s_mov_b32 s36, s33
	ds_load_b128 v[4:7], v16
	s_cbranch_scc1 .LBB208_73
.LBB208_72:                             ;   Parent Loop BB208_3 Depth=1
                                        ;     Parent Loop BB208_71 Depth=2
                                        ; =>    This Inner Loop Header: Depth=3
	v_mov_b32_e32 v9, s29
	s_add_co_i32 s36, s36, -1
	s_addk_co_i32 s29, 0xff80
	s_cmp_le_i32 s36, s28
	ds_load_b128 v[10:13], v8
	ds_load_b128 v[18:21], v9
	v_add_nc_u32_e32 v8, 0xffffff80, v8
	s_wait_dscnt 0x0
	v_mul_f64_e32 v[14:15], v[20:21], v[12:13]
	v_mul_f64_e32 v[12:13], v[18:19], v[12:13]
	s_delay_alu instid0(VALU_DEP_2) | instskip(NEXT) | instid1(VALU_DEP_2)
	v_fma_f64 v[14:15], v[18:19], v[10:11], -v[14:15]
	v_fmac_f64_e32 v[12:13], v[20:21], v[10:11]
	s_delay_alu instid0(VALU_DEP_2) | instskip(NEXT) | instid1(VALU_DEP_2)
	v_add_f64_e64 v[4:5], v[4:5], -v[14:15]
	v_add_f64_e64 v[6:7], v[6:7], -v[12:13]
	s_cbranch_scc0 .LBB208_72
.LBB208_73:                             ;   in Loop: Header=BB208_71 Depth=2
	s_lshl_b32 s29, s28, 4
                                        ; implicit-def: $vgpr12_vgpr13
	s_delay_alu instid0(SALU_CYCLE_1) | instskip(NEXT) | instid1(SALU_CYCLE_1)
	s_add_co_i32 s27, s29, s27
	v_mov_b32_e32 v8, s27
	ds_load_b128 v[8:11], v8
	s_wait_dscnt 0x0
	v_cmp_ngt_f64_e64 s27, |v[8:9]|, |v[10:11]|
	s_and_b32 vcc_lo, exec_lo, s27
	s_mov_b32 s27, -1
	s_cbranch_vccz .LBB208_75
; %bb.74:                               ;   in Loop: Header=BB208_71 Depth=2
	v_div_scale_f64 v[12:13], null, v[10:11], v[10:11], v[8:9]
	v_div_scale_f64 v[20:21], vcc_lo, v[8:9], v[10:11], v[8:9]
	s_mov_b32 s27, 0
	v_rcp_f64_e32 v[14:15], v[12:13]
	v_nop
	s_delay_alu instid0(TRANS32_DEP_1) | instskip(NEXT) | instid1(VALU_DEP_1)
	v_fma_f64 v[18:19], -v[12:13], v[14:15], 1.0
	v_fmac_f64_e32 v[14:15], v[14:15], v[18:19]
	s_delay_alu instid0(VALU_DEP_1) | instskip(NEXT) | instid1(VALU_DEP_1)
	v_fma_f64 v[18:19], -v[12:13], v[14:15], 1.0
	v_fmac_f64_e32 v[14:15], v[14:15], v[18:19]
	s_delay_alu instid0(VALU_DEP_1) | instskip(NEXT) | instid1(VALU_DEP_1)
	v_mul_f64_e32 v[18:19], v[20:21], v[14:15]
	v_fma_f64 v[12:13], -v[12:13], v[18:19], v[20:21]
	s_delay_alu instid0(VALU_DEP_1) | instskip(NEXT) | instid1(VALU_DEP_1)
	v_div_fmas_f64 v[12:13], v[12:13], v[14:15], v[18:19]
	v_div_fixup_f64 v[12:13], v[12:13], v[10:11], v[8:9]
	s_delay_alu instid0(VALU_DEP_1) | instskip(NEXT) | instid1(VALU_DEP_1)
	v_fma_f64 v[14:15], v[8:9], v[12:13], v[10:11]
	v_div_scale_f64 v[18:19], null, v[14:15], v[14:15], 1.0
	v_div_scale_f64 v[24:25], vcc_lo, 1.0, v[14:15], 1.0
	s_delay_alu instid0(VALU_DEP_2) | instskip(SKIP_1) | instid1(TRANS32_DEP_1)
	v_rcp_f64_e32 v[20:21], v[18:19]
	v_nop
	v_fma_f64 v[22:23], -v[18:19], v[20:21], 1.0
	s_delay_alu instid0(VALU_DEP_1) | instskip(NEXT) | instid1(VALU_DEP_1)
	v_fmac_f64_e32 v[20:21], v[20:21], v[22:23]
	v_fma_f64 v[22:23], -v[18:19], v[20:21], 1.0
	s_delay_alu instid0(VALU_DEP_1) | instskip(NEXT) | instid1(VALU_DEP_1)
	v_fmac_f64_e32 v[20:21], v[20:21], v[22:23]
	v_mul_f64_e32 v[22:23], v[24:25], v[20:21]
	s_delay_alu instid0(VALU_DEP_1) | instskip(NEXT) | instid1(VALU_DEP_1)
	v_fma_f64 v[18:19], -v[18:19], v[22:23], v[24:25]
	v_div_fmas_f64 v[18:19], v[18:19], v[20:21], v[22:23]
	v_fma_f64 v[20:21], v[4:5], v[12:13], v[6:7]
	s_delay_alu instid0(VALU_DEP_2) | instskip(SKIP_1) | instid1(VALU_DEP_2)
	v_div_fixup_f64 v[14:15], v[18:19], v[14:15], 1.0
	v_fma_f64 v[18:19], v[6:7], v[12:13], -v[4:5]
	v_mul_f64_e32 v[12:13], v[20:21], v[14:15]
	s_delay_alu instid0(VALU_DEP_2)
	v_mul_f64_e32 v[14:15], v[18:19], v[14:15]
.LBB208_75:                             ;   in Loop: Header=BB208_71 Depth=2
	s_and_not1_b32 vcc_lo, exec_lo, s27
	s_cbranch_vccnz .LBB208_70
; %bb.76:                               ;   in Loop: Header=BB208_71 Depth=2
	v_div_scale_f64 v[12:13], null, v[8:9], v[8:9], v[10:11]
	v_div_scale_f64 v[20:21], vcc_lo, v[10:11], v[8:9], v[10:11]
	s_delay_alu instid0(VALU_DEP_2) | instskip(SKIP_1) | instid1(TRANS32_DEP_1)
	v_rcp_f64_e32 v[14:15], v[12:13]
	v_nop
	v_fma_f64 v[18:19], -v[12:13], v[14:15], 1.0
	s_delay_alu instid0(VALU_DEP_1) | instskip(NEXT) | instid1(VALU_DEP_1)
	v_fmac_f64_e32 v[14:15], v[14:15], v[18:19]
	v_fma_f64 v[18:19], -v[12:13], v[14:15], 1.0
	s_delay_alu instid0(VALU_DEP_1) | instskip(NEXT) | instid1(VALU_DEP_1)
	v_fmac_f64_e32 v[14:15], v[14:15], v[18:19]
	v_mul_f64_e32 v[18:19], v[20:21], v[14:15]
	s_delay_alu instid0(VALU_DEP_1) | instskip(NEXT) | instid1(VALU_DEP_1)
	v_fma_f64 v[12:13], -v[12:13], v[18:19], v[20:21]
	v_div_fmas_f64 v[12:13], v[12:13], v[14:15], v[18:19]
	s_delay_alu instid0(VALU_DEP_1) | instskip(NEXT) | instid1(VALU_DEP_1)
	v_div_fixup_f64 v[12:13], v[12:13], v[8:9], v[10:11]
	v_fmac_f64_e32 v[8:9], v[10:11], v[12:13]
	s_delay_alu instid0(VALU_DEP_1) | instskip(SKIP_1) | instid1(VALU_DEP_2)
	v_div_scale_f64 v[10:11], null, v[8:9], v[8:9], 1.0
	v_div_scale_f64 v[20:21], vcc_lo, 1.0, v[8:9], 1.0
	v_rcp_f64_e32 v[14:15], v[10:11]
	v_nop
	s_delay_alu instid0(TRANS32_DEP_1) | instskip(NEXT) | instid1(VALU_DEP_1)
	v_fma_f64 v[18:19], -v[10:11], v[14:15], 1.0
	v_fmac_f64_e32 v[14:15], v[14:15], v[18:19]
	s_delay_alu instid0(VALU_DEP_1) | instskip(NEXT) | instid1(VALU_DEP_1)
	v_fma_f64 v[18:19], -v[10:11], v[14:15], 1.0
	v_fmac_f64_e32 v[14:15], v[14:15], v[18:19]
	s_delay_alu instid0(VALU_DEP_1) | instskip(NEXT) | instid1(VALU_DEP_1)
	v_mul_f64_e32 v[18:19], v[20:21], v[14:15]
	v_fma_f64 v[10:11], -v[10:11], v[18:19], v[20:21]
	s_delay_alu instid0(VALU_DEP_1) | instskip(SKIP_2) | instid1(VALU_DEP_3)
	v_div_fmas_f64 v[10:11], v[10:11], v[14:15], v[18:19]
	v_fma_f64 v[14:15], v[6:7], v[12:13], v[4:5]
	v_fma_f64 v[4:5], -v[4:5], v[12:13], v[6:7]
	v_div_fixup_f64 v[8:9], v[10:11], v[8:9], 1.0
	s_delay_alu instid0(VALU_DEP_1) | instskip(NEXT) | instid1(VALU_DEP_3)
	v_mul_f64_e32 v[12:13], v[14:15], v[8:9]
	v_mul_f64_e32 v[14:15], v[4:5], v[8:9]
	s_branch .LBB208_70
.LBB208_77:                             ;   in Loop: Header=BB208_3 Depth=1
	s_mov_b32 s26, 0
.LBB208_78:                             ;   in Loop: Header=BB208_3 Depth=1
	s_delay_alu instid0(SALU_CYCLE_1)
	s_and_not1_b32 vcc_lo, exec_lo, s26
	s_cbranch_vccnz .LBB208_110
; %bb.79:                               ;   in Loop: Header=BB208_3 Depth=1
	s_mov_b32 s28, s33
	s_and_not1_b32 vcc_lo, exec_lo, s34
	s_mov_b32 s26, s22
	s_mov_b32 s27, s33
	s_cbranch_vccnz .LBB208_101
.LBB208_80:                             ;   Parent Loop BB208_3 Depth=1
                                        ; =>  This Loop Header: Depth=2
                                        ;       Child Loop BB208_81 Depth 3
	s_add_co_i32 s37, s27, -1
	v_lshl_add_u32 v40, s27, 7, v34
	s_add_co_i32 s29, s27, -2
	v_lshl_add_u32 v39, s37, 7, v34
	;; [unrolled: 2-line block ×3, first 2 shown]
	v_lshl_add_u32 v37, s28, 7, v34
	ds_load_b128 v[20:23], v40
	ds_load_b128 v[16:19], v39
	;; [unrolled: 1-line block ×4, first 2 shown]
	v_mov_b32_e32 v12, v29
	s_cmp_le_i32 s33, s27
	s_mov_b32 s36, s26
	s_mov_b32 s38, s33
	s_cbranch_scc1 .LBB208_82
.LBB208_81:                             ;   Parent Loop BB208_3 Depth=1
                                        ;     Parent Loop BB208_80 Depth=2
                                        ; =>    This Inner Loop Header: Depth=3
	ds_load_b128 v[24:27], v12
	v_dual_mov_b32 v13, s36 :: v_dual_add_nc_u32 v12, 0xffffff80, v12
	s_add_co_i32 s38, s38, -1
	s_add_co_i32 s36, s36, -16
	s_cmp_le_i32 s38, s27
	ds_load_b128 v[42:45], v13 offset:384
	s_wait_dscnt 0x0
	v_mul_f64_e32 v[14:15], v[26:27], v[44:45]
	v_mul_f64_e32 v[44:45], v[24:25], v[44:45]
	s_delay_alu instid0(VALU_DEP_2) | instskip(NEXT) | instid1(VALU_DEP_2)
	v_fma_f64 v[14:15], v[24:25], v[42:43], -v[14:15]
	v_fmac_f64_e32 v[44:45], v[26:27], v[42:43]
	s_delay_alu instid0(VALU_DEP_2) | instskip(NEXT) | instid1(VALU_DEP_2)
	v_add_f64_e64 v[20:21], v[20:21], -v[14:15]
	v_add_f64_e64 v[22:23], v[22:23], -v[44:45]
	ds_load_b128 v[42:45], v13 offset:256
	s_wait_dscnt 0x0
	v_mul_f64_e32 v[14:15], v[26:27], v[44:45]
	v_mul_f64_e32 v[44:45], v[24:25], v[44:45]
	s_delay_alu instid0(VALU_DEP_2) | instskip(NEXT) | instid1(VALU_DEP_2)
	v_fma_f64 v[14:15], v[24:25], v[42:43], -v[14:15]
	v_fmac_f64_e32 v[44:45], v[26:27], v[42:43]
	s_delay_alu instid0(VALU_DEP_2) | instskip(NEXT) | instid1(VALU_DEP_2)
	v_add_f64_e64 v[16:17], v[16:17], -v[14:15]
	v_add_f64_e64 v[18:19], v[18:19], -v[44:45]
	;; [unrolled: 10-line block ×3, first 2 shown]
	ds_load_b128 v[42:45], v13
	s_wait_dscnt 0x0
	v_mul_f64_e32 v[14:15], v[26:27], v[44:45]
	s_delay_alu instid0(VALU_DEP_1) | instskip(SKIP_1) | instid1(VALU_DEP_2)
	v_fma_f64 v[14:15], v[24:25], v[42:43], -v[14:15]
	v_mul_f64_e32 v[24:25], v[24:25], v[44:45]
	v_add_f64_e64 v[4:5], v[4:5], -v[14:15]
	s_delay_alu instid0(VALU_DEP_2) | instskip(NEXT) | instid1(VALU_DEP_1)
	v_fmac_f64_e32 v[24:25], v[26:27], v[42:43]
	v_add_f64_e64 v[6:7], v[6:7], -v[24:25]
	s_cbranch_scc0 .LBB208_81
.LBB208_82:                             ;   in Loop: Header=BB208_80 Depth=2
	s_lshl_b32 s38, s37, 3
	s_lshl_b32 s39, s29, 3
	;; [unrolled: 1-line block ×3, first 2 shown]
; %bb.83:                               ;   in Loop: Header=BB208_80 Depth=2
	s_mul_i32 s40, s27, 0x90
	s_delay_alu instid0(SALU_CYCLE_1)
	v_mov_b32_e32 v12, s40
	ds_load_b128 v[24:27], v12
                                        ; implicit-def: $vgpr14_vgpr15
	s_wait_dscnt 0x0
	v_cmp_ngt_f64_e64 s40, |v[24:25]|, |v[26:27]|
	s_and_b32 vcc_lo, exec_lo, s40
	s_mov_b32 s40, -1
	s_cbranch_vccz .LBB208_85
; %bb.84:                               ;   in Loop: Header=BB208_80 Depth=2
	v_div_scale_f64 v[12:13], null, v[26:27], v[26:27], v[24:25]
	v_div_scale_f64 v[44:45], vcc_lo, v[24:25], v[26:27], v[24:25]
	s_mov_b32 s40, 0
	v_rcp_f64_e32 v[14:15], v[12:13]
	v_nop
	s_delay_alu instid0(TRANS32_DEP_1) | instskip(NEXT) | instid1(VALU_DEP_1)
	v_fma_f64 v[42:43], -v[12:13], v[14:15], 1.0
	v_fmac_f64_e32 v[14:15], v[14:15], v[42:43]
	s_delay_alu instid0(VALU_DEP_1) | instskip(NEXT) | instid1(VALU_DEP_1)
	v_fma_f64 v[42:43], -v[12:13], v[14:15], 1.0
	v_fmac_f64_e32 v[14:15], v[14:15], v[42:43]
	s_delay_alu instid0(VALU_DEP_1) | instskip(NEXT) | instid1(VALU_DEP_1)
	v_mul_f64_e32 v[42:43], v[44:45], v[14:15]
	v_fma_f64 v[12:13], -v[12:13], v[42:43], v[44:45]
	s_delay_alu instid0(VALU_DEP_1) | instskip(NEXT) | instid1(VALU_DEP_1)
	v_div_fmas_f64 v[12:13], v[12:13], v[14:15], v[42:43]
	v_div_fixup_f64 v[12:13], v[12:13], v[26:27], v[24:25]
	s_delay_alu instid0(VALU_DEP_1) | instskip(NEXT) | instid1(VALU_DEP_1)
	v_fma_f64 v[14:15], v[24:25], v[12:13], v[26:27]
	v_div_scale_f64 v[42:43], null, v[14:15], v[14:15], 1.0
	v_div_scale_f64 v[48:49], vcc_lo, 1.0, v[14:15], 1.0
	s_delay_alu instid0(VALU_DEP_2) | instskip(SKIP_1) | instid1(TRANS32_DEP_1)
	v_rcp_f64_e32 v[44:45], v[42:43]
	v_nop
	v_fma_f64 v[46:47], -v[42:43], v[44:45], 1.0
	s_delay_alu instid0(VALU_DEP_1) | instskip(NEXT) | instid1(VALU_DEP_1)
	v_fmac_f64_e32 v[44:45], v[44:45], v[46:47]
	v_fma_f64 v[46:47], -v[42:43], v[44:45], 1.0
	s_delay_alu instid0(VALU_DEP_1) | instskip(NEXT) | instid1(VALU_DEP_1)
	v_fmac_f64_e32 v[44:45], v[44:45], v[46:47]
	v_mul_f64_e32 v[46:47], v[48:49], v[44:45]
	s_delay_alu instid0(VALU_DEP_1) | instskip(NEXT) | instid1(VALU_DEP_1)
	v_fma_f64 v[42:43], -v[42:43], v[46:47], v[48:49]
	v_div_fmas_f64 v[42:43], v[42:43], v[44:45], v[46:47]
	v_fma_f64 v[44:45], v[20:21], v[12:13], v[22:23]
	s_delay_alu instid0(VALU_DEP_2) | instskip(SKIP_1) | instid1(VALU_DEP_2)
	v_div_fixup_f64 v[14:15], v[42:43], v[14:15], 1.0
	v_fma_f64 v[42:43], v[22:23], v[12:13], -v[20:21]
	v_mul_f64_e32 v[12:13], v[44:45], v[14:15]
	s_delay_alu instid0(VALU_DEP_2)
	v_mul_f64_e32 v[14:15], v[42:43], v[14:15]
.LBB208_85:                             ;   in Loop: Header=BB208_80 Depth=2
	s_and_not1_b32 vcc_lo, exec_lo, s40
	s_cbranch_vccnz .LBB208_87
; %bb.86:                               ;   in Loop: Header=BB208_80 Depth=2
	v_div_scale_f64 v[12:13], null, v[24:25], v[24:25], v[26:27]
	v_div_scale_f64 v[44:45], vcc_lo, v[26:27], v[24:25], v[26:27]
	s_delay_alu instid0(VALU_DEP_2) | instskip(SKIP_1) | instid1(TRANS32_DEP_1)
	v_rcp_f64_e32 v[14:15], v[12:13]
	v_nop
	v_fma_f64 v[42:43], -v[12:13], v[14:15], 1.0
	s_delay_alu instid0(VALU_DEP_1) | instskip(NEXT) | instid1(VALU_DEP_1)
	v_fmac_f64_e32 v[14:15], v[14:15], v[42:43]
	v_fma_f64 v[42:43], -v[12:13], v[14:15], 1.0
	s_delay_alu instid0(VALU_DEP_1) | instskip(NEXT) | instid1(VALU_DEP_1)
	v_fmac_f64_e32 v[14:15], v[14:15], v[42:43]
	v_mul_f64_e32 v[42:43], v[44:45], v[14:15]
	s_delay_alu instid0(VALU_DEP_1) | instskip(NEXT) | instid1(VALU_DEP_1)
	v_fma_f64 v[12:13], -v[12:13], v[42:43], v[44:45]
	v_div_fmas_f64 v[12:13], v[12:13], v[14:15], v[42:43]
	s_delay_alu instid0(VALU_DEP_1) | instskip(NEXT) | instid1(VALU_DEP_1)
	v_div_fixup_f64 v[12:13], v[12:13], v[24:25], v[26:27]
	v_fmac_f64_e32 v[24:25], v[26:27], v[12:13]
	s_delay_alu instid0(VALU_DEP_1) | instskip(SKIP_1) | instid1(VALU_DEP_2)
	v_div_scale_f64 v[14:15], null, v[24:25], v[24:25], 1.0
	v_div_scale_f64 v[44:45], vcc_lo, 1.0, v[24:25], 1.0
	v_rcp_f64_e32 v[26:27], v[14:15]
	v_nop
	s_delay_alu instid0(TRANS32_DEP_1) | instskip(NEXT) | instid1(VALU_DEP_1)
	v_fma_f64 v[42:43], -v[14:15], v[26:27], 1.0
	v_fmac_f64_e32 v[26:27], v[26:27], v[42:43]
	s_delay_alu instid0(VALU_DEP_1) | instskip(NEXT) | instid1(VALU_DEP_1)
	v_fma_f64 v[42:43], -v[14:15], v[26:27], 1.0
	v_fmac_f64_e32 v[26:27], v[26:27], v[42:43]
	s_delay_alu instid0(VALU_DEP_1) | instskip(NEXT) | instid1(VALU_DEP_1)
	v_mul_f64_e32 v[42:43], v[44:45], v[26:27]
	v_fma_f64 v[14:15], -v[14:15], v[42:43], v[44:45]
	s_delay_alu instid0(VALU_DEP_1) | instskip(SKIP_2) | instid1(VALU_DEP_3)
	v_div_fmas_f64 v[14:15], v[14:15], v[26:27], v[42:43]
	v_fma_f64 v[26:27], v[22:23], v[12:13], v[20:21]
	v_fma_f64 v[20:21], -v[20:21], v[12:13], v[22:23]
	v_div_fixup_f64 v[14:15], v[14:15], v[24:25], 1.0
	s_delay_alu instid0(VALU_DEP_1) | instskip(NEXT) | instid1(VALU_DEP_3)
	v_mul_f64_e32 v[12:13], v[26:27], v[14:15]
	v_mul_f64_e32 v[14:15], v[20:21], v[14:15]
.LBB208_87:                             ;   in Loop: Header=BB208_80 Depth=2
	s_lshl_b32 s40, s38, 4
	s_lshl_b32 s38, s27, 4
	;; [unrolled: 1-line block ×3, first 2 shown]
	s_add_co_i32 s41, s40, s38
	s_add_co_i32 s37, s40, s37
	v_mov_b32_e32 v20, s41
	ds_store_b128 v40, v[12:15]
	ds_load_b128 v[24:27], v20
	s_wait_dscnt 0x0
	v_dual_mul_f64 v[42:43], v[14:15], v[26:27] :: v_dual_mov_b32 v20, s37
	v_mul_f64_e32 v[26:27], v[12:13], v[26:27]
	ds_load_b128 v[20:23], v20
	s_wait_dscnt 0x0
	v_cmp_ngt_f64_e64 s37, |v[20:21]|, |v[22:23]|
	v_fma_f64 v[42:43], v[12:13], v[24:25], -v[42:43]
	v_fmac_f64_e32 v[26:27], v[14:15], v[24:25]
	s_and_b32 vcc_lo, exec_lo, s37
	s_mov_b32 s37, -1
	s_delay_alu instid0(VALU_DEP_2) | instskip(NEXT) | instid1(VALU_DEP_2)
	v_add_f64_e64 v[24:25], v[16:17], -v[42:43]
	v_add_f64_e64 v[26:27], v[18:19], -v[26:27]
                                        ; implicit-def: $vgpr18_vgpr19
	s_cbranch_vccz .LBB208_89
; %bb.88:                               ;   in Loop: Header=BB208_80 Depth=2
	v_div_scale_f64 v[16:17], null, v[22:23], v[22:23], v[20:21]
	v_div_scale_f64 v[42:43], vcc_lo, v[20:21], v[22:23], v[20:21]
	s_mov_b32 s37, 0
	v_rcp_f64_e32 v[18:19], v[16:17]
	v_nop
	s_delay_alu instid0(TRANS32_DEP_1) | instskip(NEXT) | instid1(VALU_DEP_1)
	v_fma_f64 v[40:41], -v[16:17], v[18:19], 1.0
	v_fmac_f64_e32 v[18:19], v[18:19], v[40:41]
	s_delay_alu instid0(VALU_DEP_1) | instskip(NEXT) | instid1(VALU_DEP_1)
	v_fma_f64 v[40:41], -v[16:17], v[18:19], 1.0
	v_fmac_f64_e32 v[18:19], v[18:19], v[40:41]
	s_delay_alu instid0(VALU_DEP_1) | instskip(NEXT) | instid1(VALU_DEP_1)
	v_mul_f64_e32 v[40:41], v[42:43], v[18:19]
	v_fma_f64 v[16:17], -v[16:17], v[40:41], v[42:43]
	s_delay_alu instid0(VALU_DEP_1) | instskip(NEXT) | instid1(VALU_DEP_1)
	v_div_fmas_f64 v[16:17], v[16:17], v[18:19], v[40:41]
	v_div_fixup_f64 v[16:17], v[16:17], v[22:23], v[20:21]
	s_delay_alu instid0(VALU_DEP_1) | instskip(NEXT) | instid1(VALU_DEP_1)
	v_fma_f64 v[18:19], v[20:21], v[16:17], v[22:23]
	v_div_scale_f64 v[40:41], null, v[18:19], v[18:19], 1.0
	v_div_scale_f64 v[46:47], vcc_lo, 1.0, v[18:19], 1.0
	s_delay_alu instid0(VALU_DEP_2) | instskip(SKIP_1) | instid1(TRANS32_DEP_1)
	v_rcp_f64_e32 v[42:43], v[40:41]
	v_nop
	v_fma_f64 v[44:45], -v[40:41], v[42:43], 1.0
	s_delay_alu instid0(VALU_DEP_1) | instskip(NEXT) | instid1(VALU_DEP_1)
	v_fmac_f64_e32 v[42:43], v[42:43], v[44:45]
	v_fma_f64 v[44:45], -v[40:41], v[42:43], 1.0
	s_delay_alu instid0(VALU_DEP_1) | instskip(NEXT) | instid1(VALU_DEP_1)
	v_fmac_f64_e32 v[42:43], v[42:43], v[44:45]
	v_mul_f64_e32 v[44:45], v[46:47], v[42:43]
	s_delay_alu instid0(VALU_DEP_1) | instskip(NEXT) | instid1(VALU_DEP_1)
	v_fma_f64 v[40:41], -v[40:41], v[44:45], v[46:47]
	v_div_fmas_f64 v[40:41], v[40:41], v[42:43], v[44:45]
	v_fma_f64 v[42:43], v[16:17], v[24:25], v[26:27]
	s_delay_alu instid0(VALU_DEP_2) | instskip(SKIP_1) | instid1(VALU_DEP_2)
	v_div_fixup_f64 v[18:19], v[40:41], v[18:19], 1.0
	v_fma_f64 v[40:41], v[16:17], v[26:27], -v[24:25]
	v_mul_f64_e32 v[16:17], v[42:43], v[18:19]
	s_delay_alu instid0(VALU_DEP_2)
	v_mul_f64_e32 v[18:19], v[40:41], v[18:19]
.LBB208_89:                             ;   in Loop: Header=BB208_80 Depth=2
	s_and_not1_b32 vcc_lo, exec_lo, s37
	s_cbranch_vccnz .LBB208_91
; %bb.90:                               ;   in Loop: Header=BB208_80 Depth=2
	v_div_scale_f64 v[16:17], null, v[20:21], v[20:21], v[22:23]
	v_div_scale_f64 v[42:43], vcc_lo, v[22:23], v[20:21], v[22:23]
	s_delay_alu instid0(VALU_DEP_2) | instskip(SKIP_1) | instid1(TRANS32_DEP_1)
	v_rcp_f64_e32 v[18:19], v[16:17]
	v_nop
	v_fma_f64 v[40:41], -v[16:17], v[18:19], 1.0
	s_delay_alu instid0(VALU_DEP_1) | instskip(NEXT) | instid1(VALU_DEP_1)
	v_fmac_f64_e32 v[18:19], v[18:19], v[40:41]
	v_fma_f64 v[40:41], -v[16:17], v[18:19], 1.0
	s_delay_alu instid0(VALU_DEP_1) | instskip(NEXT) | instid1(VALU_DEP_1)
	v_fmac_f64_e32 v[18:19], v[18:19], v[40:41]
	v_mul_f64_e32 v[40:41], v[42:43], v[18:19]
	s_delay_alu instid0(VALU_DEP_1) | instskip(NEXT) | instid1(VALU_DEP_1)
	v_fma_f64 v[16:17], -v[16:17], v[40:41], v[42:43]
	v_div_fmas_f64 v[16:17], v[16:17], v[18:19], v[40:41]
	s_delay_alu instid0(VALU_DEP_1) | instskip(NEXT) | instid1(VALU_DEP_1)
	v_div_fixup_f64 v[16:17], v[16:17], v[20:21], v[22:23]
	v_fmac_f64_e32 v[20:21], v[22:23], v[16:17]
	s_delay_alu instid0(VALU_DEP_1) | instskip(SKIP_1) | instid1(VALU_DEP_2)
	v_div_scale_f64 v[18:19], null, v[20:21], v[20:21], 1.0
	v_div_scale_f64 v[42:43], vcc_lo, 1.0, v[20:21], 1.0
	v_rcp_f64_e32 v[22:23], v[18:19]
	v_nop
	s_delay_alu instid0(TRANS32_DEP_1) | instskip(NEXT) | instid1(VALU_DEP_1)
	v_fma_f64 v[40:41], -v[18:19], v[22:23], 1.0
	v_fmac_f64_e32 v[22:23], v[22:23], v[40:41]
	s_delay_alu instid0(VALU_DEP_1) | instskip(NEXT) | instid1(VALU_DEP_1)
	v_fma_f64 v[40:41], -v[18:19], v[22:23], 1.0
	v_fmac_f64_e32 v[22:23], v[22:23], v[40:41]
	s_delay_alu instid0(VALU_DEP_1) | instskip(NEXT) | instid1(VALU_DEP_1)
	v_mul_f64_e32 v[40:41], v[42:43], v[22:23]
	v_fma_f64 v[18:19], -v[18:19], v[40:41], v[42:43]
	s_delay_alu instid0(VALU_DEP_1) | instskip(SKIP_1) | instid1(VALU_DEP_2)
	v_div_fmas_f64 v[18:19], v[18:19], v[22:23], v[40:41]
	v_fma_f64 v[22:23], v[16:17], v[26:27], v[24:25]
	v_div_fixup_f64 v[18:19], v[18:19], v[20:21], 1.0
	v_fma_f64 v[20:21], -v[16:17], v[24:25], v[26:27]
	s_delay_alu instid0(VALU_DEP_2) | instskip(NEXT) | instid1(VALU_DEP_2)
	v_mul_f64_e32 v[16:17], v[22:23], v[18:19]
	v_mul_f64_e32 v[18:19], v[20:21], v[18:19]
.LBB208_91:                             ;   in Loop: Header=BB208_80 Depth=2
	s_lshl_b32 s37, s39, 4
	s_lshl_b32 s29, s29, 4
	s_add_co_i32 s39, s37, s38
	s_add_co_i32 s29, s37, s29
	v_mov_b32_e32 v20, s39
	s_add_co_i32 s39, s39, -16
	ds_store_b128 v39, v[16:19]
	v_mov_b32_e32 v24, s39
	ds_load_b128 v[20:23], v20
	ds_load_b128 v[24:27], v24
	s_wait_dscnt 0x1
	v_mul_f64_e32 v[40:41], v[14:15], v[22:23]
	v_mul_f64_e32 v[22:23], v[12:13], v[22:23]
	s_wait_dscnt 0x0
	v_mul_f64_e32 v[42:43], v[18:19], v[26:27]
	v_mul_f64_e32 v[26:27], v[16:17], v[26:27]
	s_delay_alu instid0(VALU_DEP_4) | instskip(NEXT) | instid1(VALU_DEP_4)
	v_fma_f64 v[40:41], v[12:13], v[20:21], -v[40:41]
	v_fmac_f64_e32 v[22:23], v[14:15], v[20:21]
	s_delay_alu instid0(VALU_DEP_4) | instskip(NEXT) | instid1(VALU_DEP_4)
	v_fma_f64 v[20:21], v[16:17], v[24:25], -v[42:43]
	v_fmac_f64_e32 v[26:27], v[18:19], v[24:25]
	s_delay_alu instid0(VALU_DEP_4) | instskip(NEXT) | instid1(VALU_DEP_4)
	v_add_f64_e64 v[24:25], v[8:9], -v[40:41]
	v_dual_add_f64 v[22:23], v[10:11], -v[22:23] :: v_dual_mov_b32 v8, s29
	ds_load_b128 v[8:11], v8
	s_wait_dscnt 0x0
	v_cmp_ngt_f64_e64 s29, |v[8:9]|, |v[10:11]|
	v_add_f64_e64 v[24:25], v[24:25], -v[20:21]
	v_add_f64_e64 v[26:27], v[22:23], -v[26:27]
                                        ; implicit-def: $vgpr22_vgpr23
	s_and_b32 vcc_lo, exec_lo, s29
	s_mov_b32 s29, -1
	s_cbranch_vccz .LBB208_93
; %bb.92:                               ;   in Loop: Header=BB208_80 Depth=2
	v_div_scale_f64 v[20:21], null, v[10:11], v[10:11], v[8:9]
	v_div_scale_f64 v[42:43], vcc_lo, v[8:9], v[10:11], v[8:9]
	s_mov_b32 s29, 0
	v_rcp_f64_e32 v[22:23], v[20:21]
	v_nop
	s_delay_alu instid0(TRANS32_DEP_1) | instskip(NEXT) | instid1(VALU_DEP_1)
	v_fma_f64 v[40:41], -v[20:21], v[22:23], 1.0
	v_fmac_f64_e32 v[22:23], v[22:23], v[40:41]
	s_delay_alu instid0(VALU_DEP_1) | instskip(NEXT) | instid1(VALU_DEP_1)
	v_fma_f64 v[40:41], -v[20:21], v[22:23], 1.0
	v_fmac_f64_e32 v[22:23], v[22:23], v[40:41]
	s_delay_alu instid0(VALU_DEP_1) | instskip(NEXT) | instid1(VALU_DEP_1)
	v_mul_f64_e32 v[40:41], v[42:43], v[22:23]
	v_fma_f64 v[20:21], -v[20:21], v[40:41], v[42:43]
	s_delay_alu instid0(VALU_DEP_1) | instskip(NEXT) | instid1(VALU_DEP_1)
	v_div_fmas_f64 v[20:21], v[20:21], v[22:23], v[40:41]
	v_div_fixup_f64 v[20:21], v[20:21], v[10:11], v[8:9]
	s_delay_alu instid0(VALU_DEP_1) | instskip(NEXT) | instid1(VALU_DEP_1)
	v_fma_f64 v[22:23], v[8:9], v[20:21], v[10:11]
	v_div_scale_f64 v[40:41], null, v[22:23], v[22:23], 1.0
	v_div_scale_f64 v[46:47], vcc_lo, 1.0, v[22:23], 1.0
	s_delay_alu instid0(VALU_DEP_2) | instskip(SKIP_1) | instid1(TRANS32_DEP_1)
	v_rcp_f64_e32 v[42:43], v[40:41]
	v_nop
	v_fma_f64 v[44:45], -v[40:41], v[42:43], 1.0
	s_delay_alu instid0(VALU_DEP_1) | instskip(NEXT) | instid1(VALU_DEP_1)
	v_fmac_f64_e32 v[42:43], v[42:43], v[44:45]
	v_fma_f64 v[44:45], -v[40:41], v[42:43], 1.0
	s_delay_alu instid0(VALU_DEP_1) | instskip(NEXT) | instid1(VALU_DEP_1)
	v_fmac_f64_e32 v[42:43], v[42:43], v[44:45]
	v_mul_f64_e32 v[44:45], v[46:47], v[42:43]
	s_delay_alu instid0(VALU_DEP_1) | instskip(NEXT) | instid1(VALU_DEP_1)
	v_fma_f64 v[40:41], -v[40:41], v[44:45], v[46:47]
	v_div_fmas_f64 v[40:41], v[40:41], v[42:43], v[44:45]
	v_fma_f64 v[42:43], v[20:21], v[24:25], v[26:27]
	s_delay_alu instid0(VALU_DEP_2) | instskip(SKIP_1) | instid1(VALU_DEP_2)
	v_div_fixup_f64 v[22:23], v[40:41], v[22:23], 1.0
	v_fma_f64 v[40:41], v[20:21], v[26:27], -v[24:25]
	v_mul_f64_e32 v[20:21], v[42:43], v[22:23]
	s_delay_alu instid0(VALU_DEP_2)
	v_mul_f64_e32 v[22:23], v[40:41], v[22:23]
.LBB208_93:                             ;   in Loop: Header=BB208_80 Depth=2
	s_and_not1_b32 vcc_lo, exec_lo, s29
	s_cbranch_vccnz .LBB208_95
; %bb.94:                               ;   in Loop: Header=BB208_80 Depth=2
	v_div_scale_f64 v[20:21], null, v[8:9], v[8:9], v[10:11]
	v_div_scale_f64 v[42:43], vcc_lo, v[10:11], v[8:9], v[10:11]
	s_delay_alu instid0(VALU_DEP_2) | instskip(SKIP_1) | instid1(TRANS32_DEP_1)
	v_rcp_f64_e32 v[22:23], v[20:21]
	v_nop
	v_fma_f64 v[40:41], -v[20:21], v[22:23], 1.0
	s_delay_alu instid0(VALU_DEP_1) | instskip(NEXT) | instid1(VALU_DEP_1)
	v_fmac_f64_e32 v[22:23], v[22:23], v[40:41]
	v_fma_f64 v[40:41], -v[20:21], v[22:23], 1.0
	s_delay_alu instid0(VALU_DEP_1) | instskip(NEXT) | instid1(VALU_DEP_1)
	v_fmac_f64_e32 v[22:23], v[22:23], v[40:41]
	v_mul_f64_e32 v[40:41], v[42:43], v[22:23]
	s_delay_alu instid0(VALU_DEP_1) | instskip(NEXT) | instid1(VALU_DEP_1)
	v_fma_f64 v[20:21], -v[20:21], v[40:41], v[42:43]
	v_div_fmas_f64 v[20:21], v[20:21], v[22:23], v[40:41]
	s_delay_alu instid0(VALU_DEP_1) | instskip(NEXT) | instid1(VALU_DEP_1)
	v_div_fixup_f64 v[20:21], v[20:21], v[8:9], v[10:11]
	v_fmac_f64_e32 v[8:9], v[10:11], v[20:21]
	s_delay_alu instid0(VALU_DEP_1) | instskip(SKIP_1) | instid1(VALU_DEP_2)
	v_div_scale_f64 v[10:11], null, v[8:9], v[8:9], 1.0
	v_div_scale_f64 v[42:43], vcc_lo, 1.0, v[8:9], 1.0
	v_rcp_f64_e32 v[22:23], v[10:11]
	v_nop
	s_delay_alu instid0(TRANS32_DEP_1) | instskip(NEXT) | instid1(VALU_DEP_1)
	v_fma_f64 v[40:41], -v[10:11], v[22:23], 1.0
	v_fmac_f64_e32 v[22:23], v[22:23], v[40:41]
	s_delay_alu instid0(VALU_DEP_1) | instskip(NEXT) | instid1(VALU_DEP_1)
	v_fma_f64 v[40:41], -v[10:11], v[22:23], 1.0
	v_fmac_f64_e32 v[22:23], v[22:23], v[40:41]
	s_delay_alu instid0(VALU_DEP_1) | instskip(NEXT) | instid1(VALU_DEP_1)
	v_mul_f64_e32 v[40:41], v[42:43], v[22:23]
	v_fma_f64 v[10:11], -v[10:11], v[40:41], v[42:43]
	s_delay_alu instid0(VALU_DEP_1) | instskip(SKIP_1) | instid1(VALU_DEP_2)
	v_div_fmas_f64 v[10:11], v[10:11], v[22:23], v[40:41]
	v_fma_f64 v[22:23], v[20:21], v[26:27], v[24:25]
	v_div_fixup_f64 v[8:9], v[10:11], v[8:9], 1.0
	v_fma_f64 v[10:11], -v[20:21], v[24:25], v[26:27]
	s_delay_alu instid0(VALU_DEP_2) | instskip(NEXT) | instid1(VALU_DEP_2)
	v_mul_f64_e32 v[20:21], v[22:23], v[8:9]
	v_mul_f64_e32 v[22:23], v[10:11], v[8:9]
.LBB208_95:                             ;   in Loop: Header=BB208_80 Depth=2
	s_lshl_b32 s29, s36, 4
	s_lshl_b32 s28, s28, 4
	s_add_co_i32 s36, s29, s38
	s_add_co_i32 s28, s29, s28
	s_add_co_i32 s37, s36, -16
	s_delay_alu instid0(SALU_CYCLE_1)
	v_dual_mov_b32 v8, s36 :: v_dual_mov_b32 v24, s37
	s_sub_co_i32 s36, s36, 32
	ds_store_b128 v38, v[20:23]
	ds_load_b128 v[8:11], v8
	ds_load_b128 v[24:27], v24
	s_wait_dscnt 0x1
	v_mul_f64_e32 v[40:41], v[14:15], v[10:11]
	v_mul_f64_e32 v[42:43], v[12:13], v[10:11]
	s_wait_dscnt 0x0
	v_mul_f64_e32 v[44:45], v[18:19], v[26:27]
	v_mul_f64_e32 v[26:27], v[16:17], v[26:27]
	s_delay_alu instid0(VALU_DEP_4) | instskip(NEXT) | instid1(VALU_DEP_4)
	v_fma_f64 v[40:41], v[12:13], v[8:9], -v[40:41]
	v_fmac_f64_e32 v[42:43], v[14:15], v[8:9]
	s_delay_alu instid0(VALU_DEP_4) | instskip(NEXT) | instid1(VALU_DEP_4)
	v_dual_fma_f64 v[16:17], v[16:17], v[24:25], -v[44:45] :: v_dual_mov_b32 v8, s36
	v_fmac_f64_e32 v[26:27], v[18:19], v[24:25]
	ds_load_b128 v[12:15], v8
	v_mov_b32_e32 v8, s28
	ds_load_b128 v[8:11], v8
	s_wait_dscnt 0x1
	v_mul_f64_e32 v[46:47], v[22:23], v[14:15]
	v_mul_f64_e32 v[14:15], v[20:21], v[14:15]
	v_add_f64_e64 v[4:5], v[4:5], -v[40:41]
	v_add_f64_e64 v[6:7], v[6:7], -v[42:43]
	s_wait_dscnt 0x0
	v_cmp_ngt_f64_e64 s28, |v[8:9]|, |v[10:11]|
	v_fma_f64 v[18:19], v[20:21], v[12:13], -v[46:47]
	v_fmac_f64_e32 v[14:15], v[22:23], v[12:13]
	v_add_f64_e64 v[4:5], v[4:5], -v[16:17]
	v_add_f64_e64 v[6:7], v[6:7], -v[26:27]
	s_and_b32 vcc_lo, exec_lo, s28
	s_mov_b32 s28, -1
	s_delay_alu instid0(VALU_DEP_2) | instskip(NEXT) | instid1(VALU_DEP_2)
	v_add_f64_e64 v[12:13], v[4:5], -v[18:19]
	v_add_f64_e64 v[14:15], v[6:7], -v[14:15]
                                        ; implicit-def: $vgpr6_vgpr7
	s_cbranch_vccz .LBB208_97
; %bb.96:                               ;   in Loop: Header=BB208_80 Depth=2
	v_div_scale_f64 v[4:5], null, v[10:11], v[10:11], v[8:9]
	v_div_scale_f64 v[18:19], vcc_lo, v[8:9], v[10:11], v[8:9]
	s_mov_b32 s28, 0
	v_rcp_f64_e32 v[6:7], v[4:5]
	v_nop
	s_delay_alu instid0(TRANS32_DEP_1) | instskip(NEXT) | instid1(VALU_DEP_1)
	v_fma_f64 v[16:17], -v[4:5], v[6:7], 1.0
	v_fmac_f64_e32 v[6:7], v[6:7], v[16:17]
	s_delay_alu instid0(VALU_DEP_1) | instskip(NEXT) | instid1(VALU_DEP_1)
	v_fma_f64 v[16:17], -v[4:5], v[6:7], 1.0
	v_fmac_f64_e32 v[6:7], v[6:7], v[16:17]
	s_delay_alu instid0(VALU_DEP_1) | instskip(NEXT) | instid1(VALU_DEP_1)
	v_mul_f64_e32 v[16:17], v[18:19], v[6:7]
	v_fma_f64 v[4:5], -v[4:5], v[16:17], v[18:19]
	s_delay_alu instid0(VALU_DEP_1) | instskip(NEXT) | instid1(VALU_DEP_1)
	v_div_fmas_f64 v[4:5], v[4:5], v[6:7], v[16:17]
	v_div_fixup_f64 v[4:5], v[4:5], v[10:11], v[8:9]
	s_delay_alu instid0(VALU_DEP_1) | instskip(NEXT) | instid1(VALU_DEP_1)
	v_fma_f64 v[6:7], v[8:9], v[4:5], v[10:11]
	v_div_scale_f64 v[16:17], null, v[6:7], v[6:7], 1.0
	v_div_scale_f64 v[22:23], vcc_lo, 1.0, v[6:7], 1.0
	s_delay_alu instid0(VALU_DEP_2) | instskip(SKIP_1) | instid1(TRANS32_DEP_1)
	v_rcp_f64_e32 v[18:19], v[16:17]
	v_nop
	v_fma_f64 v[20:21], -v[16:17], v[18:19], 1.0
	s_delay_alu instid0(VALU_DEP_1) | instskip(NEXT) | instid1(VALU_DEP_1)
	v_fmac_f64_e32 v[18:19], v[18:19], v[20:21]
	v_fma_f64 v[20:21], -v[16:17], v[18:19], 1.0
	s_delay_alu instid0(VALU_DEP_1) | instskip(NEXT) | instid1(VALU_DEP_1)
	v_fmac_f64_e32 v[18:19], v[18:19], v[20:21]
	v_mul_f64_e32 v[20:21], v[22:23], v[18:19]
	s_delay_alu instid0(VALU_DEP_1) | instskip(NEXT) | instid1(VALU_DEP_1)
	v_fma_f64 v[16:17], -v[16:17], v[20:21], v[22:23]
	v_div_fmas_f64 v[16:17], v[16:17], v[18:19], v[20:21]
	v_fma_f64 v[18:19], v[4:5], v[12:13], v[14:15]
	s_delay_alu instid0(VALU_DEP_2) | instskip(SKIP_1) | instid1(VALU_DEP_2)
	v_div_fixup_f64 v[6:7], v[16:17], v[6:7], 1.0
	v_fma_f64 v[16:17], v[4:5], v[14:15], -v[12:13]
	v_mul_f64_e32 v[4:5], v[18:19], v[6:7]
	s_delay_alu instid0(VALU_DEP_2)
	v_mul_f64_e32 v[6:7], v[16:17], v[6:7]
.LBB208_97:                             ;   in Loop: Header=BB208_80 Depth=2
	s_and_not1_b32 vcc_lo, exec_lo, s28
	s_cbranch_vccnz .LBB208_99
; %bb.98:                               ;   in Loop: Header=BB208_80 Depth=2
	v_div_scale_f64 v[4:5], null, v[8:9], v[8:9], v[10:11]
	v_div_scale_f64 v[18:19], vcc_lo, v[10:11], v[8:9], v[10:11]
	s_delay_alu instid0(VALU_DEP_2) | instskip(SKIP_1) | instid1(TRANS32_DEP_1)
	v_rcp_f64_e32 v[6:7], v[4:5]
	v_nop
	v_fma_f64 v[16:17], -v[4:5], v[6:7], 1.0
	s_delay_alu instid0(VALU_DEP_1) | instskip(NEXT) | instid1(VALU_DEP_1)
	v_fmac_f64_e32 v[6:7], v[6:7], v[16:17]
	v_fma_f64 v[16:17], -v[4:5], v[6:7], 1.0
	s_delay_alu instid0(VALU_DEP_1) | instskip(NEXT) | instid1(VALU_DEP_1)
	v_fmac_f64_e32 v[6:7], v[6:7], v[16:17]
	v_mul_f64_e32 v[16:17], v[18:19], v[6:7]
	s_delay_alu instid0(VALU_DEP_1) | instskip(NEXT) | instid1(VALU_DEP_1)
	v_fma_f64 v[4:5], -v[4:5], v[16:17], v[18:19]
	v_div_fmas_f64 v[4:5], v[4:5], v[6:7], v[16:17]
	s_delay_alu instid0(VALU_DEP_1) | instskip(NEXT) | instid1(VALU_DEP_1)
	v_div_fixup_f64 v[4:5], v[4:5], v[8:9], v[10:11]
	v_fmac_f64_e32 v[8:9], v[10:11], v[4:5]
	s_delay_alu instid0(VALU_DEP_1) | instskip(SKIP_1) | instid1(VALU_DEP_2)
	v_div_scale_f64 v[6:7], null, v[8:9], v[8:9], 1.0
	v_div_scale_f64 v[18:19], vcc_lo, 1.0, v[8:9], 1.0
	v_rcp_f64_e32 v[10:11], v[6:7]
	v_nop
	s_delay_alu instid0(TRANS32_DEP_1) | instskip(NEXT) | instid1(VALU_DEP_1)
	v_fma_f64 v[16:17], -v[6:7], v[10:11], 1.0
	v_fmac_f64_e32 v[10:11], v[10:11], v[16:17]
	s_delay_alu instid0(VALU_DEP_1) | instskip(NEXT) | instid1(VALU_DEP_1)
	v_fma_f64 v[16:17], -v[6:7], v[10:11], 1.0
	v_fmac_f64_e32 v[10:11], v[10:11], v[16:17]
	s_delay_alu instid0(VALU_DEP_1) | instskip(NEXT) | instid1(VALU_DEP_1)
	v_mul_f64_e32 v[16:17], v[18:19], v[10:11]
	v_fma_f64 v[6:7], -v[6:7], v[16:17], v[18:19]
	s_delay_alu instid0(VALU_DEP_1) | instskip(SKIP_1) | instid1(VALU_DEP_2)
	v_div_fmas_f64 v[6:7], v[6:7], v[10:11], v[16:17]
	v_fma_f64 v[10:11], v[4:5], v[14:15], v[12:13]
	v_div_fixup_f64 v[6:7], v[6:7], v[8:9], 1.0
	v_fma_f64 v[8:9], -v[4:5], v[12:13], v[14:15]
	s_delay_alu instid0(VALU_DEP_2) | instskip(NEXT) | instid1(VALU_DEP_2)
	v_mul_f64_e32 v[4:5], v[10:11], v[6:7]
	v_mul_f64_e32 v[6:7], v[8:9], v[6:7]
.LBB208_99:                             ;   in Loop: Header=BB208_80 Depth=2
	s_add_co_i32 s28, s27, -4
	s_addk_co_i32 s26, 0xfe00
	s_cmp_lt_i32 s27, 7
	ds_store_b128 v37, v[4:7]
	s_cbranch_scc1 .LBB208_101
; %bb.100:                              ;   in Loop: Header=BB208_80 Depth=2
	s_mov_b32 s27, s28
	s_branch .LBB208_80
.LBB208_101:                            ;   in Loop: Header=BB208_3 Depth=1
	s_cmp_lt_i32 s28, 0
	s_cbranch_scc1 .LBB208_110
; %bb.102:                              ;   in Loop: Header=BB208_3 Depth=1
	s_lshl_b32 s26, s28, 7
	s_delay_alu instid0(SALU_CYCLE_1)
	s_add_co_i32 s26, s23, s26
	s_branch .LBB208_104
.LBB208_103:                            ;   in Loop: Header=BB208_104 Depth=2
	v_sub_co_u32 v4, s27, s28, 1
	s_and_b32 vcc_lo, exec_lo, s27
	s_addk_co_i32 s26, 0xff80
	ds_store_b128 v16, v[12:15]
	v_readfirstlane_b32 s28, v4
	s_cbranch_vccnz .LBB208_110
.LBB208_104:                            ;   Parent Loop BB208_3 Depth=1
                                        ; =>  This Loop Header: Depth=2
                                        ;       Child Loop BB208_105 Depth 3
	v_lshl_add_u32 v16, s28, 7, v34
	v_mov_b32_e32 v8, v29
	s_cmp_le_i32 s33, s28
	s_mov_b32 s27, s26
	s_mov_b32 s29, s33
	ds_load_b128 v[4:7], v16
	s_cbranch_scc1 .LBB208_106
.LBB208_105:                            ;   Parent Loop BB208_3 Depth=1
                                        ;     Parent Loop BB208_104 Depth=2
                                        ; =>    This Inner Loop Header: Depth=3
	v_mov_b32_e32 v9, s27
	s_add_co_i32 s29, s29, -1
	s_add_co_i32 s27, s27, -16
	s_cmp_le_u32 s29, s28
	ds_load_b128 v[10:13], v8
	ds_load_b128 v[18:21], v9
	v_add_nc_u32_e32 v8, 0xffffff80, v8
	s_wait_dscnt 0x0
	v_mul_f64_e32 v[14:15], v[20:21], v[12:13]
	v_mul_f64_e32 v[12:13], v[18:19], v[12:13]
	s_delay_alu instid0(VALU_DEP_2) | instskip(NEXT) | instid1(VALU_DEP_2)
	v_fma_f64 v[14:15], v[18:19], v[10:11], -v[14:15]
	v_fmac_f64_e32 v[12:13], v[20:21], v[10:11]
	s_delay_alu instid0(VALU_DEP_2) | instskip(NEXT) | instid1(VALU_DEP_2)
	v_add_f64_e64 v[4:5], v[4:5], -v[14:15]
	v_add_f64_e64 v[6:7], v[6:7], -v[12:13]
	s_cbranch_scc0 .LBB208_105
.LBB208_106:                            ;   in Loop: Header=BB208_104 Depth=2
	s_mul_i32 s27, s28, 0x90
                                        ; implicit-def: $vgpr12_vgpr13
	s_delay_alu instid0(SALU_CYCLE_1)
	v_mov_b32_e32 v8, s27
	ds_load_b128 v[8:11], v8
	s_wait_dscnt 0x0
	v_cmp_ngt_f64_e64 s27, |v[8:9]|, |v[10:11]|
	s_and_b32 vcc_lo, exec_lo, s27
	s_mov_b32 s27, -1
	s_cbranch_vccz .LBB208_108
; %bb.107:                              ;   in Loop: Header=BB208_104 Depth=2
	v_div_scale_f64 v[12:13], null, v[10:11], v[10:11], v[8:9]
	v_div_scale_f64 v[20:21], vcc_lo, v[8:9], v[10:11], v[8:9]
	s_mov_b32 s27, 0
	v_rcp_f64_e32 v[14:15], v[12:13]
	v_nop
	s_delay_alu instid0(TRANS32_DEP_1) | instskip(NEXT) | instid1(VALU_DEP_1)
	v_fma_f64 v[18:19], -v[12:13], v[14:15], 1.0
	v_fmac_f64_e32 v[14:15], v[14:15], v[18:19]
	s_delay_alu instid0(VALU_DEP_1) | instskip(NEXT) | instid1(VALU_DEP_1)
	v_fma_f64 v[18:19], -v[12:13], v[14:15], 1.0
	v_fmac_f64_e32 v[14:15], v[14:15], v[18:19]
	s_delay_alu instid0(VALU_DEP_1) | instskip(NEXT) | instid1(VALU_DEP_1)
	v_mul_f64_e32 v[18:19], v[20:21], v[14:15]
	v_fma_f64 v[12:13], -v[12:13], v[18:19], v[20:21]
	s_delay_alu instid0(VALU_DEP_1) | instskip(NEXT) | instid1(VALU_DEP_1)
	v_div_fmas_f64 v[12:13], v[12:13], v[14:15], v[18:19]
	v_div_fixup_f64 v[12:13], v[12:13], v[10:11], v[8:9]
	s_delay_alu instid0(VALU_DEP_1) | instskip(NEXT) | instid1(VALU_DEP_1)
	v_fma_f64 v[14:15], v[8:9], v[12:13], v[10:11]
	v_div_scale_f64 v[18:19], null, v[14:15], v[14:15], 1.0
	v_div_scale_f64 v[24:25], vcc_lo, 1.0, v[14:15], 1.0
	s_delay_alu instid0(VALU_DEP_2) | instskip(SKIP_1) | instid1(TRANS32_DEP_1)
	v_rcp_f64_e32 v[20:21], v[18:19]
	v_nop
	v_fma_f64 v[22:23], -v[18:19], v[20:21], 1.0
	s_delay_alu instid0(VALU_DEP_1) | instskip(NEXT) | instid1(VALU_DEP_1)
	v_fmac_f64_e32 v[20:21], v[20:21], v[22:23]
	v_fma_f64 v[22:23], -v[18:19], v[20:21], 1.0
	s_delay_alu instid0(VALU_DEP_1) | instskip(NEXT) | instid1(VALU_DEP_1)
	v_fmac_f64_e32 v[20:21], v[20:21], v[22:23]
	v_mul_f64_e32 v[22:23], v[24:25], v[20:21]
	s_delay_alu instid0(VALU_DEP_1) | instskip(NEXT) | instid1(VALU_DEP_1)
	v_fma_f64 v[18:19], -v[18:19], v[22:23], v[24:25]
	v_div_fmas_f64 v[18:19], v[18:19], v[20:21], v[22:23]
	v_fma_f64 v[20:21], v[4:5], v[12:13], v[6:7]
	s_delay_alu instid0(VALU_DEP_2) | instskip(SKIP_1) | instid1(VALU_DEP_2)
	v_div_fixup_f64 v[14:15], v[18:19], v[14:15], 1.0
	v_fma_f64 v[18:19], v[6:7], v[12:13], -v[4:5]
	v_mul_f64_e32 v[12:13], v[20:21], v[14:15]
	s_delay_alu instid0(VALU_DEP_2)
	v_mul_f64_e32 v[14:15], v[18:19], v[14:15]
.LBB208_108:                            ;   in Loop: Header=BB208_104 Depth=2
	s_and_not1_b32 vcc_lo, exec_lo, s27
	s_cbranch_vccnz .LBB208_103
; %bb.109:                              ;   in Loop: Header=BB208_104 Depth=2
	v_div_scale_f64 v[12:13], null, v[8:9], v[8:9], v[10:11]
	v_div_scale_f64 v[20:21], vcc_lo, v[10:11], v[8:9], v[10:11]
	s_delay_alu instid0(VALU_DEP_2) | instskip(SKIP_1) | instid1(TRANS32_DEP_1)
	v_rcp_f64_e32 v[14:15], v[12:13]
	v_nop
	v_fma_f64 v[18:19], -v[12:13], v[14:15], 1.0
	s_delay_alu instid0(VALU_DEP_1) | instskip(NEXT) | instid1(VALU_DEP_1)
	v_fmac_f64_e32 v[14:15], v[14:15], v[18:19]
	v_fma_f64 v[18:19], -v[12:13], v[14:15], 1.0
	s_delay_alu instid0(VALU_DEP_1) | instskip(NEXT) | instid1(VALU_DEP_1)
	v_fmac_f64_e32 v[14:15], v[14:15], v[18:19]
	v_mul_f64_e32 v[18:19], v[20:21], v[14:15]
	s_delay_alu instid0(VALU_DEP_1) | instskip(NEXT) | instid1(VALU_DEP_1)
	v_fma_f64 v[12:13], -v[12:13], v[18:19], v[20:21]
	v_div_fmas_f64 v[12:13], v[12:13], v[14:15], v[18:19]
	s_delay_alu instid0(VALU_DEP_1) | instskip(NEXT) | instid1(VALU_DEP_1)
	v_div_fixup_f64 v[12:13], v[12:13], v[8:9], v[10:11]
	v_fmac_f64_e32 v[8:9], v[10:11], v[12:13]
	s_delay_alu instid0(VALU_DEP_1) | instskip(SKIP_1) | instid1(VALU_DEP_2)
	v_div_scale_f64 v[10:11], null, v[8:9], v[8:9], 1.0
	v_div_scale_f64 v[20:21], vcc_lo, 1.0, v[8:9], 1.0
	v_rcp_f64_e32 v[14:15], v[10:11]
	v_nop
	s_delay_alu instid0(TRANS32_DEP_1) | instskip(NEXT) | instid1(VALU_DEP_1)
	v_fma_f64 v[18:19], -v[10:11], v[14:15], 1.0
	v_fmac_f64_e32 v[14:15], v[14:15], v[18:19]
	s_delay_alu instid0(VALU_DEP_1) | instskip(NEXT) | instid1(VALU_DEP_1)
	v_fma_f64 v[18:19], -v[10:11], v[14:15], 1.0
	v_fmac_f64_e32 v[14:15], v[14:15], v[18:19]
	s_delay_alu instid0(VALU_DEP_1) | instskip(NEXT) | instid1(VALU_DEP_1)
	v_mul_f64_e32 v[18:19], v[20:21], v[14:15]
	v_fma_f64 v[10:11], -v[10:11], v[18:19], v[20:21]
	s_delay_alu instid0(VALU_DEP_1) | instskip(SKIP_2) | instid1(VALU_DEP_3)
	v_div_fmas_f64 v[10:11], v[10:11], v[14:15], v[18:19]
	v_fma_f64 v[14:15], v[6:7], v[12:13], v[4:5]
	v_fma_f64 v[4:5], -v[4:5], v[12:13], v[6:7]
	v_div_fixup_f64 v[8:9], v[10:11], v[8:9], 1.0
	s_delay_alu instid0(VALU_DEP_1) | instskip(NEXT) | instid1(VALU_DEP_3)
	v_mul_f64_e32 v[12:13], v[14:15], v[8:9]
	v_mul_f64_e32 v[14:15], v[4:5], v[8:9]
	s_branch .LBB208_103
.LBB208_110:                            ;   in Loop: Header=BB208_3 Depth=1
	s_mov_b32 s26, 0
.LBB208_111:                            ;   in Loop: Header=BB208_3 Depth=1
	s_delay_alu instid0(SALU_CYCLE_1)
	s_and_not1_b32 vcc_lo, exec_lo, s26
	s_cbranch_vccnz .LBB208_143
; %bb.112:                              ;   in Loop: Header=BB208_3 Depth=1
	s_and_not1_b32 vcc_lo, exec_lo, s34
	s_mov_b32 s28, 0
	s_cbranch_vccnz .LBB208_134
; %bb.113:                              ;   in Loop: Header=BB208_3 Depth=1
	s_mov_b32 s26, 0
	s_mov_b32 s27, 0
.LBB208_114:                            ;   Parent Loop BB208_3 Depth=1
                                        ; =>  This Loop Header: Depth=2
                                        ;       Child Loop BB208_115 Depth 3
	s_delay_alu instid0(SALU_CYCLE_1)
	s_or_b32 s37, s27, 1
	v_lshl_add_u32 v40, s27, 7, v34
	s_or_b32 s29, s27, 2
	s_or_b32 s28, s27, 3
	v_lshl_add_u32 v39, s37, 7, v34
	v_lshl_add_u32 v38, s29, 7, v34
	;; [unrolled: 1-line block ×3, first 2 shown]
	ds_load_b128 v[20:23], v40
	ds_load_b128 v[16:19], v39
	;; [unrolled: 1-line block ×4, first 2 shown]
	v_mov_b32_e32 v12, v34
	s_cmp_eq_u32 s27, 0
	s_mov_b32 s36, s26
	s_mov_b32 s38, s27
	s_cbranch_scc1 .LBB208_116
.LBB208_115:                            ;   Parent Loop BB208_3 Depth=1
                                        ;     Parent Loop BB208_114 Depth=2
                                        ; =>    This Inner Loop Header: Depth=3
	ds_load_b128 v[24:27], v12
	v_dual_mov_b32 v13, s36 :: v_dual_add_nc_u32 v12, 0x80, v12
	s_add_co_i32 s38, s38, -1
	s_add_co_i32 s36, s36, 16
	s_cmp_eq_u32 s38, 0
	ds_load_b128 v[42:45], v13
	s_wait_dscnt 0x0
	v_mul_f64_e32 v[14:15], v[26:27], v[44:45]
	v_mul_f64_e32 v[44:45], v[24:25], v[44:45]
	s_delay_alu instid0(VALU_DEP_2) | instskip(NEXT) | instid1(VALU_DEP_2)
	v_fma_f64 v[14:15], v[24:25], v[42:43], -v[14:15]
	v_fmac_f64_e32 v[44:45], v[26:27], v[42:43]
	s_delay_alu instid0(VALU_DEP_2) | instskip(NEXT) | instid1(VALU_DEP_2)
	v_add_f64_e64 v[20:21], v[20:21], -v[14:15]
	v_add_f64_e64 v[22:23], v[22:23], -v[44:45]
	ds_load_b128 v[42:45], v13 offset:128
	s_wait_dscnt 0x0
	v_mul_f64_e32 v[14:15], v[26:27], v[44:45]
	v_mul_f64_e32 v[44:45], v[24:25], v[44:45]
	s_delay_alu instid0(VALU_DEP_2) | instskip(NEXT) | instid1(VALU_DEP_2)
	v_fma_f64 v[14:15], v[24:25], v[42:43], -v[14:15]
	v_fmac_f64_e32 v[44:45], v[26:27], v[42:43]
	s_delay_alu instid0(VALU_DEP_2) | instskip(NEXT) | instid1(VALU_DEP_2)
	v_add_f64_e64 v[16:17], v[16:17], -v[14:15]
	v_add_f64_e64 v[18:19], v[18:19], -v[44:45]
	ds_load_b128 v[42:45], v13 offset:256
	;; [unrolled: 10-line block ×3, first 2 shown]
	s_wait_dscnt 0x0
	v_mul_f64_e32 v[14:15], v[26:27], v[44:45]
	s_delay_alu instid0(VALU_DEP_1) | instskip(SKIP_1) | instid1(VALU_DEP_2)
	v_fma_f64 v[14:15], v[24:25], v[42:43], -v[14:15]
	v_mul_f64_e32 v[24:25], v[24:25], v[44:45]
	v_add_f64_e64 v[4:5], v[4:5], -v[14:15]
	s_delay_alu instid0(VALU_DEP_2) | instskip(NEXT) | instid1(VALU_DEP_1)
	v_fmac_f64_e32 v[24:25], v[26:27], v[42:43]
	v_add_f64_e64 v[6:7], v[6:7], -v[24:25]
	s_cbranch_scc0 .LBB208_115
.LBB208_116:                            ;   in Loop: Header=BB208_114 Depth=2
	s_mul_i32 s40, s27, 0x90
	s_lshl_b32 s38, s37, 3
	v_mov_b32_e32 v12, s40
	s_lshl_b32 s39, s29, 3
	s_lshl_b32 s36, s28, 3
	ds_load_b128 v[24:27], v12
                                        ; implicit-def: $vgpr14_vgpr15
	s_wait_dscnt 0x0
	v_cmp_ngt_f64_e64 s40, |v[24:25]|, |v[26:27]|
	s_and_b32 vcc_lo, exec_lo, s40
	s_mov_b32 s40, -1
	s_cbranch_vccz .LBB208_118
; %bb.117:                              ;   in Loop: Header=BB208_114 Depth=2
	v_div_scale_f64 v[12:13], null, v[26:27], v[26:27], v[24:25]
	v_div_scale_f64 v[44:45], vcc_lo, v[24:25], v[26:27], v[24:25]
	s_mov_b32 s40, 0
	v_rcp_f64_e32 v[14:15], v[12:13]
	v_nop
	s_delay_alu instid0(TRANS32_DEP_1) | instskip(NEXT) | instid1(VALU_DEP_1)
	v_fma_f64 v[42:43], -v[12:13], v[14:15], 1.0
	v_fmac_f64_e32 v[14:15], v[14:15], v[42:43]
	s_delay_alu instid0(VALU_DEP_1) | instskip(NEXT) | instid1(VALU_DEP_1)
	v_fma_f64 v[42:43], -v[12:13], v[14:15], 1.0
	v_fmac_f64_e32 v[14:15], v[14:15], v[42:43]
	s_delay_alu instid0(VALU_DEP_1) | instskip(NEXT) | instid1(VALU_DEP_1)
	v_mul_f64_e32 v[42:43], v[44:45], v[14:15]
	v_fma_f64 v[12:13], -v[12:13], v[42:43], v[44:45]
	s_delay_alu instid0(VALU_DEP_1) | instskip(NEXT) | instid1(VALU_DEP_1)
	v_div_fmas_f64 v[12:13], v[12:13], v[14:15], v[42:43]
	v_div_fixup_f64 v[12:13], v[12:13], v[26:27], v[24:25]
	s_delay_alu instid0(VALU_DEP_1) | instskip(NEXT) | instid1(VALU_DEP_1)
	v_fma_f64 v[14:15], v[24:25], v[12:13], v[26:27]
	v_div_scale_f64 v[42:43], null, v[14:15], v[14:15], 1.0
	v_div_scale_f64 v[48:49], vcc_lo, 1.0, v[14:15], 1.0
	s_delay_alu instid0(VALU_DEP_2) | instskip(SKIP_1) | instid1(TRANS32_DEP_1)
	v_rcp_f64_e32 v[44:45], v[42:43]
	v_nop
	v_fma_f64 v[46:47], -v[42:43], v[44:45], 1.0
	s_delay_alu instid0(VALU_DEP_1) | instskip(NEXT) | instid1(VALU_DEP_1)
	v_fmac_f64_e32 v[44:45], v[44:45], v[46:47]
	v_fma_f64 v[46:47], -v[42:43], v[44:45], 1.0
	s_delay_alu instid0(VALU_DEP_1) | instskip(NEXT) | instid1(VALU_DEP_1)
	v_fmac_f64_e32 v[44:45], v[44:45], v[46:47]
	v_mul_f64_e32 v[46:47], v[48:49], v[44:45]
	s_delay_alu instid0(VALU_DEP_1) | instskip(NEXT) | instid1(VALU_DEP_1)
	v_fma_f64 v[42:43], -v[42:43], v[46:47], v[48:49]
	v_div_fmas_f64 v[42:43], v[42:43], v[44:45], v[46:47]
	v_fma_f64 v[44:45], v[20:21], v[12:13], v[22:23]
	s_delay_alu instid0(VALU_DEP_2) | instskip(SKIP_1) | instid1(VALU_DEP_2)
	v_div_fixup_f64 v[14:15], v[42:43], v[14:15], 1.0
	v_fma_f64 v[42:43], v[22:23], v[12:13], -v[20:21]
	v_mul_f64_e32 v[12:13], v[44:45], v[14:15]
	s_delay_alu instid0(VALU_DEP_2)
	v_mul_f64_e32 v[14:15], v[42:43], v[14:15]
.LBB208_118:                            ;   in Loop: Header=BB208_114 Depth=2
	s_and_not1_b32 vcc_lo, exec_lo, s40
	s_cbranch_vccnz .LBB208_120
; %bb.119:                              ;   in Loop: Header=BB208_114 Depth=2
	v_div_scale_f64 v[12:13], null, v[24:25], v[24:25], v[26:27]
	v_div_scale_f64 v[44:45], vcc_lo, v[26:27], v[24:25], v[26:27]
	s_delay_alu instid0(VALU_DEP_2) | instskip(SKIP_1) | instid1(TRANS32_DEP_1)
	v_rcp_f64_e32 v[14:15], v[12:13]
	v_nop
	v_fma_f64 v[42:43], -v[12:13], v[14:15], 1.0
	s_delay_alu instid0(VALU_DEP_1) | instskip(NEXT) | instid1(VALU_DEP_1)
	v_fmac_f64_e32 v[14:15], v[14:15], v[42:43]
	v_fma_f64 v[42:43], -v[12:13], v[14:15], 1.0
	s_delay_alu instid0(VALU_DEP_1) | instskip(NEXT) | instid1(VALU_DEP_1)
	v_fmac_f64_e32 v[14:15], v[14:15], v[42:43]
	v_mul_f64_e32 v[42:43], v[44:45], v[14:15]
	s_delay_alu instid0(VALU_DEP_1) | instskip(NEXT) | instid1(VALU_DEP_1)
	v_fma_f64 v[12:13], -v[12:13], v[42:43], v[44:45]
	v_div_fmas_f64 v[12:13], v[12:13], v[14:15], v[42:43]
	s_delay_alu instid0(VALU_DEP_1) | instskip(NEXT) | instid1(VALU_DEP_1)
	v_div_fixup_f64 v[12:13], v[12:13], v[24:25], v[26:27]
	v_fmac_f64_e32 v[24:25], v[26:27], v[12:13]
	s_delay_alu instid0(VALU_DEP_1) | instskip(SKIP_1) | instid1(VALU_DEP_2)
	v_div_scale_f64 v[14:15], null, v[24:25], v[24:25], 1.0
	v_div_scale_f64 v[44:45], vcc_lo, 1.0, v[24:25], 1.0
	v_rcp_f64_e32 v[26:27], v[14:15]
	v_nop
	s_delay_alu instid0(TRANS32_DEP_1) | instskip(NEXT) | instid1(VALU_DEP_1)
	v_fma_f64 v[42:43], -v[14:15], v[26:27], 1.0
	v_fmac_f64_e32 v[26:27], v[26:27], v[42:43]
	s_delay_alu instid0(VALU_DEP_1) | instskip(NEXT) | instid1(VALU_DEP_1)
	v_fma_f64 v[42:43], -v[14:15], v[26:27], 1.0
	v_fmac_f64_e32 v[26:27], v[26:27], v[42:43]
	s_delay_alu instid0(VALU_DEP_1) | instskip(NEXT) | instid1(VALU_DEP_1)
	v_mul_f64_e32 v[42:43], v[44:45], v[26:27]
	v_fma_f64 v[14:15], -v[14:15], v[42:43], v[44:45]
	s_delay_alu instid0(VALU_DEP_1) | instskip(SKIP_2) | instid1(VALU_DEP_3)
	v_div_fmas_f64 v[14:15], v[14:15], v[26:27], v[42:43]
	v_fma_f64 v[26:27], v[22:23], v[12:13], v[20:21]
	v_fma_f64 v[20:21], -v[20:21], v[12:13], v[22:23]
	v_div_fixup_f64 v[14:15], v[14:15], v[24:25], 1.0
	s_delay_alu instid0(VALU_DEP_1) | instskip(NEXT) | instid1(VALU_DEP_3)
	v_mul_f64_e32 v[12:13], v[26:27], v[14:15]
	v_mul_f64_e32 v[14:15], v[20:21], v[14:15]
.LBB208_120:                            ;   in Loop: Header=BB208_114 Depth=2
	s_lshl_b32 s40, s38, 4
	s_lshl_b32 s38, s27, 4
	;; [unrolled: 1-line block ×3, first 2 shown]
	s_add_co_i32 s41, s40, s38
	s_add_co_i32 s37, s40, s37
	v_mov_b32_e32 v20, s41
	ds_store_b128 v40, v[12:15]
	ds_load_b128 v[24:27], v20
	s_wait_dscnt 0x0
	v_dual_mul_f64 v[42:43], v[14:15], v[26:27] :: v_dual_mov_b32 v20, s37
	v_mul_f64_e32 v[26:27], v[12:13], v[26:27]
	ds_load_b128 v[20:23], v20
	s_wait_dscnt 0x0
	v_cmp_ngt_f64_e64 s37, |v[20:21]|, |v[22:23]|
	v_fma_f64 v[42:43], v[12:13], v[24:25], -v[42:43]
	v_fmac_f64_e32 v[26:27], v[14:15], v[24:25]
	s_and_b32 vcc_lo, exec_lo, s37
	s_mov_b32 s37, -1
	s_delay_alu instid0(VALU_DEP_2) | instskip(NEXT) | instid1(VALU_DEP_2)
	v_add_f64_e64 v[24:25], v[16:17], -v[42:43]
	v_add_f64_e64 v[26:27], v[18:19], -v[26:27]
                                        ; implicit-def: $vgpr18_vgpr19
	s_cbranch_vccz .LBB208_122
; %bb.121:                              ;   in Loop: Header=BB208_114 Depth=2
	v_div_scale_f64 v[16:17], null, v[22:23], v[22:23], v[20:21]
	v_div_scale_f64 v[42:43], vcc_lo, v[20:21], v[22:23], v[20:21]
	s_mov_b32 s37, 0
	v_rcp_f64_e32 v[18:19], v[16:17]
	v_nop
	s_delay_alu instid0(TRANS32_DEP_1) | instskip(NEXT) | instid1(VALU_DEP_1)
	v_fma_f64 v[40:41], -v[16:17], v[18:19], 1.0
	v_fmac_f64_e32 v[18:19], v[18:19], v[40:41]
	s_delay_alu instid0(VALU_DEP_1) | instskip(NEXT) | instid1(VALU_DEP_1)
	v_fma_f64 v[40:41], -v[16:17], v[18:19], 1.0
	v_fmac_f64_e32 v[18:19], v[18:19], v[40:41]
	s_delay_alu instid0(VALU_DEP_1) | instskip(NEXT) | instid1(VALU_DEP_1)
	v_mul_f64_e32 v[40:41], v[42:43], v[18:19]
	v_fma_f64 v[16:17], -v[16:17], v[40:41], v[42:43]
	s_delay_alu instid0(VALU_DEP_1) | instskip(NEXT) | instid1(VALU_DEP_1)
	v_div_fmas_f64 v[16:17], v[16:17], v[18:19], v[40:41]
	v_div_fixup_f64 v[16:17], v[16:17], v[22:23], v[20:21]
	s_delay_alu instid0(VALU_DEP_1) | instskip(NEXT) | instid1(VALU_DEP_1)
	v_fma_f64 v[18:19], v[20:21], v[16:17], v[22:23]
	v_div_scale_f64 v[40:41], null, v[18:19], v[18:19], 1.0
	v_div_scale_f64 v[46:47], vcc_lo, 1.0, v[18:19], 1.0
	s_delay_alu instid0(VALU_DEP_2) | instskip(SKIP_1) | instid1(TRANS32_DEP_1)
	v_rcp_f64_e32 v[42:43], v[40:41]
	v_nop
	v_fma_f64 v[44:45], -v[40:41], v[42:43], 1.0
	s_delay_alu instid0(VALU_DEP_1) | instskip(NEXT) | instid1(VALU_DEP_1)
	v_fmac_f64_e32 v[42:43], v[42:43], v[44:45]
	v_fma_f64 v[44:45], -v[40:41], v[42:43], 1.0
	s_delay_alu instid0(VALU_DEP_1) | instskip(NEXT) | instid1(VALU_DEP_1)
	v_fmac_f64_e32 v[42:43], v[42:43], v[44:45]
	v_mul_f64_e32 v[44:45], v[46:47], v[42:43]
	s_delay_alu instid0(VALU_DEP_1) | instskip(NEXT) | instid1(VALU_DEP_1)
	v_fma_f64 v[40:41], -v[40:41], v[44:45], v[46:47]
	v_div_fmas_f64 v[40:41], v[40:41], v[42:43], v[44:45]
	v_fma_f64 v[42:43], v[16:17], v[24:25], v[26:27]
	s_delay_alu instid0(VALU_DEP_2) | instskip(SKIP_1) | instid1(VALU_DEP_2)
	v_div_fixup_f64 v[18:19], v[40:41], v[18:19], 1.0
	v_fma_f64 v[40:41], v[16:17], v[26:27], -v[24:25]
	v_mul_f64_e32 v[16:17], v[42:43], v[18:19]
	s_delay_alu instid0(VALU_DEP_2)
	v_mul_f64_e32 v[18:19], v[40:41], v[18:19]
.LBB208_122:                            ;   in Loop: Header=BB208_114 Depth=2
	s_and_not1_b32 vcc_lo, exec_lo, s37
	s_cbranch_vccnz .LBB208_124
; %bb.123:                              ;   in Loop: Header=BB208_114 Depth=2
	v_div_scale_f64 v[16:17], null, v[20:21], v[20:21], v[22:23]
	v_div_scale_f64 v[42:43], vcc_lo, v[22:23], v[20:21], v[22:23]
	s_delay_alu instid0(VALU_DEP_2) | instskip(SKIP_1) | instid1(TRANS32_DEP_1)
	v_rcp_f64_e32 v[18:19], v[16:17]
	v_nop
	v_fma_f64 v[40:41], -v[16:17], v[18:19], 1.0
	s_delay_alu instid0(VALU_DEP_1) | instskip(NEXT) | instid1(VALU_DEP_1)
	v_fmac_f64_e32 v[18:19], v[18:19], v[40:41]
	v_fma_f64 v[40:41], -v[16:17], v[18:19], 1.0
	s_delay_alu instid0(VALU_DEP_1) | instskip(NEXT) | instid1(VALU_DEP_1)
	v_fmac_f64_e32 v[18:19], v[18:19], v[40:41]
	v_mul_f64_e32 v[40:41], v[42:43], v[18:19]
	s_delay_alu instid0(VALU_DEP_1) | instskip(NEXT) | instid1(VALU_DEP_1)
	v_fma_f64 v[16:17], -v[16:17], v[40:41], v[42:43]
	v_div_fmas_f64 v[16:17], v[16:17], v[18:19], v[40:41]
	s_delay_alu instid0(VALU_DEP_1) | instskip(NEXT) | instid1(VALU_DEP_1)
	v_div_fixup_f64 v[16:17], v[16:17], v[20:21], v[22:23]
	v_fmac_f64_e32 v[20:21], v[22:23], v[16:17]
	s_delay_alu instid0(VALU_DEP_1) | instskip(SKIP_1) | instid1(VALU_DEP_2)
	v_div_scale_f64 v[18:19], null, v[20:21], v[20:21], 1.0
	v_div_scale_f64 v[42:43], vcc_lo, 1.0, v[20:21], 1.0
	v_rcp_f64_e32 v[22:23], v[18:19]
	v_nop
	s_delay_alu instid0(TRANS32_DEP_1) | instskip(NEXT) | instid1(VALU_DEP_1)
	v_fma_f64 v[40:41], -v[18:19], v[22:23], 1.0
	v_fmac_f64_e32 v[22:23], v[22:23], v[40:41]
	s_delay_alu instid0(VALU_DEP_1) | instskip(NEXT) | instid1(VALU_DEP_1)
	v_fma_f64 v[40:41], -v[18:19], v[22:23], 1.0
	v_fmac_f64_e32 v[22:23], v[22:23], v[40:41]
	s_delay_alu instid0(VALU_DEP_1) | instskip(NEXT) | instid1(VALU_DEP_1)
	v_mul_f64_e32 v[40:41], v[42:43], v[22:23]
	v_fma_f64 v[18:19], -v[18:19], v[40:41], v[42:43]
	s_delay_alu instid0(VALU_DEP_1) | instskip(SKIP_1) | instid1(VALU_DEP_2)
	v_div_fmas_f64 v[18:19], v[18:19], v[22:23], v[40:41]
	v_fma_f64 v[22:23], v[16:17], v[26:27], v[24:25]
	v_div_fixup_f64 v[18:19], v[18:19], v[20:21], 1.0
	v_fma_f64 v[20:21], -v[16:17], v[24:25], v[26:27]
	s_delay_alu instid0(VALU_DEP_2) | instskip(NEXT) | instid1(VALU_DEP_2)
	v_mul_f64_e32 v[16:17], v[22:23], v[18:19]
	v_mul_f64_e32 v[18:19], v[20:21], v[18:19]
.LBB208_124:                            ;   in Loop: Header=BB208_114 Depth=2
	s_lshl_b32 s37, s39, 4
	s_lshl_b32 s29, s29, 4
	s_add_co_i32 s39, s37, s38
	s_add_co_i32 s29, s37, s29
	v_mov_b32_e32 v24, s39
	ds_load_b128 v[20:23], v24
	ds_load_b128 v[24:27], v24 offset:16
	ds_store_b128 v39, v[16:19]
	s_wait_dscnt 0x2
	v_mul_f64_e32 v[40:41], v[14:15], v[22:23]
	v_mul_f64_e32 v[22:23], v[12:13], v[22:23]
	s_wait_dscnt 0x1
	v_mul_f64_e32 v[42:43], v[18:19], v[26:27]
	v_mul_f64_e32 v[26:27], v[16:17], v[26:27]
	s_delay_alu instid0(VALU_DEP_4) | instskip(NEXT) | instid1(VALU_DEP_4)
	v_fma_f64 v[40:41], v[12:13], v[20:21], -v[40:41]
	v_fmac_f64_e32 v[22:23], v[14:15], v[20:21]
	s_delay_alu instid0(VALU_DEP_4) | instskip(NEXT) | instid1(VALU_DEP_4)
	v_fma_f64 v[20:21], v[16:17], v[24:25], -v[42:43]
	v_fmac_f64_e32 v[26:27], v[18:19], v[24:25]
	s_delay_alu instid0(VALU_DEP_4) | instskip(NEXT) | instid1(VALU_DEP_4)
	v_add_f64_e64 v[24:25], v[8:9], -v[40:41]
	v_dual_add_f64 v[22:23], v[10:11], -v[22:23] :: v_dual_mov_b32 v8, s29
	ds_load_b128 v[8:11], v8
	s_wait_dscnt 0x0
	v_cmp_ngt_f64_e64 s29, |v[8:9]|, |v[10:11]|
	v_add_f64_e64 v[24:25], v[24:25], -v[20:21]
	v_add_f64_e64 v[26:27], v[22:23], -v[26:27]
                                        ; implicit-def: $vgpr22_vgpr23
	s_and_b32 vcc_lo, exec_lo, s29
	s_mov_b32 s29, -1
	s_cbranch_vccz .LBB208_126
; %bb.125:                              ;   in Loop: Header=BB208_114 Depth=2
	v_div_scale_f64 v[20:21], null, v[10:11], v[10:11], v[8:9]
	v_div_scale_f64 v[42:43], vcc_lo, v[8:9], v[10:11], v[8:9]
	s_mov_b32 s29, 0
	v_rcp_f64_e32 v[22:23], v[20:21]
	v_nop
	s_delay_alu instid0(TRANS32_DEP_1) | instskip(NEXT) | instid1(VALU_DEP_1)
	v_fma_f64 v[40:41], -v[20:21], v[22:23], 1.0
	v_fmac_f64_e32 v[22:23], v[22:23], v[40:41]
	s_delay_alu instid0(VALU_DEP_1) | instskip(NEXT) | instid1(VALU_DEP_1)
	v_fma_f64 v[40:41], -v[20:21], v[22:23], 1.0
	v_fmac_f64_e32 v[22:23], v[22:23], v[40:41]
	s_delay_alu instid0(VALU_DEP_1) | instskip(NEXT) | instid1(VALU_DEP_1)
	v_mul_f64_e32 v[40:41], v[42:43], v[22:23]
	v_fma_f64 v[20:21], -v[20:21], v[40:41], v[42:43]
	s_delay_alu instid0(VALU_DEP_1) | instskip(NEXT) | instid1(VALU_DEP_1)
	v_div_fmas_f64 v[20:21], v[20:21], v[22:23], v[40:41]
	v_div_fixup_f64 v[20:21], v[20:21], v[10:11], v[8:9]
	s_delay_alu instid0(VALU_DEP_1) | instskip(NEXT) | instid1(VALU_DEP_1)
	v_fma_f64 v[22:23], v[8:9], v[20:21], v[10:11]
	v_div_scale_f64 v[40:41], null, v[22:23], v[22:23], 1.0
	v_div_scale_f64 v[46:47], vcc_lo, 1.0, v[22:23], 1.0
	s_delay_alu instid0(VALU_DEP_2) | instskip(SKIP_1) | instid1(TRANS32_DEP_1)
	v_rcp_f64_e32 v[42:43], v[40:41]
	v_nop
	v_fma_f64 v[44:45], -v[40:41], v[42:43], 1.0
	s_delay_alu instid0(VALU_DEP_1) | instskip(NEXT) | instid1(VALU_DEP_1)
	v_fmac_f64_e32 v[42:43], v[42:43], v[44:45]
	v_fma_f64 v[44:45], -v[40:41], v[42:43], 1.0
	s_delay_alu instid0(VALU_DEP_1) | instskip(NEXT) | instid1(VALU_DEP_1)
	v_fmac_f64_e32 v[42:43], v[42:43], v[44:45]
	v_mul_f64_e32 v[44:45], v[46:47], v[42:43]
	s_delay_alu instid0(VALU_DEP_1) | instskip(NEXT) | instid1(VALU_DEP_1)
	v_fma_f64 v[40:41], -v[40:41], v[44:45], v[46:47]
	v_div_fmas_f64 v[40:41], v[40:41], v[42:43], v[44:45]
	v_fma_f64 v[42:43], v[20:21], v[24:25], v[26:27]
	s_delay_alu instid0(VALU_DEP_2) | instskip(SKIP_1) | instid1(VALU_DEP_2)
	v_div_fixup_f64 v[22:23], v[40:41], v[22:23], 1.0
	v_fma_f64 v[40:41], v[20:21], v[26:27], -v[24:25]
	v_mul_f64_e32 v[20:21], v[42:43], v[22:23]
	s_delay_alu instid0(VALU_DEP_2)
	v_mul_f64_e32 v[22:23], v[40:41], v[22:23]
.LBB208_126:                            ;   in Loop: Header=BB208_114 Depth=2
	s_and_not1_b32 vcc_lo, exec_lo, s29
	s_cbranch_vccnz .LBB208_128
; %bb.127:                              ;   in Loop: Header=BB208_114 Depth=2
	v_div_scale_f64 v[20:21], null, v[8:9], v[8:9], v[10:11]
	v_div_scale_f64 v[42:43], vcc_lo, v[10:11], v[8:9], v[10:11]
	s_delay_alu instid0(VALU_DEP_2) | instskip(SKIP_1) | instid1(TRANS32_DEP_1)
	v_rcp_f64_e32 v[22:23], v[20:21]
	v_nop
	v_fma_f64 v[40:41], -v[20:21], v[22:23], 1.0
	s_delay_alu instid0(VALU_DEP_1) | instskip(NEXT) | instid1(VALU_DEP_1)
	v_fmac_f64_e32 v[22:23], v[22:23], v[40:41]
	v_fma_f64 v[40:41], -v[20:21], v[22:23], 1.0
	s_delay_alu instid0(VALU_DEP_1) | instskip(NEXT) | instid1(VALU_DEP_1)
	v_fmac_f64_e32 v[22:23], v[22:23], v[40:41]
	v_mul_f64_e32 v[40:41], v[42:43], v[22:23]
	s_delay_alu instid0(VALU_DEP_1) | instskip(NEXT) | instid1(VALU_DEP_1)
	v_fma_f64 v[20:21], -v[20:21], v[40:41], v[42:43]
	v_div_fmas_f64 v[20:21], v[20:21], v[22:23], v[40:41]
	s_delay_alu instid0(VALU_DEP_1) | instskip(NEXT) | instid1(VALU_DEP_1)
	v_div_fixup_f64 v[20:21], v[20:21], v[8:9], v[10:11]
	v_fmac_f64_e32 v[8:9], v[10:11], v[20:21]
	s_delay_alu instid0(VALU_DEP_1) | instskip(SKIP_1) | instid1(VALU_DEP_2)
	v_div_scale_f64 v[10:11], null, v[8:9], v[8:9], 1.0
	v_div_scale_f64 v[42:43], vcc_lo, 1.0, v[8:9], 1.0
	v_rcp_f64_e32 v[22:23], v[10:11]
	v_nop
	s_delay_alu instid0(TRANS32_DEP_1) | instskip(NEXT) | instid1(VALU_DEP_1)
	v_fma_f64 v[40:41], -v[10:11], v[22:23], 1.0
	v_fmac_f64_e32 v[22:23], v[22:23], v[40:41]
	s_delay_alu instid0(VALU_DEP_1) | instskip(NEXT) | instid1(VALU_DEP_1)
	v_fma_f64 v[40:41], -v[10:11], v[22:23], 1.0
	v_fmac_f64_e32 v[22:23], v[22:23], v[40:41]
	s_delay_alu instid0(VALU_DEP_1) | instskip(NEXT) | instid1(VALU_DEP_1)
	v_mul_f64_e32 v[40:41], v[42:43], v[22:23]
	v_fma_f64 v[10:11], -v[10:11], v[40:41], v[42:43]
	s_delay_alu instid0(VALU_DEP_1) | instskip(SKIP_1) | instid1(VALU_DEP_2)
	v_div_fmas_f64 v[10:11], v[10:11], v[22:23], v[40:41]
	v_fma_f64 v[22:23], v[20:21], v[26:27], v[24:25]
	v_div_fixup_f64 v[8:9], v[10:11], v[8:9], 1.0
	v_fma_f64 v[10:11], -v[20:21], v[24:25], v[26:27]
	s_delay_alu instid0(VALU_DEP_2) | instskip(NEXT) | instid1(VALU_DEP_2)
	v_mul_f64_e32 v[20:21], v[22:23], v[8:9]
	v_mul_f64_e32 v[22:23], v[10:11], v[8:9]
.LBB208_128:                            ;   in Loop: Header=BB208_114 Depth=2
	s_lshl_b32 s29, s36, 4
	s_lshl_b32 s28, s28, 4
	s_add_co_i32 s36, s29, s38
	s_add_co_i32 s28, s29, s28
	v_mov_b32_e32 v39, s36
	ds_load_b128 v[8:11], v39
	ds_load_b128 v[24:27], v39 offset:16
	ds_store_b128 v38, v[20:23]
	s_wait_dscnt 0x2
	v_mul_f64_e32 v[40:41], v[14:15], v[10:11]
	v_mul_f64_e32 v[42:43], v[12:13], v[10:11]
	s_wait_dscnt 0x1
	v_mul_f64_e32 v[44:45], v[18:19], v[26:27]
	v_mul_f64_e32 v[26:27], v[16:17], v[26:27]
	s_delay_alu instid0(VALU_DEP_4) | instskip(NEXT) | instid1(VALU_DEP_4)
	v_fma_f64 v[40:41], v[12:13], v[8:9], -v[40:41]
	v_fmac_f64_e32 v[42:43], v[14:15], v[8:9]
	ds_load_b128 v[12:15], v39 offset:32
	v_dual_fma_f64 v[16:17], v[16:17], v[24:25], -v[44:45] :: v_dual_mov_b32 v8, s28
	v_fmac_f64_e32 v[26:27], v[18:19], v[24:25]
	ds_load_b128 v[8:11], v8
	s_wait_dscnt 0x1
	v_mul_f64_e32 v[46:47], v[22:23], v[14:15]
	v_mul_f64_e32 v[14:15], v[20:21], v[14:15]
	s_wait_dscnt 0x0
	v_cmp_ngt_f64_e64 s28, |v[8:9]|, |v[10:11]|
	v_add_f64_e64 v[4:5], v[4:5], -v[40:41]
	v_add_f64_e64 v[6:7], v[6:7], -v[42:43]
	v_fma_f64 v[18:19], v[20:21], v[12:13], -v[46:47]
	v_fmac_f64_e32 v[14:15], v[22:23], v[12:13]
	s_and_b32 vcc_lo, exec_lo, s28
	s_mov_b32 s28, -1
	s_delay_alu instid0(VALU_DEP_4) | instskip(NEXT) | instid1(VALU_DEP_4)
	v_add_f64_e64 v[4:5], v[4:5], -v[16:17]
	v_add_f64_e64 v[6:7], v[6:7], -v[26:27]
	s_delay_alu instid0(VALU_DEP_2) | instskip(NEXT) | instid1(VALU_DEP_2)
	v_add_f64_e64 v[12:13], v[4:5], -v[18:19]
	v_add_f64_e64 v[14:15], v[6:7], -v[14:15]
                                        ; implicit-def: $vgpr6_vgpr7
	s_cbranch_vccz .LBB208_130
; %bb.129:                              ;   in Loop: Header=BB208_114 Depth=2
	v_div_scale_f64 v[4:5], null, v[10:11], v[10:11], v[8:9]
	v_div_scale_f64 v[18:19], vcc_lo, v[8:9], v[10:11], v[8:9]
	s_mov_b32 s28, 0
	v_rcp_f64_e32 v[6:7], v[4:5]
	v_nop
	s_delay_alu instid0(TRANS32_DEP_1) | instskip(NEXT) | instid1(VALU_DEP_1)
	v_fma_f64 v[16:17], -v[4:5], v[6:7], 1.0
	v_fmac_f64_e32 v[6:7], v[6:7], v[16:17]
	s_delay_alu instid0(VALU_DEP_1) | instskip(NEXT) | instid1(VALU_DEP_1)
	v_fma_f64 v[16:17], -v[4:5], v[6:7], 1.0
	v_fmac_f64_e32 v[6:7], v[6:7], v[16:17]
	s_delay_alu instid0(VALU_DEP_1) | instskip(NEXT) | instid1(VALU_DEP_1)
	v_mul_f64_e32 v[16:17], v[18:19], v[6:7]
	v_fma_f64 v[4:5], -v[4:5], v[16:17], v[18:19]
	s_delay_alu instid0(VALU_DEP_1) | instskip(NEXT) | instid1(VALU_DEP_1)
	v_div_fmas_f64 v[4:5], v[4:5], v[6:7], v[16:17]
	v_div_fixup_f64 v[4:5], v[4:5], v[10:11], v[8:9]
	s_delay_alu instid0(VALU_DEP_1) | instskip(NEXT) | instid1(VALU_DEP_1)
	v_fma_f64 v[6:7], v[8:9], v[4:5], v[10:11]
	v_div_scale_f64 v[16:17], null, v[6:7], v[6:7], 1.0
	v_div_scale_f64 v[22:23], vcc_lo, 1.0, v[6:7], 1.0
	s_delay_alu instid0(VALU_DEP_2) | instskip(SKIP_1) | instid1(TRANS32_DEP_1)
	v_rcp_f64_e32 v[18:19], v[16:17]
	v_nop
	v_fma_f64 v[20:21], -v[16:17], v[18:19], 1.0
	s_delay_alu instid0(VALU_DEP_1) | instskip(NEXT) | instid1(VALU_DEP_1)
	v_fmac_f64_e32 v[18:19], v[18:19], v[20:21]
	v_fma_f64 v[20:21], -v[16:17], v[18:19], 1.0
	s_delay_alu instid0(VALU_DEP_1) | instskip(NEXT) | instid1(VALU_DEP_1)
	v_fmac_f64_e32 v[18:19], v[18:19], v[20:21]
	v_mul_f64_e32 v[20:21], v[22:23], v[18:19]
	s_delay_alu instid0(VALU_DEP_1) | instskip(NEXT) | instid1(VALU_DEP_1)
	v_fma_f64 v[16:17], -v[16:17], v[20:21], v[22:23]
	v_div_fmas_f64 v[16:17], v[16:17], v[18:19], v[20:21]
	v_fma_f64 v[18:19], v[4:5], v[12:13], v[14:15]
	s_delay_alu instid0(VALU_DEP_2) | instskip(SKIP_1) | instid1(VALU_DEP_2)
	v_div_fixup_f64 v[6:7], v[16:17], v[6:7], 1.0
	v_fma_f64 v[16:17], v[4:5], v[14:15], -v[12:13]
	v_mul_f64_e32 v[4:5], v[18:19], v[6:7]
	s_delay_alu instid0(VALU_DEP_2)
	v_mul_f64_e32 v[6:7], v[16:17], v[6:7]
.LBB208_130:                            ;   in Loop: Header=BB208_114 Depth=2
	s_and_not1_b32 vcc_lo, exec_lo, s28
	s_cbranch_vccnz .LBB208_132
; %bb.131:                              ;   in Loop: Header=BB208_114 Depth=2
	v_div_scale_f64 v[4:5], null, v[8:9], v[8:9], v[10:11]
	v_div_scale_f64 v[18:19], vcc_lo, v[10:11], v[8:9], v[10:11]
	s_delay_alu instid0(VALU_DEP_2) | instskip(SKIP_1) | instid1(TRANS32_DEP_1)
	v_rcp_f64_e32 v[6:7], v[4:5]
	v_nop
	v_fma_f64 v[16:17], -v[4:5], v[6:7], 1.0
	s_delay_alu instid0(VALU_DEP_1) | instskip(NEXT) | instid1(VALU_DEP_1)
	v_fmac_f64_e32 v[6:7], v[6:7], v[16:17]
	v_fma_f64 v[16:17], -v[4:5], v[6:7], 1.0
	s_delay_alu instid0(VALU_DEP_1) | instskip(NEXT) | instid1(VALU_DEP_1)
	v_fmac_f64_e32 v[6:7], v[6:7], v[16:17]
	v_mul_f64_e32 v[16:17], v[18:19], v[6:7]
	s_delay_alu instid0(VALU_DEP_1) | instskip(NEXT) | instid1(VALU_DEP_1)
	v_fma_f64 v[4:5], -v[4:5], v[16:17], v[18:19]
	v_div_fmas_f64 v[4:5], v[4:5], v[6:7], v[16:17]
	s_delay_alu instid0(VALU_DEP_1) | instskip(NEXT) | instid1(VALU_DEP_1)
	v_div_fixup_f64 v[4:5], v[4:5], v[8:9], v[10:11]
	v_fmac_f64_e32 v[8:9], v[10:11], v[4:5]
	s_delay_alu instid0(VALU_DEP_1) | instskip(SKIP_1) | instid1(VALU_DEP_2)
	v_div_scale_f64 v[6:7], null, v[8:9], v[8:9], 1.0
	v_div_scale_f64 v[18:19], vcc_lo, 1.0, v[8:9], 1.0
	v_rcp_f64_e32 v[10:11], v[6:7]
	v_nop
	s_delay_alu instid0(TRANS32_DEP_1) | instskip(NEXT) | instid1(VALU_DEP_1)
	v_fma_f64 v[16:17], -v[6:7], v[10:11], 1.0
	v_fmac_f64_e32 v[10:11], v[10:11], v[16:17]
	s_delay_alu instid0(VALU_DEP_1) | instskip(NEXT) | instid1(VALU_DEP_1)
	v_fma_f64 v[16:17], -v[6:7], v[10:11], 1.0
	v_fmac_f64_e32 v[10:11], v[10:11], v[16:17]
	s_delay_alu instid0(VALU_DEP_1) | instskip(NEXT) | instid1(VALU_DEP_1)
	v_mul_f64_e32 v[16:17], v[18:19], v[10:11]
	v_fma_f64 v[6:7], -v[6:7], v[16:17], v[18:19]
	s_delay_alu instid0(VALU_DEP_1) | instskip(SKIP_1) | instid1(VALU_DEP_2)
	v_div_fmas_f64 v[6:7], v[6:7], v[10:11], v[16:17]
	v_fma_f64 v[10:11], v[4:5], v[14:15], v[12:13]
	v_div_fixup_f64 v[6:7], v[6:7], v[8:9], 1.0
	v_fma_f64 v[8:9], -v[4:5], v[12:13], v[14:15]
	s_delay_alu instid0(VALU_DEP_2) | instskip(NEXT) | instid1(VALU_DEP_2)
	v_mul_f64_e32 v[4:5], v[10:11], v[6:7]
	v_mul_f64_e32 v[6:7], v[8:9], v[6:7]
.LBB208_132:                            ;   in Loop: Header=BB208_114 Depth=2
	s_add_co_i32 s28, s27, 4
	s_add_co_i32 s27, s27, 7
	s_addk_co_i32 s26, 0x200
	s_cmp_ge_i32 s27, s31
	ds_store_b128 v37, v[4:7]
	s_cbranch_scc1 .LBB208_134
; %bb.133:                              ;   in Loop: Header=BB208_114 Depth=2
	s_mov_b32 s27, s28
	s_branch .LBB208_114
.LBB208_134:                            ;   in Loop: Header=BB208_3 Depth=1
	s_cmp_ge_i32 s28, s31
	s_cbranch_scc1 .LBB208_143
; %bb.135:                              ;   in Loop: Header=BB208_3 Depth=1
	s_lshl_b32 s26, s28, 7
	s_branch .LBB208_137
.LBB208_136:                            ;   in Loop: Header=BB208_137 Depth=2
	s_add_co_i32 s28, s28, 1
	s_addk_co_i32 s26, 0x80
	s_cmp_ge_i32 s28, s31
	ds_store_b128 v16, v[12:15]
	s_cbranch_scc1 .LBB208_143
.LBB208_137:                            ;   Parent Loop BB208_3 Depth=1
                                        ; =>  This Loop Header: Depth=2
                                        ;       Child Loop BB208_138 Depth 3
	v_lshl_add_u32 v16, s28, 7, v34
	v_mov_b32_e32 v8, v34
	s_cmp_eq_u32 s28, 0
	s_mov_b32 s27, s26
	s_mov_b32 s29, s28
	ds_load_b128 v[4:7], v16
	s_cbranch_scc1 .LBB208_139
.LBB208_138:                            ;   Parent Loop BB208_3 Depth=1
                                        ;     Parent Loop BB208_137 Depth=2
                                        ; =>    This Inner Loop Header: Depth=3
	v_mov_b32_e32 v9, s27
	s_add_co_i32 s29, s29, -1
	s_add_co_i32 s27, s27, 16
	s_cmp_eq_u32 s29, 0
	ds_load_b128 v[10:13], v8
	ds_load_b128 v[18:21], v9
	v_add_nc_u32_e32 v8, 0x80, v8
	s_wait_dscnt 0x0
	v_mul_f64_e32 v[14:15], v[20:21], v[12:13]
	v_mul_f64_e32 v[12:13], v[18:19], v[12:13]
	s_delay_alu instid0(VALU_DEP_2) | instskip(NEXT) | instid1(VALU_DEP_2)
	v_fma_f64 v[14:15], v[18:19], v[10:11], -v[14:15]
	v_fmac_f64_e32 v[12:13], v[20:21], v[10:11]
	s_delay_alu instid0(VALU_DEP_2) | instskip(NEXT) | instid1(VALU_DEP_2)
	v_add_f64_e64 v[4:5], v[4:5], -v[14:15]
	v_add_f64_e64 v[6:7], v[6:7], -v[12:13]
	s_cbranch_scc0 .LBB208_138
.LBB208_139:                            ;   in Loop: Header=BB208_137 Depth=2
	s_mul_i32 s27, s28, 0x90
                                        ; implicit-def: $vgpr12_vgpr13
	s_delay_alu instid0(SALU_CYCLE_1)
	v_mov_b32_e32 v8, s27
	ds_load_b128 v[8:11], v8
	s_wait_dscnt 0x0
	v_cmp_ngt_f64_e64 s27, |v[8:9]|, |v[10:11]|
	s_and_b32 vcc_lo, exec_lo, s27
	s_mov_b32 s27, -1
	s_cbranch_vccz .LBB208_141
; %bb.140:                              ;   in Loop: Header=BB208_137 Depth=2
	v_div_scale_f64 v[12:13], null, v[10:11], v[10:11], v[8:9]
	v_div_scale_f64 v[20:21], vcc_lo, v[8:9], v[10:11], v[8:9]
	s_mov_b32 s27, 0
	v_rcp_f64_e32 v[14:15], v[12:13]
	v_nop
	s_delay_alu instid0(TRANS32_DEP_1) | instskip(NEXT) | instid1(VALU_DEP_1)
	v_fma_f64 v[18:19], -v[12:13], v[14:15], 1.0
	v_fmac_f64_e32 v[14:15], v[14:15], v[18:19]
	s_delay_alu instid0(VALU_DEP_1) | instskip(NEXT) | instid1(VALU_DEP_1)
	v_fma_f64 v[18:19], -v[12:13], v[14:15], 1.0
	v_fmac_f64_e32 v[14:15], v[14:15], v[18:19]
	s_delay_alu instid0(VALU_DEP_1) | instskip(NEXT) | instid1(VALU_DEP_1)
	v_mul_f64_e32 v[18:19], v[20:21], v[14:15]
	v_fma_f64 v[12:13], -v[12:13], v[18:19], v[20:21]
	s_delay_alu instid0(VALU_DEP_1) | instskip(NEXT) | instid1(VALU_DEP_1)
	v_div_fmas_f64 v[12:13], v[12:13], v[14:15], v[18:19]
	v_div_fixup_f64 v[12:13], v[12:13], v[10:11], v[8:9]
	s_delay_alu instid0(VALU_DEP_1) | instskip(NEXT) | instid1(VALU_DEP_1)
	v_fma_f64 v[14:15], v[8:9], v[12:13], v[10:11]
	v_div_scale_f64 v[18:19], null, v[14:15], v[14:15], 1.0
	v_div_scale_f64 v[24:25], vcc_lo, 1.0, v[14:15], 1.0
	s_delay_alu instid0(VALU_DEP_2) | instskip(SKIP_1) | instid1(TRANS32_DEP_1)
	v_rcp_f64_e32 v[20:21], v[18:19]
	v_nop
	v_fma_f64 v[22:23], -v[18:19], v[20:21], 1.0
	s_delay_alu instid0(VALU_DEP_1) | instskip(NEXT) | instid1(VALU_DEP_1)
	v_fmac_f64_e32 v[20:21], v[20:21], v[22:23]
	v_fma_f64 v[22:23], -v[18:19], v[20:21], 1.0
	s_delay_alu instid0(VALU_DEP_1) | instskip(NEXT) | instid1(VALU_DEP_1)
	v_fmac_f64_e32 v[20:21], v[20:21], v[22:23]
	v_mul_f64_e32 v[22:23], v[24:25], v[20:21]
	s_delay_alu instid0(VALU_DEP_1) | instskip(NEXT) | instid1(VALU_DEP_1)
	v_fma_f64 v[18:19], -v[18:19], v[22:23], v[24:25]
	v_div_fmas_f64 v[18:19], v[18:19], v[20:21], v[22:23]
	v_fma_f64 v[20:21], v[4:5], v[12:13], v[6:7]
	s_delay_alu instid0(VALU_DEP_2) | instskip(SKIP_1) | instid1(VALU_DEP_2)
	v_div_fixup_f64 v[14:15], v[18:19], v[14:15], 1.0
	v_fma_f64 v[18:19], v[6:7], v[12:13], -v[4:5]
	v_mul_f64_e32 v[12:13], v[20:21], v[14:15]
	s_delay_alu instid0(VALU_DEP_2)
	v_mul_f64_e32 v[14:15], v[18:19], v[14:15]
.LBB208_141:                            ;   in Loop: Header=BB208_137 Depth=2
	s_and_not1_b32 vcc_lo, exec_lo, s27
	s_cbranch_vccnz .LBB208_136
; %bb.142:                              ;   in Loop: Header=BB208_137 Depth=2
	v_div_scale_f64 v[12:13], null, v[8:9], v[8:9], v[10:11]
	v_div_scale_f64 v[20:21], vcc_lo, v[10:11], v[8:9], v[10:11]
	s_delay_alu instid0(VALU_DEP_2) | instskip(SKIP_1) | instid1(TRANS32_DEP_1)
	v_rcp_f64_e32 v[14:15], v[12:13]
	v_nop
	v_fma_f64 v[18:19], -v[12:13], v[14:15], 1.0
	s_delay_alu instid0(VALU_DEP_1) | instskip(NEXT) | instid1(VALU_DEP_1)
	v_fmac_f64_e32 v[14:15], v[14:15], v[18:19]
	v_fma_f64 v[18:19], -v[12:13], v[14:15], 1.0
	s_delay_alu instid0(VALU_DEP_1) | instskip(NEXT) | instid1(VALU_DEP_1)
	v_fmac_f64_e32 v[14:15], v[14:15], v[18:19]
	v_mul_f64_e32 v[18:19], v[20:21], v[14:15]
	s_delay_alu instid0(VALU_DEP_1) | instskip(NEXT) | instid1(VALU_DEP_1)
	v_fma_f64 v[12:13], -v[12:13], v[18:19], v[20:21]
	v_div_fmas_f64 v[12:13], v[12:13], v[14:15], v[18:19]
	s_delay_alu instid0(VALU_DEP_1) | instskip(NEXT) | instid1(VALU_DEP_1)
	v_div_fixup_f64 v[12:13], v[12:13], v[8:9], v[10:11]
	v_fmac_f64_e32 v[8:9], v[10:11], v[12:13]
	s_delay_alu instid0(VALU_DEP_1) | instskip(SKIP_1) | instid1(VALU_DEP_2)
	v_div_scale_f64 v[10:11], null, v[8:9], v[8:9], 1.0
	v_div_scale_f64 v[20:21], vcc_lo, 1.0, v[8:9], 1.0
	v_rcp_f64_e32 v[14:15], v[10:11]
	v_nop
	s_delay_alu instid0(TRANS32_DEP_1) | instskip(NEXT) | instid1(VALU_DEP_1)
	v_fma_f64 v[18:19], -v[10:11], v[14:15], 1.0
	v_fmac_f64_e32 v[14:15], v[14:15], v[18:19]
	s_delay_alu instid0(VALU_DEP_1) | instskip(NEXT) | instid1(VALU_DEP_1)
	v_fma_f64 v[18:19], -v[10:11], v[14:15], 1.0
	v_fmac_f64_e32 v[14:15], v[14:15], v[18:19]
	s_delay_alu instid0(VALU_DEP_1) | instskip(NEXT) | instid1(VALU_DEP_1)
	v_mul_f64_e32 v[18:19], v[20:21], v[14:15]
	v_fma_f64 v[10:11], -v[10:11], v[18:19], v[20:21]
	s_delay_alu instid0(VALU_DEP_1) | instskip(SKIP_2) | instid1(VALU_DEP_3)
	v_div_fmas_f64 v[10:11], v[10:11], v[14:15], v[18:19]
	v_fma_f64 v[14:15], v[6:7], v[12:13], v[4:5]
	v_fma_f64 v[4:5], -v[4:5], v[12:13], v[6:7]
	v_div_fixup_f64 v[8:9], v[10:11], v[8:9], 1.0
	s_delay_alu instid0(VALU_DEP_1) | instskip(NEXT) | instid1(VALU_DEP_3)
	v_mul_f64_e32 v[12:13], v[14:15], v[8:9]
	v_mul_f64_e32 v[14:15], v[4:5], v[8:9]
	s_branch .LBB208_136
.LBB208_143:                            ;   in Loop: Header=BB208_3 Depth=1
	s_and_saveexec_b32 s26, s35
	s_cbranch_execz .LBB208_2
; %bb.144:                              ;   in Loop: Header=BB208_3 Depth=1
	v_add_nc_u64_e32 v[4:5], s[16:17], v[0:1]
	v_mov_b32_e32 v6, v34
	s_mov_b32 s16, s30
.LBB208_145:                            ;   Parent Loop BB208_3 Depth=1
                                        ; =>  This Inner Loop Header: Depth=2
	ds_load_2addr_b64 v[8:11], v6 offset1:1
	v_add_nc_u32_e32 v6, 0x80, v6
	s_add_co_i32 s16, s16, -1
	s_delay_alu instid0(SALU_CYCLE_1)
	s_cmp_lg_u32 s16, 0
	s_wait_dscnt 0x0
	global_store_b128 v[4:5], v[8:11], off
	s_wait_xcnt 0x0
	v_add_nc_u64_e32 v[4:5], s[14:15], v[4:5]
	s_cbranch_scc1 .LBB208_145
	s_branch .LBB208_2
.LBB208_146:
	s_endpgm
	.section	.rodata,"a",@progbits
	.p2align	6, 0x0
	.amdhsa_kernel _ZL31rocblas_trsm_small_right_deviceI19rocblas_complex_numIdES1_PKS1_PS1_Li8EEv13rocblas_fill_18rocblas_operation_17rocblas_diagonal_iiT0_T1_lilT2_lili
		.amdhsa_group_segment_fixed_size 2048
		.amdhsa_private_segment_fixed_size 0
		.amdhsa_kernarg_size 368
		.amdhsa_user_sgpr_count 2
		.amdhsa_user_sgpr_dispatch_ptr 0
		.amdhsa_user_sgpr_queue_ptr 0
		.amdhsa_user_sgpr_kernarg_segment_ptr 1
		.amdhsa_user_sgpr_dispatch_id 0
		.amdhsa_user_sgpr_kernarg_preload_length 0
		.amdhsa_user_sgpr_kernarg_preload_offset 0
		.amdhsa_user_sgpr_private_segment_size 0
		.amdhsa_wavefront_size32 1
		.amdhsa_uses_dynamic_stack 0
		.amdhsa_enable_private_segment 0
		.amdhsa_system_sgpr_workgroup_id_x 1
		.amdhsa_system_sgpr_workgroup_id_y 0
		.amdhsa_system_sgpr_workgroup_id_z 1
		.amdhsa_system_sgpr_workgroup_info 0
		.amdhsa_system_vgpr_workitem_id 0
		.amdhsa_next_free_vgpr 58
		.amdhsa_next_free_sgpr 42
		.amdhsa_named_barrier_count 0
		.amdhsa_reserve_vcc 1
		.amdhsa_float_round_mode_32 0
		.amdhsa_float_round_mode_16_64 0
		.amdhsa_float_denorm_mode_32 3
		.amdhsa_float_denorm_mode_16_64 3
		.amdhsa_fp16_overflow 0
		.amdhsa_memory_ordered 1
		.amdhsa_forward_progress 1
		.amdhsa_inst_pref_size 118
		.amdhsa_round_robin_scheduling 0
		.amdhsa_exception_fp_ieee_invalid_op 0
		.amdhsa_exception_fp_denorm_src 0
		.amdhsa_exception_fp_ieee_div_zero 0
		.amdhsa_exception_fp_ieee_overflow 0
		.amdhsa_exception_fp_ieee_underflow 0
		.amdhsa_exception_fp_ieee_inexact 0
		.amdhsa_exception_int_div_zero 0
	.end_amdhsa_kernel
	.section	.text._ZL31rocblas_trsm_small_right_deviceI19rocblas_complex_numIdES1_PKS1_PS1_Li8EEv13rocblas_fill_18rocblas_operation_17rocblas_diagonal_iiT0_T1_lilT2_lili,"axG",@progbits,_ZL31rocblas_trsm_small_right_deviceI19rocblas_complex_numIdES1_PKS1_PS1_Li8EEv13rocblas_fill_18rocblas_operation_17rocblas_diagonal_iiT0_T1_lilT2_lili,comdat
.Lfunc_end208:
	.size	_ZL31rocblas_trsm_small_right_deviceI19rocblas_complex_numIdES1_PKS1_PS1_Li8EEv13rocblas_fill_18rocblas_operation_17rocblas_diagonal_iiT0_T1_lilT2_lili, .Lfunc_end208-_ZL31rocblas_trsm_small_right_deviceI19rocblas_complex_numIdES1_PKS1_PS1_Li8EEv13rocblas_fill_18rocblas_operation_17rocblas_diagonal_iiT0_T1_lilT2_lili
                                        ; -- End function
	.set _ZL31rocblas_trsm_small_right_deviceI19rocblas_complex_numIdES1_PKS1_PS1_Li8EEv13rocblas_fill_18rocblas_operation_17rocblas_diagonal_iiT0_T1_lilT2_lili.num_vgpr, 58
	.set _ZL31rocblas_trsm_small_right_deviceI19rocblas_complex_numIdES1_PKS1_PS1_Li8EEv13rocblas_fill_18rocblas_operation_17rocblas_diagonal_iiT0_T1_lilT2_lili.num_agpr, 0
	.set _ZL31rocblas_trsm_small_right_deviceI19rocblas_complex_numIdES1_PKS1_PS1_Li8EEv13rocblas_fill_18rocblas_operation_17rocblas_diagonal_iiT0_T1_lilT2_lili.numbered_sgpr, 42
	.set _ZL31rocblas_trsm_small_right_deviceI19rocblas_complex_numIdES1_PKS1_PS1_Li8EEv13rocblas_fill_18rocblas_operation_17rocblas_diagonal_iiT0_T1_lilT2_lili.num_named_barrier, 0
	.set _ZL31rocblas_trsm_small_right_deviceI19rocblas_complex_numIdES1_PKS1_PS1_Li8EEv13rocblas_fill_18rocblas_operation_17rocblas_diagonal_iiT0_T1_lilT2_lili.private_seg_size, 0
	.set _ZL31rocblas_trsm_small_right_deviceI19rocblas_complex_numIdES1_PKS1_PS1_Li8EEv13rocblas_fill_18rocblas_operation_17rocblas_diagonal_iiT0_T1_lilT2_lili.uses_vcc, 1
	.set _ZL31rocblas_trsm_small_right_deviceI19rocblas_complex_numIdES1_PKS1_PS1_Li8EEv13rocblas_fill_18rocblas_operation_17rocblas_diagonal_iiT0_T1_lilT2_lili.uses_flat_scratch, 0
	.set _ZL31rocblas_trsm_small_right_deviceI19rocblas_complex_numIdES1_PKS1_PS1_Li8EEv13rocblas_fill_18rocblas_operation_17rocblas_diagonal_iiT0_T1_lilT2_lili.has_dyn_sized_stack, 0
	.set _ZL31rocblas_trsm_small_right_deviceI19rocblas_complex_numIdES1_PKS1_PS1_Li8EEv13rocblas_fill_18rocblas_operation_17rocblas_diagonal_iiT0_T1_lilT2_lili.has_recursion, 0
	.set _ZL31rocblas_trsm_small_right_deviceI19rocblas_complex_numIdES1_PKS1_PS1_Li8EEv13rocblas_fill_18rocblas_operation_17rocblas_diagonal_iiT0_T1_lilT2_lili.has_indirect_call, 0
	.section	.AMDGPU.csdata,"",@progbits
; Kernel info:
; codeLenInByte = 15104
; TotalNumSgprs: 44
; NumVgprs: 58
; ScratchSize: 0
; MemoryBound: 0
; FloatMode: 240
; IeeeMode: 1
; LDSByteSize: 2048 bytes/workgroup (compile time only)
; SGPRBlocks: 0
; VGPRBlocks: 3
; NumSGPRsForWavesPerEU: 44
; NumVGPRsForWavesPerEU: 58
; NamedBarCnt: 0
; Occupancy: 16
; WaveLimiterHint : 0
; COMPUTE_PGM_RSRC2:SCRATCH_EN: 0
; COMPUTE_PGM_RSRC2:USER_SGPR: 2
; COMPUTE_PGM_RSRC2:TRAP_HANDLER: 0
; COMPUTE_PGM_RSRC2:TGID_X_EN: 1
; COMPUTE_PGM_RSRC2:TGID_Y_EN: 0
; COMPUTE_PGM_RSRC2:TGID_Z_EN: 1
; COMPUTE_PGM_RSRC2:TIDIG_COMP_CNT: 0
	.section	.text._ZL38rocblas_trsm_small_left_device_sharedBILi12ELi12ELb0E19rocblas_complex_numIdES1_PKS1_PS1_Ev13rocblas_fill_18rocblas_operation_17rocblas_diagonal_iiT3_T4_lilT5_lili,"axG",@progbits,_ZL38rocblas_trsm_small_left_device_sharedBILi12ELi12ELb0E19rocblas_complex_numIdES1_PKS1_PS1_Ev13rocblas_fill_18rocblas_operation_17rocblas_diagonal_iiT3_T4_lilT5_lili,comdat
	.globl	_ZL38rocblas_trsm_small_left_device_sharedBILi12ELi12ELb0E19rocblas_complex_numIdES1_PKS1_PS1_Ev13rocblas_fill_18rocblas_operation_17rocblas_diagonal_iiT3_T4_lilT5_lili ; -- Begin function _ZL38rocblas_trsm_small_left_device_sharedBILi12ELi12ELb0E19rocblas_complex_numIdES1_PKS1_PS1_Ev13rocblas_fill_18rocblas_operation_17rocblas_diagonal_iiT3_T4_lilT5_lili
	.p2align	8
	.type	_ZL38rocblas_trsm_small_left_device_sharedBILi12ELi12ELb0E19rocblas_complex_numIdES1_PKS1_PS1_Ev13rocblas_fill_18rocblas_operation_17rocblas_diagonal_iiT3_T4_lilT5_lili,@function
_ZL38rocblas_trsm_small_left_device_sharedBILi12ELi12ELb0E19rocblas_complex_numIdES1_PKS1_PS1_Ev13rocblas_fill_18rocblas_operation_17rocblas_diagonal_iiT3_T4_lilT5_lili: ; @_ZL38rocblas_trsm_small_left_device_sharedBILi12ELi12ELb0E19rocblas_complex_numIdES1_PKS1_PS1_Ev13rocblas_fill_18rocblas_operation_17rocblas_diagonal_iiT3_T4_lilT5_lili
; %bb.0:
	s_load_b32 s3, s[0:1], 0x68
	s_bfe_u32 s2, ttmp6, 0x40014
	s_lshr_b32 s4, ttmp7, 16
	s_add_co_i32 s2, s2, 1
	s_bfe_u32 s5, ttmp6, 0x40008
	s_mul_i32 s2, s4, s2
	s_getreg_b32 s8, hwreg(HW_REG_IB_STS2, 6, 4)
	s_add_co_i32 s5, s5, s2
	s_cmp_eq_u32 s8, 0
	s_mov_b32 s21, 0
	s_cselect_b32 s20, s4, s5
	s_wait_kmcnt 0x0
	s_cmp_ge_u32 s20, s3
	s_cbranch_scc1 .LBB209_62
; %bb.1:
	s_clause 0x5
	s_load_b32 s22, s[0:1], 0x38
	s_load_b96 s[16:18], s[0:1], 0x50
	s_load_b128 s[4:7], s[0:1], 0x4
	s_load_b32 s9, s[0:1], 0x70
	s_load_b64 s[28:29], s[0:1], 0x60
	s_load_b128 s[12:15], s[0:1], 0x40
	v_dual_mov_b32 v9, 0 :: v_dual_lshlrev_b32 v8, 4, v0
	s_wait_kmcnt 0x0
	s_ashr_i32 s23, s22, 31
	s_ashr_i32 s27, s18, 31
	s_cmp_eq_u32 s4, 0x71
	s_cselect_b32 s2, -1, 0
	s_bfe_u32 s10, ttmp6, 0x4000c
	s_min_i32 s19, s6, 12
	s_add_co_i32 s10, s10, 1
	s_and_b32 s11, ttmp6, 15
	s_mul_i32 s10, ttmp9, s10
	s_add_co_i32 s9, s9, -1
	s_add_co_i32 s24, s19, -1
	s_add_co_i32 s11, s11, s10
	s_cmp_eq_u32 s8, 0
	s_cselect_b32 s8, ttmp9, s11
	s_delay_alu instid0(SALU_CYCLE_1) | instskip(NEXT) | instid1(SALU_CYCLE_1)
	s_mul_i32 s10, s8, -12
	s_add_co_i32 s7, s7, s10
	s_cmp_ge_u32 s8, s9
	s_mul_i32 s8, s8, 12
	s_cselect_b32 s30, s7, 12
	s_ashr_i32 s9, s8, 31
	s_cmp_lg_u32 s5, 0x84
	v_lshl_add_u64 v[2:3], s[8:9], 4, v[8:9]
	s_cselect_b32 s25, -1, 0
	s_cmp_gt_i32 s6, 0
	v_cmp_gt_i32_e32 vcc_lo, s30, v0
	s_cselect_b32 s31, -1, 0
	s_cmp_lg_u32 s4, 0x6f
	s_cselect_b32 s26, -1, 0
	s_lshl_b64 s[4:5], s[16:17], 4
	s_delay_alu instid0(SALU_CYCLE_1) | instskip(SKIP_3) | instid1(VALU_DEP_1)
	s_add_nc_u64 s[14:15], s[14:15], s[4:5]
	s_load_b256 s[4:11], s[0:1], 0x18
	v_mad_nc_u64_u32 v[10:11], v2, s18, s[14:15]
	s_lshl_b64 s[14:15], s[28:29], 4
	v_mad_u32 v1, v3, s18, v11
	s_or_b32 s18, 0, 8
	s_wait_kmcnt 0x0
	s_lshl_b64 s[0:1], s[10:11], 4
	s_lshl_b64 s[10:11], s[22:23], 4
	s_add_nc_u64 s[0:1], s[8:9], s[0:1]
	s_delay_alu instid0(VALU_DEP_1)
	v_mad_u32 v11, v2, s27, v1
	v_add_nc_u64_e32 v[2:3], s[0:1], v[8:9]
	v_cmp_gt_i32_e64 s0, s19, v0
	v_mul_u32_u24_e32 v0, 0xc0, v0
	v_or_b32_e32 v9, 0x900, v8
	s_mul_i32 s22, s19, 0xc0
	s_and_b32 s1, vcc_lo, s31
	s_lshl_b64 s[8:9], s[12:13], 4
	v_add_nc_u64_e32 v[12:13], 8, v[2:3]
	v_add_nc_u32_e32 v16, v8, v0
	s_addk_co_i32 s22, 0xff40
	v_add_nc_u64_e32 v[14:15], 8, v[10:11]
	s_get_pc_i64 s[12:13]
	s_add_nc_u64 s[12:13], s[12:13], __const._ZL38rocblas_trsm_small_left_device_sharedBILi12ELi12ELb0E19rocblas_complex_numIdES1_PKS1_PS1_Ev13rocblas_fill_18rocblas_operation_17rocblas_diagonal_iiT3_T4_lilT5_lili.step_sizes@rel64+4
	s_branch .LBB209_3
.LBB209_2:                              ;   in Loop: Header=BB209_3 Depth=1
	s_or_b32 exec_lo, exec_lo, s23
	s_add_co_i32 s20, s20, 0x10000
	s_delay_alu instid0(SALU_CYCLE_1)
	s_cmp_lt_u32 s20, s3
	s_cbranch_scc0 .LBB209_62
.LBB209_3:                              ; =>This Loop Header: Depth=1
                                        ;     Child Loop BB209_5 Depth 2
                                        ;     Child Loop BB209_16 Depth 2
                                        ;     Child Loop BB209_20 Depth 2
                                        ;       Child Loop BB209_23 Depth 3
                                        ;         Child Loop BB209_24 Depth 4
                                        ;         Child Loop BB209_27 Depth 4
                                        ;           Child Loop BB209_28 Depth 5
                                        ;         Child Loop BB209_32 Depth 4
                                        ;           Child Loop BB209_34 Depth 5
                                        ;     Child Loop BB209_42 Depth 2
                                        ;       Child Loop BB209_45 Depth 3
                                        ;         Child Loop BB209_46 Depth 4
                                        ;         Child Loop BB209_48 Depth 4
                                        ;           Child Loop BB209_49 Depth 5
                                        ;         Child Loop BB209_53 Depth 4
                                        ;           Child Loop BB209_55 Depth 5
                                        ;     Child Loop BB209_61 Depth 2
	s_and_saveexec_b32 s16, s0
	s_cbranch_execz .LBB209_14
; %bb.4:                                ;   in Loop: Header=BB209_3 Depth=1
	v_mad_nc_u64_u32 v[0:1], s8, s20, v[12:13]
	v_mov_b32_e32 v2, v8
	s_mov_b32 s17, s19
	s_delay_alu instid0(VALU_DEP_2)
	v_mad_u32 v1, s9, s20, v1
.LBB209_5:                              ;   Parent Loop BB209_3 Depth=1
                                        ; =>  This Inner Loop Header: Depth=2
	global_load_b128 v[4:7], v[0:1], off offset:-8
	s_wait_xcnt 0x0
	v_add_nc_u64_e32 v[0:1], s[10:11], v[0:1]
	s_add_co_i32 s17, s17, -1
	s_delay_alu instid0(SALU_CYCLE_1) | instskip(SKIP_2) | instid1(VALU_DEP_1)
	s_cmp_eq_u32 s17, 0
	s_wait_loadcnt 0x0
	v_xor_b32_e32 v3, 0x80000000, v7
	v_cndmask_b32_e64 v7, v7, v3, s2
	ds_store_b128 v2, v[4:7]
	v_add_nc_u32_e32 v2, 0xc0, v2
	s_cbranch_scc0 .LBB209_5
; %bb.6:                                ;   in Loop: Header=BB209_3 Depth=1
	s_and_b32 vcc_lo, exec_lo, s25
	s_cbranch_vccz .LBB209_12
; %bb.7:                                ;   in Loop: Header=BB209_3 Depth=1
	ds_load_b128 v[0:3], v16
                                        ; implicit-def: $vgpr6_vgpr7
	s_wait_dscnt 0x0
	v_cmp_ngt_f64_e64 s17, |v[0:1]|, |v[2:3]|
	s_and_saveexec_b32 s23, s17
	s_delay_alu instid0(SALU_CYCLE_1)
	s_xor_b32 s17, exec_lo, s23
	s_cbranch_execz .LBB209_9
; %bb.8:                                ;   in Loop: Header=BB209_3 Depth=1
	v_div_scale_f64 v[4:5], null, v[2:3], v[2:3], v[0:1]
	v_div_scale_f64 v[20:21], vcc_lo, v[0:1], v[2:3], v[0:1]
	s_delay_alu instid0(VALU_DEP_2) | instskip(SKIP_1) | instid1(TRANS32_DEP_1)
	v_rcp_f64_e32 v[6:7], v[4:5]
	v_nop
	v_fma_f64 v[18:19], -v[4:5], v[6:7], 1.0
	s_delay_alu instid0(VALU_DEP_1) | instskip(NEXT) | instid1(VALU_DEP_1)
	v_fmac_f64_e32 v[6:7], v[6:7], v[18:19]
	v_fma_f64 v[18:19], -v[4:5], v[6:7], 1.0
	s_delay_alu instid0(VALU_DEP_1) | instskip(NEXT) | instid1(VALU_DEP_1)
	v_fmac_f64_e32 v[6:7], v[6:7], v[18:19]
	v_mul_f64_e32 v[18:19], v[20:21], v[6:7]
	s_delay_alu instid0(VALU_DEP_1) | instskip(NEXT) | instid1(VALU_DEP_1)
	v_fma_f64 v[4:5], -v[4:5], v[18:19], v[20:21]
	v_div_fmas_f64 v[4:5], v[4:5], v[6:7], v[18:19]
	s_delay_alu instid0(VALU_DEP_1) | instskip(NEXT) | instid1(VALU_DEP_1)
	v_div_fixup_f64 v[4:5], v[4:5], v[2:3], v[0:1]
	v_fmac_f64_e32 v[2:3], v[0:1], v[4:5]
	s_delay_alu instid0(VALU_DEP_1) | instskip(SKIP_1) | instid1(VALU_DEP_2)
	v_div_scale_f64 v[0:1], null, v[2:3], v[2:3], 1.0
	v_div_scale_f64 v[20:21], vcc_lo, 1.0, v[2:3], 1.0
	v_rcp_f64_e32 v[6:7], v[0:1]
	v_nop
	s_delay_alu instid0(TRANS32_DEP_1) | instskip(NEXT) | instid1(VALU_DEP_1)
	v_fma_f64 v[18:19], -v[0:1], v[6:7], 1.0
	v_fmac_f64_e32 v[6:7], v[6:7], v[18:19]
	s_delay_alu instid0(VALU_DEP_1) | instskip(NEXT) | instid1(VALU_DEP_1)
	v_fma_f64 v[18:19], -v[0:1], v[6:7], 1.0
	v_fmac_f64_e32 v[6:7], v[6:7], v[18:19]
	s_delay_alu instid0(VALU_DEP_1) | instskip(NEXT) | instid1(VALU_DEP_1)
	v_mul_f64_e32 v[18:19], v[20:21], v[6:7]
	v_fma_f64 v[0:1], -v[0:1], v[18:19], v[20:21]
	s_delay_alu instid0(VALU_DEP_1) | instskip(SKIP_1) | instid1(VALU_DEP_2)
	v_div_fmas_f64 v[0:1], v[0:1], v[6:7], v[18:19]
	v_add_f64_e32 v[6:7], 0, v[4:5]
	v_div_fixup_f64 v[0:1], v[0:1], v[2:3], 1.0
	v_fma_f64 v[2:3], v[4:5], 0, -1.0
	s_delay_alu instid0(VALU_DEP_2) | instskip(NEXT) | instid1(VALU_DEP_2)
	v_mul_f64_e32 v[4:5], v[6:7], v[0:1]
	v_mul_f64_e32 v[6:7], v[2:3], v[0:1]
                                        ; implicit-def: $vgpr0_vgpr1
.LBB209_9:                              ;   in Loop: Header=BB209_3 Depth=1
	s_and_not1_saveexec_b32 s17, s17
	s_cbranch_execz .LBB209_11
; %bb.10:                               ;   in Loop: Header=BB209_3 Depth=1
	v_div_scale_f64 v[4:5], null, v[0:1], v[0:1], v[2:3]
	v_div_scale_f64 v[20:21], vcc_lo, v[2:3], v[0:1], v[2:3]
	s_delay_alu instid0(VALU_DEP_2) | instskip(SKIP_1) | instid1(TRANS32_DEP_1)
	v_rcp_f64_e32 v[6:7], v[4:5]
	v_nop
	v_fma_f64 v[18:19], -v[4:5], v[6:7], 1.0
	s_delay_alu instid0(VALU_DEP_1) | instskip(NEXT) | instid1(VALU_DEP_1)
	v_fmac_f64_e32 v[6:7], v[6:7], v[18:19]
	v_fma_f64 v[18:19], -v[4:5], v[6:7], 1.0
	s_delay_alu instid0(VALU_DEP_1) | instskip(NEXT) | instid1(VALU_DEP_1)
	v_fmac_f64_e32 v[6:7], v[6:7], v[18:19]
	v_mul_f64_e32 v[18:19], v[20:21], v[6:7]
	s_delay_alu instid0(VALU_DEP_1) | instskip(NEXT) | instid1(VALU_DEP_1)
	v_fma_f64 v[4:5], -v[4:5], v[18:19], v[20:21]
	v_div_fmas_f64 v[4:5], v[4:5], v[6:7], v[18:19]
	s_delay_alu instid0(VALU_DEP_1) | instskip(NEXT) | instid1(VALU_DEP_1)
	v_div_fixup_f64 v[4:5], v[4:5], v[0:1], v[2:3]
	v_fmac_f64_e32 v[0:1], v[2:3], v[4:5]
	s_delay_alu instid0(VALU_DEP_1) | instskip(SKIP_1) | instid1(VALU_DEP_2)
	v_div_scale_f64 v[2:3], null, v[0:1], v[0:1], 1.0
	v_div_scale_f64 v[20:21], vcc_lo, 1.0, v[0:1], 1.0
	v_rcp_f64_e32 v[6:7], v[2:3]
	v_nop
	s_delay_alu instid0(TRANS32_DEP_1) | instskip(NEXT) | instid1(VALU_DEP_1)
	v_fma_f64 v[18:19], -v[2:3], v[6:7], 1.0
	v_fmac_f64_e32 v[6:7], v[6:7], v[18:19]
	s_delay_alu instid0(VALU_DEP_1) | instskip(NEXT) | instid1(VALU_DEP_1)
	v_fma_f64 v[18:19], -v[2:3], v[6:7], 1.0
	v_fmac_f64_e32 v[6:7], v[6:7], v[18:19]
	s_delay_alu instid0(VALU_DEP_1) | instskip(NEXT) | instid1(VALU_DEP_1)
	v_mul_f64_e32 v[18:19], v[20:21], v[6:7]
	v_fma_f64 v[2:3], -v[2:3], v[18:19], v[20:21]
	s_delay_alu instid0(VALU_DEP_1) | instskip(SKIP_1) | instid1(VALU_DEP_2)
	v_div_fmas_f64 v[2:3], v[2:3], v[6:7], v[18:19]
	v_fma_f64 v[6:7], v[4:5], 0, 1.0
	v_div_fixup_f64 v[0:1], v[2:3], v[0:1], 1.0
	v_add_f64_e64 v[2:3], -v[4:5], 0
	s_delay_alu instid0(VALU_DEP_2) | instskip(NEXT) | instid1(VALU_DEP_2)
	v_mul_f64_e32 v[4:5], v[6:7], v[0:1]
	v_mul_f64_e32 v[6:7], v[2:3], v[0:1]
.LBB209_11:                             ;   in Loop: Header=BB209_3 Depth=1
	s_or_b32 exec_lo, exec_lo, s17
	s_branch .LBB209_13
.LBB209_12:                             ;   in Loop: Header=BB209_3 Depth=1
	v_mov_b64_e32 v[6:7], 0
	v_mov_b64_e32 v[4:5], 1.0
.LBB209_13:                             ;   in Loop: Header=BB209_3 Depth=1
	ds_store_b128 v16, v[4:7]
.LBB209_14:                             ;   in Loop: Header=BB209_3 Depth=1
	s_or_b32 exec_lo, exec_lo, s16
	s_mul_u64 s[16:17], s[14:15], s[20:21]
	s_and_saveexec_b32 s23, s1
	s_cbranch_execz .LBB209_17
; %bb.15:                               ;   in Loop: Header=BB209_3 Depth=1
	v_add_nc_u64_e32 v[0:1], s[16:17], v[14:15]
	v_mov_b32_e32 v2, v9
	s_mov_b32 s27, s19
.LBB209_16:                             ;   Parent Loop BB209_3 Depth=1
                                        ; =>  This Inner Loop Header: Depth=2
	global_load_b128 v[4:7], v[0:1], off offset:-8
	s_wait_xcnt 0x0
	v_add_nc_u64_e32 v[0:1], 16, v[0:1]
	s_add_co_i32 s27, s27, -1
	s_delay_alu instid0(SALU_CYCLE_1) | instskip(SKIP_3) | instid1(VALU_DEP_2)
	s_cmp_lg_u32 s27, 0
	s_wait_loadcnt 0x0
	v_mul_f64_e32 v[18:19], s[6:7], v[6:7]
	v_mul_f64_e32 v[20:21], s[4:5], v[6:7]
	v_fma_f64 v[18:19], s[4:5], v[4:5], -v[18:19]
	s_delay_alu instid0(VALU_DEP_2)
	v_fmac_f64_e32 v[20:21], s[6:7], v[4:5]
	ds_store_b128 v2, v[18:21]
	v_add_nc_u32_e32 v2, 0xc0, v2
	s_cbranch_scc1 .LBB209_16
.LBB209_17:                             ;   in Loop: Header=BB209_3 Depth=1
	s_or_b32 exec_lo, exec_lo, s23
	s_delay_alu instid0(SALU_CYCLE_1)
	s_and_not1_b32 vcc_lo, exec_lo, s26
	s_mov_b32 s23, -1
	s_wait_dscnt 0x0
	; wave barrier
	s_cbranch_vccnz .LBB209_39
; %bb.18:                               ;   in Loop: Header=BB209_3 Depth=1
	s_mov_b32 s27, 0
	s_mov_b32 s23, 0
	s_branch .LBB209_20
.LBB209_19:                             ;   in Loop: Header=BB209_20 Depth=2
	s_cmp_lt_i32 s23, s19
	s_cselect_b32 s28, -1, 0
	s_add_co_i32 s29, s27, 1
	s_cmp_lt_u32 s27, 2
	s_wait_xcnt 0x0
	s_cselect_b32 s27, -1, 0
	s_delay_alu instid0(SALU_CYCLE_1) | instskip(NEXT) | instid1(SALU_CYCLE_1)
	s_and_b32 s27, s28, s27
	s_and_b32 vcc_lo, exec_lo, s27
	s_mov_b32 s27, s29
	s_cbranch_vccz .LBB209_38
.LBB209_20:                             ;   Parent Loop BB209_3 Depth=1
                                        ; =>  This Loop Header: Depth=2
                                        ;       Child Loop BB209_23 Depth 3
                                        ;         Child Loop BB209_24 Depth 4
                                        ;         Child Loop BB209_27 Depth 4
                                        ;           Child Loop BB209_28 Depth 5
                                        ;         Child Loop BB209_32 Depth 4
                                        ;           Child Loop BB209_34 Depth 5
	s_load_b32 s28, s[12:13], s27 offset:0x0 scale_offset
	s_wait_kmcnt 0x0
	s_add_co_i32 s29, s28, -1
	s_delay_alu instid0(SALU_CYCLE_1) | instskip(NEXT) | instid1(SALU_CYCLE_1)
	s_add_co_i32 s30, s29, s23
	s_cmp_ge_i32 s30, s19
	s_cbranch_scc1 .LBB209_19
; %bb.21:                               ;   in Loop: Header=BB209_20 Depth=2
	s_mul_i32 s30, s23, 0xc0
	s_max_i32 s31, s28, 1
	v_add_nc_u32_e32 v4, s30, v9
	s_mul_i32 s33, s28, 0xc0
	s_mul_i32 s34, s23, 0xd0
	;; [unrolled: 1-line block ×3, first 2 shown]
	s_branch .LBB209_23
.LBB209_22:                             ;   in Loop: Header=BB209_23 Depth=3
	s_add_co_i32 s23, s23, s28
	v_add_nc_u32_e32 v4, s33, v4
	s_add_co_i32 s36, s29, s23
	s_add_co_i32 s30, s30, s33
	;; [unrolled: 1-line block ×3, first 2 shown]
	s_cmp_ge_i32 s36, s19
	s_cbranch_scc1 .LBB209_19
.LBB209_23:                             ;   Parent Loop BB209_3 Depth=1
                                        ;     Parent Loop BB209_20 Depth=2
                                        ; =>    This Loop Header: Depth=3
                                        ;         Child Loop BB209_24 Depth 4
                                        ;         Child Loop BB209_27 Depth 4
                                        ;           Child Loop BB209_28 Depth 5
                                        ;         Child Loop BB209_32 Depth 4
                                        ;           Child Loop BB209_34 Depth 5
	v_mov_b32_e32 v0, v4
	s_mov_b32 s36, 0
	s_mov_b32 s37, s31
.LBB209_24:                             ;   Parent Loop BB209_3 Depth=1
                                        ;     Parent Loop BB209_20 Depth=2
                                        ;       Parent Loop BB209_23 Depth=3
                                        ; =>      This Inner Loop Header: Depth=4
	ds_load_b128 v[18:21], v0
	v_add_nc_u32_e32 v0, 0xc0, v0
	s_add_co_i32 s37, s37, -1
	s_wait_dscnt 0x0
	scratch_store_b128 off, v[18:21], s36
	s_wait_xcnt 0x0
	s_add_co_i32 s36, s36, 16
	s_cmp_eq_u32 s37, 0
	s_cbranch_scc0 .LBB209_24
; %bb.25:                               ;   in Loop: Header=BB209_23 Depth=3
	s_cmp_lt_i32 s23, 1
	s_cbranch_scc1 .LBB209_30
; %bb.26:                               ;   in Loop: Header=BB209_23 Depth=3
	s_mov_b32 s36, 0
	s_mov_b32 s37, s30
.LBB209_27:                             ;   Parent Loop BB209_3 Depth=1
                                        ;     Parent Loop BB209_20 Depth=2
                                        ;       Parent Loop BB209_23 Depth=3
                                        ; =>      This Loop Header: Depth=4
                                        ;           Child Loop BB209_28 Depth 5
	v_mad_u32 v0, 0xc0, s36, v9
	s_mov_b32 s38, s18
	s_mov_b32 s39, s37
	;; [unrolled: 1-line block ×3, first 2 shown]
	ds_load_b128 v[0:3], v0
.LBB209_28:                             ;   Parent Loop BB209_3 Depth=1
                                        ;     Parent Loop BB209_20 Depth=2
                                        ;       Parent Loop BB209_23 Depth=3
                                        ;         Parent Loop BB209_27 Depth=4
                                        ; =>        This Inner Loop Header: Depth=5
	scratch_load_b128 v[18:21], off, s38 offset:-8
	v_mov_b32_e32 v5, s39
	s_add_co_i32 s40, s40, -1
	s_addk_co_i32 s39, 0xc0
	ds_load_b128 v[22:25], v5
	s_wait_dscnt 0x0
	v_mul_f64_e32 v[6:7], v[2:3], v[24:25]
	v_mul_f64_e32 v[24:25], v[0:1], v[24:25]
	s_delay_alu instid0(VALU_DEP_2) | instskip(NEXT) | instid1(VALU_DEP_2)
	v_fma_f64 v[6:7], v[0:1], v[22:23], -v[6:7]
	v_fmac_f64_e32 v[24:25], v[2:3], v[22:23]
	s_wait_loadcnt 0x0
	s_delay_alu instid0(VALU_DEP_2) | instskip(NEXT) | instid1(VALU_DEP_2)
	v_add_f64_e64 v[18:19], v[18:19], -v[6:7]
	v_add_f64_e64 v[20:21], v[20:21], -v[24:25]
	scratch_store_b128 off, v[18:21], s38 offset:-8
	s_wait_xcnt 0x0
	s_add_co_i32 s38, s38, 16
	s_cmp_eq_u32 s40, 0
	s_cbranch_scc0 .LBB209_28
; %bb.29:                               ;   in Loop: Header=BB209_27 Depth=4
	s_add_co_i32 s36, s36, 1
	s_add_co_i32 s37, s37, 16
	s_cmp_eq_u32 s36, s23
	s_cbranch_scc0 .LBB209_27
.LBB209_30:                             ;   in Loop: Header=BB209_23 Depth=3
	s_mul_i32 s36, s23, 0xc0
	s_mov_b32 s37, 0
	s_mov_b32 s38, s34
	s_branch .LBB209_32
.LBB209_31:                             ;   in Loop: Header=BB209_32 Depth=4
	s_wait_xcnt 0x0
	s_mulk_i32 s40, 0xd0
	s_addk_co_i32 s38, 0xc0
	v_mov_b32_e32 v5, s40
	s_lshl_b32 s40, s37, 4
	s_add_co_i32 s37, s37, 1
	s_delay_alu instid0(SALU_CYCLE_1) | instskip(SKIP_4) | instid1(VALU_DEP_2)
	s_cmp_eq_u32 s37, s31
	ds_load_b128 v[18:21], v5
	s_wait_loadcnt_dscnt 0x0
	v_mul_f64_e32 v[6:7], v[20:21], v[2:3]
	v_mul_f64_e32 v[24:25], v[18:19], v[2:3]
	v_fma_f64 v[22:23], v[18:19], v[0:1], -v[6:7]
	s_delay_alu instid0(VALU_DEP_2)
	v_fmac_f64_e32 v[24:25], v[20:21], v[0:1]
	v_add_nc_u32_e32 v0, s39, v9
	scratch_store_b128 off, v[22:25], s40
	ds_store_b128 v0, v[22:25]
	s_cbranch_scc1 .LBB209_22
.LBB209_32:                             ;   Parent Loop BB209_3 Depth=1
                                        ;     Parent Loop BB209_20 Depth=2
                                        ;       Parent Loop BB209_23 Depth=3
                                        ; =>      This Loop Header: Depth=4
                                        ;           Child Loop BB209_34 Depth 5
	s_cmp_lg_u32 s37, 0
	s_cbranch_scc0 .LBB209_36
; %bb.33:                               ;   in Loop: Header=BB209_32 Depth=4
	s_lshl_b32 s41, s37, 4
	s_wait_xcnt 0x0
	s_add_co_i32 s40, s37, s23
	scratch_load_b128 v[0:3], off, s41
	s_mul_i32 s39, s40, 0xc0
	s_mov_b32 s42, s38
	s_mov_b32 s43, s18
	;; [unrolled: 1-line block ×3, first 2 shown]
.LBB209_34:                             ;   Parent Loop BB209_3 Depth=1
                                        ;     Parent Loop BB209_20 Depth=2
                                        ;       Parent Loop BB209_23 Depth=3
                                        ;         Parent Loop BB209_32 Depth=4
                                        ; =>        This Inner Loop Header: Depth=5
	scratch_load_b128 v[18:21], off, s43 offset:-8
	v_mov_b32_e32 v5, s42
	s_add_co_i32 s44, s44, -1
	s_wait_xcnt 0x0
	s_add_co_i32 s43, s43, 16
	s_add_co_i32 s42, s42, 16
	s_cmp_eq_u32 s44, 0
	ds_load_b128 v[22:25], v5
	s_wait_loadcnt_dscnt 0x0
	v_mul_f64_e32 v[6:7], v[24:25], v[20:21]
	v_mul_f64_e32 v[20:21], v[22:23], v[20:21]
	s_delay_alu instid0(VALU_DEP_2) | instskip(NEXT) | instid1(VALU_DEP_2)
	v_fma_f64 v[6:7], v[22:23], v[18:19], -v[6:7]
	v_fmac_f64_e32 v[20:21], v[24:25], v[18:19]
	s_delay_alu instid0(VALU_DEP_2) | instskip(NEXT) | instid1(VALU_DEP_2)
	v_add_f64_e64 v[0:1], v[0:1], -v[6:7]
	v_add_f64_e64 v[2:3], v[2:3], -v[20:21]
	scratch_store_b128 off, v[0:3], s41
	s_cbranch_scc0 .LBB209_34
; %bb.35:                               ;   in Loop: Header=BB209_32 Depth=4
	s_wait_xcnt 0x0
	s_branch .LBB209_31
.LBB209_36:                             ;   in Loop: Header=BB209_32 Depth=4
                                        ; implicit-def: $vgpr0_vgpr1
                                        ; implicit-def: $sgpr40
                                        ; implicit-def: $sgpr39
	s_cbranch_execz .LBB209_31
; %bb.37:                               ;   in Loop: Header=BB209_32 Depth=4
	scratch_load_b128 v[0:3], off, off
	s_mov_b32 s39, s36
	s_wait_xcnt 0x1
	s_mov_b32 s40, s23
	s_branch .LBB209_31
.LBB209_38:                             ;   in Loop: Header=BB209_3 Depth=1
	s_mov_b32 s23, 0
.LBB209_39:                             ;   in Loop: Header=BB209_3 Depth=1
	s_delay_alu instid0(SALU_CYCLE_1)
	s_and_b32 vcc_lo, exec_lo, s23
	s_cbranch_vccz .LBB209_59
; %bb.40:                               ;   in Loop: Header=BB209_3 Depth=1
	s_mov_b32 s27, 0
	s_mov_b32 s23, s24
	s_branch .LBB209_42
.LBB209_41:                             ;   in Loop: Header=BB209_42 Depth=2
	s_cmp_gt_i32 s23, -1
	s_cselect_b32 s28, -1, 0
	s_add_co_i32 s29, s27, 1
	s_cmp_lt_u32 s27, 2
	s_wait_xcnt 0x0
	s_cselect_b32 s27, -1, 0
	s_delay_alu instid0(SALU_CYCLE_1) | instskip(NEXT) | instid1(SALU_CYCLE_1)
	s_and_b32 s27, s28, s27
	s_and_not1_b32 vcc_lo, exec_lo, s27
	s_mov_b32 s27, s29
	s_cbranch_vccnz .LBB209_59
.LBB209_42:                             ;   Parent Loop BB209_3 Depth=1
                                        ; =>  This Loop Header: Depth=2
                                        ;       Child Loop BB209_45 Depth 3
                                        ;         Child Loop BB209_46 Depth 4
                                        ;         Child Loop BB209_48 Depth 4
                                        ;           Child Loop BB209_49 Depth 5
                                        ;         Child Loop BB209_53 Depth 4
                                        ;           Child Loop BB209_55 Depth 5
	s_load_b32 s28, s[12:13], s27 offset:0x0 scale_offset
	s_wait_kmcnt 0x0
	s_add_co_i32 s29, s28, -1
	s_delay_alu instid0(SALU_CYCLE_1)
	s_cmp_lt_i32 s23, s29
	s_cbranch_scc1 .LBB209_41
; %bb.43:                               ;   in Loop: Header=BB209_42 Depth=2
	v_mad_u32 v4, 0xc0, s23, v9
	s_lshl_b32 s33, s23, 4
	s_lshl_b32 s34, s28, 4
	s_max_i32 s30, s28, 1
	s_mul_i32 s31, s28, 0xffffff40
	s_add_co_i32 s33, s22, s33
	s_sub_co_i32 s34, 0, s34
	s_mul_i32 s35, s23, 0xd0
	s_mul_i32 s36, s28, 0xffffff30
	s_branch .LBB209_45
.LBB209_44:                             ;   in Loop: Header=BB209_45 Depth=3
	v_add_nc_u32_e32 v4, s31, v4
	s_sub_co_i32 s23, s23, s28
	s_add_co_i32 s33, s33, s34
	s_add_co_i32 s35, s35, s36
	s_cmp_lt_i32 s23, s29
	s_cbranch_scc1 .LBB209_41
.LBB209_45:                             ;   Parent Loop BB209_3 Depth=1
                                        ;     Parent Loop BB209_42 Depth=2
                                        ; =>    This Loop Header: Depth=3
                                        ;         Child Loop BB209_46 Depth 4
                                        ;         Child Loop BB209_48 Depth 4
                                        ;           Child Loop BB209_49 Depth 5
                                        ;         Child Loop BB209_53 Depth 4
                                        ;           Child Loop BB209_55 Depth 5
	s_delay_alu instid0(VALU_DEP_1)
	v_mov_b32_e32 v0, v4
	s_mov_b32 s37, 0
	s_mov_b32 s38, s30
.LBB209_46:                             ;   Parent Loop BB209_3 Depth=1
                                        ;     Parent Loop BB209_42 Depth=2
                                        ;       Parent Loop BB209_45 Depth=3
                                        ; =>      This Inner Loop Header: Depth=4
	ds_load_b128 v[18:21], v0
	v_add_nc_u32_e32 v0, 0xffffff40, v0
	s_add_co_i32 s38, s38, -1
	s_wait_dscnt 0x0
	scratch_store_b128 off, v[18:21], s37
	s_wait_xcnt 0x0
	s_add_co_i32 s37, s37, 16
	s_cmp_eq_u32 s38, 0
	s_cbranch_scc0 .LBB209_46
; %bb.47:                               ;   in Loop: Header=BB209_45 Depth=3
	s_cmp_le_i32 s24, s23
	s_mov_b32 s37, s33
	s_mov_b32 s38, s24
	s_cbranch_scc1 .LBB209_51
.LBB209_48:                             ;   Parent Loop BB209_3 Depth=1
                                        ;     Parent Loop BB209_42 Depth=2
                                        ;       Parent Loop BB209_45 Depth=3
                                        ; =>      This Loop Header: Depth=4
                                        ;           Child Loop BB209_49 Depth 5
	v_mad_u32 v0, 0xc0, s38, v9
	s_mov_b32 s39, s18
	s_mov_b32 s40, s37
	;; [unrolled: 1-line block ×3, first 2 shown]
	ds_load_b128 v[0:3], v0
.LBB209_49:                             ;   Parent Loop BB209_3 Depth=1
                                        ;     Parent Loop BB209_42 Depth=2
                                        ;       Parent Loop BB209_45 Depth=3
                                        ;         Parent Loop BB209_48 Depth=4
                                        ; =>        This Inner Loop Header: Depth=5
	scratch_load_b128 v[18:21], off, s39 offset:-8
	v_mov_b32_e32 v5, s40
	s_add_co_i32 s41, s41, -1
	s_add_co_i32 s40, s40, -16
	ds_load_b128 v[22:25], v5
	s_wait_dscnt 0x0
	v_mul_f64_e32 v[6:7], v[2:3], v[24:25]
	v_mul_f64_e32 v[24:25], v[0:1], v[24:25]
	s_delay_alu instid0(VALU_DEP_2) | instskip(NEXT) | instid1(VALU_DEP_2)
	v_fma_f64 v[6:7], v[0:1], v[22:23], -v[6:7]
	v_fmac_f64_e32 v[24:25], v[2:3], v[22:23]
	s_wait_loadcnt 0x0
	s_delay_alu instid0(VALU_DEP_2) | instskip(NEXT) | instid1(VALU_DEP_2)
	v_add_f64_e64 v[18:19], v[18:19], -v[6:7]
	v_add_f64_e64 v[20:21], v[20:21], -v[24:25]
	scratch_store_b128 off, v[18:21], s39 offset:-8
	s_wait_xcnt 0x0
	s_add_co_i32 s39, s39, 16
	s_cmp_eq_u32 s41, 0
	s_cbranch_scc0 .LBB209_49
; %bb.50:                               ;   in Loop: Header=BB209_48 Depth=4
	s_add_co_i32 s38, s38, -1
	s_addk_co_i32 s37, 0xff40
	s_cmp_le_i32 s38, s23
	s_cbranch_scc0 .LBB209_48
.LBB209_51:                             ;   in Loop: Header=BB209_45 Depth=3
	s_mov_b32 s37, 0
	s_mov_b32 s38, s35
	s_branch .LBB209_53
.LBB209_52:                             ;   in Loop: Header=BB209_53 Depth=4
	s_mul_i32 s40, s39, 0xd0
	s_add_co_i32 s38, s38, -16
	v_mov_b32_e32 v5, s40
	ds_load_b128 v[18:21], v5
	s_wait_loadcnt_dscnt 0x0
	v_mul_f64_e32 v[6:7], v[20:21], v[2:3]
	s_wait_xcnt 0x0
	v_mul_f64_e32 v[24:25], v[18:19], v[2:3]
	s_delay_alu instid0(VALU_DEP_2) | instskip(NEXT) | instid1(VALU_DEP_2)
	v_fma_f64 v[22:23], v[18:19], v[0:1], -v[6:7]
	v_fmac_f64_e32 v[24:25], v[20:21], v[0:1]
	v_mad_u32 v0, 0xc0, s39, v9
	s_lshl_b32 s39, s37, 4
	s_add_co_i32 s37, s37, 1
	s_delay_alu instid0(SALU_CYCLE_1)
	s_cmp_eq_u32 s37, s30
	scratch_store_b128 off, v[22:25], s39
	ds_store_b128 v0, v[22:25]
	s_cbranch_scc1 .LBB209_44
.LBB209_53:                             ;   Parent Loop BB209_3 Depth=1
                                        ;     Parent Loop BB209_42 Depth=2
                                        ;       Parent Loop BB209_45 Depth=3
                                        ; =>      This Loop Header: Depth=4
                                        ;           Child Loop BB209_55 Depth 5
	s_cmp_lg_u32 s37, 0
	s_cbranch_scc0 .LBB209_57
; %bb.54:                               ;   in Loop: Header=BB209_53 Depth=4
	s_lshl_b32 s40, s37, 4
	s_wait_xcnt 0x0
	s_sub_co_i32 s39, s23, s37
	scratch_load_b128 v[0:3], off, s40
	s_mov_b32 s41, s18
	s_mov_b32 s42, s38
	;; [unrolled: 1-line block ×3, first 2 shown]
.LBB209_55:                             ;   Parent Loop BB209_3 Depth=1
                                        ;     Parent Loop BB209_42 Depth=2
                                        ;       Parent Loop BB209_45 Depth=3
                                        ;         Parent Loop BB209_53 Depth=4
                                        ; =>        This Inner Loop Header: Depth=5
	scratch_load_b128 v[18:21], off, s41 offset:-8
	v_mov_b32_e32 v5, s42
	s_add_co_i32 s43, s43, -1
	s_addk_co_i32 s42, 0xff40
	s_wait_xcnt 0x0
	s_add_co_i32 s41, s41, 16
	s_cmp_eq_u32 s43, 0
	ds_load_b128 v[22:25], v5
	s_wait_loadcnt_dscnt 0x0
	v_mul_f64_e32 v[6:7], v[24:25], v[20:21]
	v_mul_f64_e32 v[20:21], v[22:23], v[20:21]
	s_delay_alu instid0(VALU_DEP_2) | instskip(NEXT) | instid1(VALU_DEP_2)
	v_fma_f64 v[6:7], v[22:23], v[18:19], -v[6:7]
	v_fmac_f64_e32 v[20:21], v[24:25], v[18:19]
	s_delay_alu instid0(VALU_DEP_2) | instskip(NEXT) | instid1(VALU_DEP_2)
	v_add_f64_e64 v[0:1], v[0:1], -v[6:7]
	v_add_f64_e64 v[2:3], v[2:3], -v[20:21]
	scratch_store_b128 off, v[0:3], s40
	s_cbranch_scc0 .LBB209_55
; %bb.56:                               ;   in Loop: Header=BB209_53 Depth=4
	s_wait_xcnt 0x0
	s_branch .LBB209_52
.LBB209_57:                             ;   in Loop: Header=BB209_53 Depth=4
                                        ; implicit-def: $vgpr0_vgpr1
                                        ; implicit-def: $sgpr39
	s_cbranch_execz .LBB209_52
; %bb.58:                               ;   in Loop: Header=BB209_53 Depth=4
	scratch_load_b128 v[0:3], off, off
	s_wait_xcnt 0x1
	s_mov_b32 s39, s23
	s_branch .LBB209_52
.LBB209_59:                             ;   in Loop: Header=BB209_3 Depth=1
	; wave barrier
	s_wait_storecnt_dscnt 0x0
	s_wait_xcnt 0x0
	s_and_saveexec_b32 s23, s1
	s_cbranch_execz .LBB209_2
; %bb.60:                               ;   in Loop: Header=BB209_3 Depth=1
	v_add_nc_u64_e32 v[0:1], s[16:17], v[10:11]
	v_mov_b32_e32 v2, v9
	s_mov_b32 s16, s19
.LBB209_61:                             ;   Parent Loop BB209_3 Depth=1
                                        ; =>  This Inner Loop Header: Depth=2
	ds_load_2addr_b64 v[4:7], v2 offset1:1
	v_add_nc_u32_e32 v2, 0xc0, v2
	s_add_co_i32 s16, s16, -1
	s_delay_alu instid0(SALU_CYCLE_1)
	s_cmp_lg_u32 s16, 0
	s_wait_dscnt 0x0
	global_store_b128 v[0:1], v[4:7], off
	s_wait_xcnt 0x0
	v_add_nc_u64_e32 v[0:1], 16, v[0:1]
	s_cbranch_scc1 .LBB209_61
	s_branch .LBB209_2
.LBB209_62:
	s_endpgm
	.section	.rodata,"a",@progbits
	.p2align	6, 0x0
	.amdhsa_kernel _ZL38rocblas_trsm_small_left_device_sharedBILi12ELi12ELb0E19rocblas_complex_numIdES1_PKS1_PS1_Ev13rocblas_fill_18rocblas_operation_17rocblas_diagonal_iiT3_T4_lilT5_lili
		.amdhsa_group_segment_fixed_size 4608
		.amdhsa_private_segment_fixed_size 208
		.amdhsa_kernarg_size 368
		.amdhsa_user_sgpr_count 2
		.amdhsa_user_sgpr_dispatch_ptr 0
		.amdhsa_user_sgpr_queue_ptr 0
		.amdhsa_user_sgpr_kernarg_segment_ptr 1
		.amdhsa_user_sgpr_dispatch_id 0
		.amdhsa_user_sgpr_kernarg_preload_length 0
		.amdhsa_user_sgpr_kernarg_preload_offset 0
		.amdhsa_user_sgpr_private_segment_size 0
		.amdhsa_wavefront_size32 1
		.amdhsa_uses_dynamic_stack 0
		.amdhsa_enable_private_segment 1
		.amdhsa_system_sgpr_workgroup_id_x 1
		.amdhsa_system_sgpr_workgroup_id_y 0
		.amdhsa_system_sgpr_workgroup_id_z 1
		.amdhsa_system_sgpr_workgroup_info 0
		.amdhsa_system_vgpr_workitem_id 0
		.amdhsa_next_free_vgpr 26
		.amdhsa_next_free_sgpr 45
		.amdhsa_named_barrier_count 0
		.amdhsa_reserve_vcc 1
		.amdhsa_float_round_mode_32 0
		.amdhsa_float_round_mode_16_64 0
		.amdhsa_float_denorm_mode_32 3
		.amdhsa_float_denorm_mode_16_64 3
		.amdhsa_fp16_overflow 0
		.amdhsa_memory_ordered 1
		.amdhsa_forward_progress 1
		.amdhsa_inst_pref_size 22
		.amdhsa_round_robin_scheduling 0
		.amdhsa_exception_fp_ieee_invalid_op 0
		.amdhsa_exception_fp_denorm_src 0
		.amdhsa_exception_fp_ieee_div_zero 0
		.amdhsa_exception_fp_ieee_overflow 0
		.amdhsa_exception_fp_ieee_underflow 0
		.amdhsa_exception_fp_ieee_inexact 0
		.amdhsa_exception_int_div_zero 0
	.end_amdhsa_kernel
	.section	.text._ZL38rocblas_trsm_small_left_device_sharedBILi12ELi12ELb0E19rocblas_complex_numIdES1_PKS1_PS1_Ev13rocblas_fill_18rocblas_operation_17rocblas_diagonal_iiT3_T4_lilT5_lili,"axG",@progbits,_ZL38rocblas_trsm_small_left_device_sharedBILi12ELi12ELb0E19rocblas_complex_numIdES1_PKS1_PS1_Ev13rocblas_fill_18rocblas_operation_17rocblas_diagonal_iiT3_T4_lilT5_lili,comdat
.Lfunc_end209:
	.size	_ZL38rocblas_trsm_small_left_device_sharedBILi12ELi12ELb0E19rocblas_complex_numIdES1_PKS1_PS1_Ev13rocblas_fill_18rocblas_operation_17rocblas_diagonal_iiT3_T4_lilT5_lili, .Lfunc_end209-_ZL38rocblas_trsm_small_left_device_sharedBILi12ELi12ELb0E19rocblas_complex_numIdES1_PKS1_PS1_Ev13rocblas_fill_18rocblas_operation_17rocblas_diagonal_iiT3_T4_lilT5_lili
                                        ; -- End function
	.set _ZL38rocblas_trsm_small_left_device_sharedBILi12ELi12ELb0E19rocblas_complex_numIdES1_PKS1_PS1_Ev13rocblas_fill_18rocblas_operation_17rocblas_diagonal_iiT3_T4_lilT5_lili.num_vgpr, 26
	.set _ZL38rocblas_trsm_small_left_device_sharedBILi12ELi12ELb0E19rocblas_complex_numIdES1_PKS1_PS1_Ev13rocblas_fill_18rocblas_operation_17rocblas_diagonal_iiT3_T4_lilT5_lili.num_agpr, 0
	.set _ZL38rocblas_trsm_small_left_device_sharedBILi12ELi12ELb0E19rocblas_complex_numIdES1_PKS1_PS1_Ev13rocblas_fill_18rocblas_operation_17rocblas_diagonal_iiT3_T4_lilT5_lili.numbered_sgpr, 45
	.set _ZL38rocblas_trsm_small_left_device_sharedBILi12ELi12ELb0E19rocblas_complex_numIdES1_PKS1_PS1_Ev13rocblas_fill_18rocblas_operation_17rocblas_diagonal_iiT3_T4_lilT5_lili.num_named_barrier, 0
	.set _ZL38rocblas_trsm_small_left_device_sharedBILi12ELi12ELb0E19rocblas_complex_numIdES1_PKS1_PS1_Ev13rocblas_fill_18rocblas_operation_17rocblas_diagonal_iiT3_T4_lilT5_lili.private_seg_size, 208
	.set _ZL38rocblas_trsm_small_left_device_sharedBILi12ELi12ELb0E19rocblas_complex_numIdES1_PKS1_PS1_Ev13rocblas_fill_18rocblas_operation_17rocblas_diagonal_iiT3_T4_lilT5_lili.uses_vcc, 1
	.set _ZL38rocblas_trsm_small_left_device_sharedBILi12ELi12ELb0E19rocblas_complex_numIdES1_PKS1_PS1_Ev13rocblas_fill_18rocblas_operation_17rocblas_diagonal_iiT3_T4_lilT5_lili.uses_flat_scratch, 0
	.set _ZL38rocblas_trsm_small_left_device_sharedBILi12ELi12ELb0E19rocblas_complex_numIdES1_PKS1_PS1_Ev13rocblas_fill_18rocblas_operation_17rocblas_diagonal_iiT3_T4_lilT5_lili.has_dyn_sized_stack, 0
	.set _ZL38rocblas_trsm_small_left_device_sharedBILi12ELi12ELb0E19rocblas_complex_numIdES1_PKS1_PS1_Ev13rocblas_fill_18rocblas_operation_17rocblas_diagonal_iiT3_T4_lilT5_lili.has_recursion, 0
	.set _ZL38rocblas_trsm_small_left_device_sharedBILi12ELi12ELb0E19rocblas_complex_numIdES1_PKS1_PS1_Ev13rocblas_fill_18rocblas_operation_17rocblas_diagonal_iiT3_T4_lilT5_lili.has_indirect_call, 0
	.section	.AMDGPU.csdata,"",@progbits
; Kernel info:
; codeLenInByte = 2748
; TotalNumSgprs: 47
; NumVgprs: 26
; ScratchSize: 208
; MemoryBound: 0
; FloatMode: 240
; IeeeMode: 1
; LDSByteSize: 4608 bytes/workgroup (compile time only)
; SGPRBlocks: 0
; VGPRBlocks: 1
; NumSGPRsForWavesPerEU: 47
; NumVGPRsForWavesPerEU: 26
; NamedBarCnt: 0
; Occupancy: 16
; WaveLimiterHint : 0
; COMPUTE_PGM_RSRC2:SCRATCH_EN: 1
; COMPUTE_PGM_RSRC2:USER_SGPR: 2
; COMPUTE_PGM_RSRC2:TRAP_HANDLER: 0
; COMPUTE_PGM_RSRC2:TGID_X_EN: 1
; COMPUTE_PGM_RSRC2:TGID_Y_EN: 0
; COMPUTE_PGM_RSRC2:TGID_Z_EN: 1
; COMPUTE_PGM_RSRC2:TIDIG_COMP_CNT: 0
	.section	.text._ZL30rocblas_trsm_small_left_deviceILi12ELi12ELb0E19rocblas_complex_numIdES1_PKS1_PS1_Ev13rocblas_fill_18rocblas_operation_17rocblas_diagonal_iiT3_T4_lilT5_lili,"axG",@progbits,_ZL30rocblas_trsm_small_left_deviceILi12ELi12ELb0E19rocblas_complex_numIdES1_PKS1_PS1_Ev13rocblas_fill_18rocblas_operation_17rocblas_diagonal_iiT3_T4_lilT5_lili,comdat
	.globl	_ZL30rocblas_trsm_small_left_deviceILi12ELi12ELb0E19rocblas_complex_numIdES1_PKS1_PS1_Ev13rocblas_fill_18rocblas_operation_17rocblas_diagonal_iiT3_T4_lilT5_lili ; -- Begin function _ZL30rocblas_trsm_small_left_deviceILi12ELi12ELb0E19rocblas_complex_numIdES1_PKS1_PS1_Ev13rocblas_fill_18rocblas_operation_17rocblas_diagonal_iiT3_T4_lilT5_lili
	.p2align	8
	.type	_ZL30rocblas_trsm_small_left_deviceILi12ELi12ELb0E19rocblas_complex_numIdES1_PKS1_PS1_Ev13rocblas_fill_18rocblas_operation_17rocblas_diagonal_iiT3_T4_lilT5_lili,@function
_ZL30rocblas_trsm_small_left_deviceILi12ELi12ELb0E19rocblas_complex_numIdES1_PKS1_PS1_Ev13rocblas_fill_18rocblas_operation_17rocblas_diagonal_iiT3_T4_lilT5_lili: ; @_ZL30rocblas_trsm_small_left_deviceILi12ELi12ELb0E19rocblas_complex_numIdES1_PKS1_PS1_Ev13rocblas_fill_18rocblas_operation_17rocblas_diagonal_iiT3_T4_lilT5_lili
; %bb.0:
	s_load_b32 s33, s[2:3], 0x68
	s_bfe_u32 s4, ttmp6, 0x40014
	s_lshr_b32 s5, ttmp7, 16
	s_add_co_i32 s4, s4, 1
	s_bfe_u32 s6, ttmp6, 0x40008
	s_mul_i32 s4, s5, s4
	s_getreg_b32 s7, hwreg(HW_REG_IB_STS2, 6, 4)
	s_add_co_i32 s6, s6, s4
	s_cmp_eq_u32 s7, 0
	s_mov_b32 s23, 0
	s_cselect_b32 s20, s5, s6
	s_wait_kmcnt 0x0
	s_cmp_ge_u32 s20, s33
	s_cbranch_scc1 .LBB210_58
; %bb.1:
	s_clause 0x1
	s_load_b32 s26, s[2:3], 0x38
	s_load_b96 s[4:6], s[2:3], 0x50
	s_load_b64 s[28:29], s[0:1], 0x4
	s_clause 0x3
	s_load_b128 s[12:15], s[2:3], 0x4
	s_load_b32 s8, s[2:3], 0x70
	s_load_b64 s[24:25], s[2:3], 0x60
	s_load_b128 s[16:19], s[2:3], 0x40
	v_and_b32_e32 v4, 0x3ff, v0
	v_bfe_u32 v1, v0, 10, 10
	v_bfe_u32 v0, v0, 20, 10
	s_mov_b32 s38, 0
	s_delay_alu instid0(VALU_DEP_3) | instskip(SKIP_1) | instid1(VALU_DEP_1)
	v_dual_mov_b32 v9, 0 :: v_dual_lshlrev_b32 v8, 4, v4
	v_mul_u32_u24_e32 v6, 0xc0, v4
	v_add_nc_u32_e32 v18, v8, v6
	s_wait_kmcnt 0x0
	s_ashr_i32 s27, s26, 31
	s_ashr_i32 s9, s6, 31
	s_lshr_b32 s1, s28, 16
	s_cmp_eq_u32 s12, 0x71
	s_mul_i32 s1, s1, s29
	s_cselect_b32 s0, -1, 0
	s_lshl_b64 s[30:31], s[4:5], 4
	s_bfe_u32 s4, ttmp6, 0x4000c
	s_min_i32 s34, s14, 12
	s_add_co_i32 s4, s4, 1
	s_and_b32 s5, ttmp6, 15
	s_mul_i32 s4, ttmp9, s4
	s_add_co_i32 s14, s8, -1
	s_add_co_i32 s35, s34, -1
	s_add_co_i32 s5, s5, s4
	s_cmp_eq_u32 s7, 0
	s_mov_b32 s8, s6
	s_cselect_b32 s21, ttmp9, s5
	v_mul_u32_u24_e32 v1, s29, v1
	v_mad_u32 v2, s21, 12, v4
	v_mul_u32_u24_e32 v5, s1, v4
	v_cmp_gt_i32_e64 s1, s34, v4
	s_mul_i32 s37, s34, 0xc0
	v_add3_u32 v5, v5, v1, v0
	v_ashrrev_i32_e32 v3, 31, v2
	s_delay_alu instid0(VALU_DEP_1)
	v_mul_u64_e32 v[2:3], s[8:9], v[2:3]
	s_load_b256 s[4:11], s[2:3], 0x18
	s_wait_xcnt 0x0
	s_mul_i32 s3, s21, -12
	s_movk_i32 s2, 0xc0
	s_add_co_i32 s3, s15, s3
	s_cmp_ge_u32 s21, s14
	s_cselect_b32 s14, s3, 12
	s_cmp_lg_u32 s13, 0x84
	s_cselect_b32 s3, -1, 0
	s_cmp_lg_u32 s12, 0x6f
	s_get_pc_i64 s[12:13]
	s_add_nc_u64 s[12:13], s[12:13], __const._ZL30rocblas_trsm_small_left_deviceILi12ELi12ELb0E19rocblas_complex_numIdES1_PKS1_PS1_Ev13rocblas_fill_18rocblas_operation_17rocblas_diagonal_iiT3_T4_lilT5_lili.step_sizes@rel64+4
	s_cselect_b32 s36, -1, 0
	s_addk_co_i32 s37, 0xff40
	s_wait_kmcnt 0x0
	s_lshl_b64 s[10:11], s[10:11], 4
	s_delay_alu instid0(SALU_CYCLE_1)
	s_add_nc_u64 s[8:9], s[8:9], s[10:11]
	s_add_nc_u64 s[10:11], s[18:19], s[30:31]
	v_add_nc_u64_e32 v[0:1], s[8:9], v[8:9]
	v_mad_u32 v9, v5, s2, 0x900
	v_cmp_gt_i32_e64 s2, s14, v4
	s_lshl_b64 s[8:9], s[16:17], 4
	s_lshl_b64 s[14:15], s[24:25], 4
	v_lshl_add_u64 v[10:11], v[2:3], 4, s[10:11]
	v_add_nc_u64_e32 v[12:13], 8, v[0:1]
	s_lshl_b64 s[10:11], s[26:27], 4
	s_delay_alu instid0(VALU_DEP_2)
	v_add_nc_u64_e32 v[14:15], 8, v[10:11]
	s_branch .LBB210_4
.LBB210_2:                              ;   in Loop: Header=BB210_4 Depth=1
	s_add_co_i32 s20, s20, 0x10000
	s_delay_alu instid0(SALU_CYCLE_1) | instskip(SKIP_1) | instid1(SALU_CYCLE_1)
	s_cmp_ge_u32 s20, s33
	s_cselect_b32 s16, -1, 0
	s_or_not1_b32 s16, s16, exec_lo
.LBB210_3:                              ;   in Loop: Header=BB210_4 Depth=1
	s_wait_xcnt 0x0
	s_or_b32 exec_lo, exec_lo, s39
	s_delay_alu instid0(SALU_CYCLE_1) | instskip(NEXT) | instid1(SALU_CYCLE_1)
	s_and_b32 s16, exec_lo, s16
	s_or_b32 s38, s16, s38
	s_delay_alu instid0(SALU_CYCLE_1)
	s_and_not1_b32 exec_lo, exec_lo, s38
	s_cbranch_execz .LBB210_58
.LBB210_4:                              ; =>This Loop Header: Depth=1
                                        ;     Child Loop BB210_6 Depth 2
                                        ;     Child Loop BB210_19 Depth 2
                                        ;       Child Loop BB210_22 Depth 3
                                        ;         Child Loop BB210_23 Depth 4
                                        ;         Child Loop BB210_26 Depth 4
                                        ;           Child Loop BB210_27 Depth 5
                                        ;         Child Loop BB210_31 Depth 4
                                        ;           Child Loop BB210_33 Depth 5
                                        ;     Child Loop BB210_41 Depth 2
                                        ;       Child Loop BB210_44 Depth 3
                                        ;         Child Loop BB210_45 Depth 4
                                        ;         Child Loop BB210_47 Depth 4
                                        ;           Child Loop BB210_48 Depth 5
                                        ;         Child Loop BB210_52 Depth 4
                                        ;           Child Loop BB210_54 Depth 5
	s_mov_b32 s21, s23
	s_and_saveexec_b32 s16, s1
	s_cbranch_execz .LBB210_15
; %bb.5:                                ;   in Loop: Header=BB210_4 Depth=1
	v_mad_nc_u64_u32 v[0:1], s8, s20, v[12:13]
	v_mov_b32_e32 v2, v8
	s_mov_b32 s17, s34
	s_delay_alu instid0(VALU_DEP_2)
	v_mad_u32 v1, s9, s20, v1
.LBB210_6:                              ;   Parent Loop BB210_4 Depth=1
                                        ; =>  This Inner Loop Header: Depth=2
	global_load_b128 v[4:7], v[0:1], off offset:-8
	s_wait_xcnt 0x0
	v_add_nc_u64_e32 v[0:1], s[10:11], v[0:1]
	s_add_co_i32 s17, s17, -1
	s_delay_alu instid0(SALU_CYCLE_1) | instskip(SKIP_2) | instid1(VALU_DEP_1)
	s_cmp_eq_u32 s17, 0
	s_wait_loadcnt 0x0
	v_xor_b32_e32 v3, 0x80000000, v7
	v_cndmask_b32_e64 v7, v7, v3, s0
	ds_store_b128 v2, v[4:7]
	v_add_nc_u32_e32 v2, 0xc0, v2
	s_cbranch_scc0 .LBB210_6
; %bb.7:                                ;   in Loop: Header=BB210_4 Depth=1
	s_and_b32 vcc_lo, exec_lo, s3
	s_cbranch_vccz .LBB210_13
; %bb.8:                                ;   in Loop: Header=BB210_4 Depth=1
	ds_load_b128 v[0:3], v18
                                        ; implicit-def: $vgpr6_vgpr7
	s_wait_dscnt 0x0
	v_cmp_ngt_f64_e64 s17, |v[0:1]|, |v[2:3]|
	s_and_saveexec_b32 s18, s17
	s_delay_alu instid0(SALU_CYCLE_1)
	s_xor_b32 s17, exec_lo, s18
	s_cbranch_execz .LBB210_10
; %bb.9:                                ;   in Loop: Header=BB210_4 Depth=1
	v_div_scale_f64 v[4:5], null, v[2:3], v[2:3], v[0:1]
	v_div_scale_f64 v[20:21], vcc_lo, v[0:1], v[2:3], v[0:1]
	s_delay_alu instid0(VALU_DEP_2) | instskip(SKIP_1) | instid1(TRANS32_DEP_1)
	v_rcp_f64_e32 v[6:7], v[4:5]
	v_nop
	v_fma_f64 v[16:17], -v[4:5], v[6:7], 1.0
	s_delay_alu instid0(VALU_DEP_1) | instskip(NEXT) | instid1(VALU_DEP_1)
	v_fmac_f64_e32 v[6:7], v[6:7], v[16:17]
	v_fma_f64 v[16:17], -v[4:5], v[6:7], 1.0
	s_delay_alu instid0(VALU_DEP_1) | instskip(NEXT) | instid1(VALU_DEP_1)
	v_fmac_f64_e32 v[6:7], v[6:7], v[16:17]
	v_mul_f64_e32 v[16:17], v[20:21], v[6:7]
	s_delay_alu instid0(VALU_DEP_1) | instskip(NEXT) | instid1(VALU_DEP_1)
	v_fma_f64 v[4:5], -v[4:5], v[16:17], v[20:21]
	v_div_fmas_f64 v[4:5], v[4:5], v[6:7], v[16:17]
	s_delay_alu instid0(VALU_DEP_1) | instskip(NEXT) | instid1(VALU_DEP_1)
	v_div_fixup_f64 v[4:5], v[4:5], v[2:3], v[0:1]
	v_fmac_f64_e32 v[2:3], v[0:1], v[4:5]
	s_delay_alu instid0(VALU_DEP_1) | instskip(SKIP_1) | instid1(VALU_DEP_2)
	v_div_scale_f64 v[0:1], null, v[2:3], v[2:3], 1.0
	v_div_scale_f64 v[20:21], vcc_lo, 1.0, v[2:3], 1.0
	v_rcp_f64_e32 v[6:7], v[0:1]
	v_nop
	s_delay_alu instid0(TRANS32_DEP_1) | instskip(NEXT) | instid1(VALU_DEP_1)
	v_fma_f64 v[16:17], -v[0:1], v[6:7], 1.0
	v_fmac_f64_e32 v[6:7], v[6:7], v[16:17]
	s_delay_alu instid0(VALU_DEP_1) | instskip(NEXT) | instid1(VALU_DEP_1)
	v_fma_f64 v[16:17], -v[0:1], v[6:7], 1.0
	v_fmac_f64_e32 v[6:7], v[6:7], v[16:17]
	s_delay_alu instid0(VALU_DEP_1) | instskip(NEXT) | instid1(VALU_DEP_1)
	v_mul_f64_e32 v[16:17], v[20:21], v[6:7]
	v_fma_f64 v[0:1], -v[0:1], v[16:17], v[20:21]
	s_delay_alu instid0(VALU_DEP_1) | instskip(SKIP_1) | instid1(VALU_DEP_2)
	v_div_fmas_f64 v[0:1], v[0:1], v[6:7], v[16:17]
	v_add_f64_e32 v[6:7], 0, v[4:5]
	v_div_fixup_f64 v[0:1], v[0:1], v[2:3], 1.0
	v_fma_f64 v[2:3], v[4:5], 0, -1.0
	s_delay_alu instid0(VALU_DEP_2) | instskip(NEXT) | instid1(VALU_DEP_2)
	v_mul_f64_e32 v[4:5], v[6:7], v[0:1]
	v_mul_f64_e32 v[6:7], v[2:3], v[0:1]
                                        ; implicit-def: $vgpr0_vgpr1
.LBB210_10:                             ;   in Loop: Header=BB210_4 Depth=1
	s_and_not1_saveexec_b32 s17, s17
	s_cbranch_execz .LBB210_12
; %bb.11:                               ;   in Loop: Header=BB210_4 Depth=1
	v_div_scale_f64 v[4:5], null, v[0:1], v[0:1], v[2:3]
	v_div_scale_f64 v[20:21], vcc_lo, v[2:3], v[0:1], v[2:3]
	s_delay_alu instid0(VALU_DEP_2) | instskip(SKIP_1) | instid1(TRANS32_DEP_1)
	v_rcp_f64_e32 v[6:7], v[4:5]
	v_nop
	v_fma_f64 v[16:17], -v[4:5], v[6:7], 1.0
	s_delay_alu instid0(VALU_DEP_1) | instskip(NEXT) | instid1(VALU_DEP_1)
	v_fmac_f64_e32 v[6:7], v[6:7], v[16:17]
	v_fma_f64 v[16:17], -v[4:5], v[6:7], 1.0
	s_delay_alu instid0(VALU_DEP_1) | instskip(NEXT) | instid1(VALU_DEP_1)
	v_fmac_f64_e32 v[6:7], v[6:7], v[16:17]
	v_mul_f64_e32 v[16:17], v[20:21], v[6:7]
	s_delay_alu instid0(VALU_DEP_1) | instskip(NEXT) | instid1(VALU_DEP_1)
	v_fma_f64 v[4:5], -v[4:5], v[16:17], v[20:21]
	v_div_fmas_f64 v[4:5], v[4:5], v[6:7], v[16:17]
	s_delay_alu instid0(VALU_DEP_1) | instskip(NEXT) | instid1(VALU_DEP_1)
	v_div_fixup_f64 v[4:5], v[4:5], v[0:1], v[2:3]
	v_fmac_f64_e32 v[0:1], v[2:3], v[4:5]
	s_delay_alu instid0(VALU_DEP_1) | instskip(SKIP_1) | instid1(VALU_DEP_2)
	v_div_scale_f64 v[2:3], null, v[0:1], v[0:1], 1.0
	v_div_scale_f64 v[20:21], vcc_lo, 1.0, v[0:1], 1.0
	v_rcp_f64_e32 v[6:7], v[2:3]
	v_nop
	s_delay_alu instid0(TRANS32_DEP_1) | instskip(NEXT) | instid1(VALU_DEP_1)
	v_fma_f64 v[16:17], -v[2:3], v[6:7], 1.0
	v_fmac_f64_e32 v[6:7], v[6:7], v[16:17]
	s_delay_alu instid0(VALU_DEP_1) | instskip(NEXT) | instid1(VALU_DEP_1)
	v_fma_f64 v[16:17], -v[2:3], v[6:7], 1.0
	v_fmac_f64_e32 v[6:7], v[6:7], v[16:17]
	s_delay_alu instid0(VALU_DEP_1) | instskip(NEXT) | instid1(VALU_DEP_1)
	v_mul_f64_e32 v[16:17], v[20:21], v[6:7]
	v_fma_f64 v[2:3], -v[2:3], v[16:17], v[20:21]
	s_delay_alu instid0(VALU_DEP_1) | instskip(SKIP_1) | instid1(VALU_DEP_2)
	v_div_fmas_f64 v[2:3], v[2:3], v[6:7], v[16:17]
	v_fma_f64 v[6:7], v[4:5], 0, 1.0
	v_div_fixup_f64 v[0:1], v[2:3], v[0:1], 1.0
	v_add_f64_e64 v[2:3], -v[4:5], 0
	s_delay_alu instid0(VALU_DEP_2) | instskip(NEXT) | instid1(VALU_DEP_2)
	v_mul_f64_e32 v[4:5], v[6:7], v[0:1]
	v_mul_f64_e32 v[6:7], v[2:3], v[0:1]
.LBB210_12:                             ;   in Loop: Header=BB210_4 Depth=1
	s_or_b32 exec_lo, exec_lo, s17
	s_branch .LBB210_14
.LBB210_13:                             ;   in Loop: Header=BB210_4 Depth=1
	v_mov_b64_e32 v[6:7], 0
	v_mov_b64_e32 v[4:5], 1.0
.LBB210_14:                             ;   in Loop: Header=BB210_4 Depth=1
	ds_store_b128 v18, v[4:7]
.LBB210_15:                             ;   in Loop: Header=BB210_4 Depth=1
	s_or_b32 exec_lo, exec_lo, s16
	s_mov_b32 s16, -1
	s_wait_dscnt 0x0
	; wave barrier
	s_and_saveexec_b32 s39, s2
	s_cbranch_execz .LBB210_3
; %bb.16:                               ;   in Loop: Header=BB210_4 Depth=1
	s_mul_u64 s[16:17], s[24:25], s[20:21]
	s_and_not1_b32 vcc_lo, exec_lo, s36
	v_lshl_add_u64 v[4:5], s[16:17], 4, v[10:11]
	s_mul_u64 s[16:17], s[14:15], s[20:21]
	s_mov_b32 s18, -1
	s_cbranch_vccnz .LBB210_38
; %bb.17:                               ;   in Loop: Header=BB210_4 Depth=1
	v_add_nc_u64_e32 v[6:7], s[16:17], v[14:15]
	s_mov_b32 s21, 0
	s_mov_b32 s18, 0
	s_branch .LBB210_19
.LBB210_18:                             ;   in Loop: Header=BB210_19 Depth=2
	s_cmp_lt_i32 s18, s34
	s_cselect_b32 s19, -1, 0
	s_add_co_i32 s22, s21, 1
	s_cmp_lt_u32 s21, 2
	s_wait_xcnt 0x0
	s_cselect_b32 s21, -1, 0
	s_delay_alu instid0(SALU_CYCLE_1)
	s_and_b32 s19, s19, s21
	s_mov_b32 s21, s22
	s_and_b32 vcc_lo, exec_lo, s19
	s_cbranch_vccz .LBB210_37
.LBB210_19:                             ;   Parent Loop BB210_4 Depth=1
                                        ; =>  This Loop Header: Depth=2
                                        ;       Child Loop BB210_22 Depth 3
                                        ;         Child Loop BB210_23 Depth 4
                                        ;         Child Loop BB210_26 Depth 4
                                        ;           Child Loop BB210_27 Depth 5
                                        ;         Child Loop BB210_31 Depth 4
                                        ;           Child Loop BB210_33 Depth 5
	s_load_b32 s26, s[12:13], s21 offset:0x0 scale_offset
	s_wait_kmcnt 0x0
	s_add_co_i32 s40, s26, -1
	s_delay_alu instid0(SALU_CYCLE_1) | instskip(NEXT) | instid1(SALU_CYCLE_1)
	s_add_co_i32 s19, s40, s18
	s_cmp_ge_i32 s19, s34
	s_cbranch_scc1 .LBB210_18
; %bb.20:                               ;   in Loop: Header=BB210_19 Depth=2
	s_ashr_i32 s19, s18, 31
	s_ashr_i32 s27, s26, 31
	v_lshl_add_u64 v[16:17], s[18:19], 4, v[6:7]
	s_max_i32 s41, s26, 1
	s_lshl_b64 s[28:29], s[26:27], 4
	s_mul_i32 s19, s18, 0xc0
	s_mul_i32 s27, s26, 0xc0
	;; [unrolled: 1-line block ×4, first 2 shown]
	s_branch .LBB210_22
.LBB210_21:                             ;   in Loop: Header=BB210_22 Depth=3
	v_add_nc_u64_e32 v[16:17], s[28:29], v[16:17]
	s_add_co_i32 s18, s18, s26
	s_add_co_i32 s19, s19, s27
	s_add_co_i32 s22, s40, s18
	s_add_co_i32 s42, s42, s43
	s_cmp_ge_i32 s22, s34
	s_cbranch_scc1 .LBB210_18
.LBB210_22:                             ;   Parent Loop BB210_4 Depth=1
                                        ;     Parent Loop BB210_19 Depth=2
                                        ; =>    This Loop Header: Depth=3
                                        ;         Child Loop BB210_23 Depth 4
                                        ;         Child Loop BB210_26 Depth 4
                                        ;           Child Loop BB210_27 Depth 5
                                        ;         Child Loop BB210_31 Depth 4
                                        ;           Child Loop BB210_33 Depth 5
	s_wait_xcnt 0x0
	v_mov_b64_e32 v[0:1], v[16:17]
	v_mov_b32_e32 v2, v9
	s_mov_b32 s22, s41
.LBB210_23:                             ;   Parent Loop BB210_4 Depth=1
                                        ;     Parent Loop BB210_19 Depth=2
                                        ;       Parent Loop BB210_22 Depth=3
                                        ; =>      This Inner Loop Header: Depth=4
	global_load_b128 v[20:23], v[0:1], off offset:-8
	s_wait_xcnt 0x0
	v_add_nc_u64_e32 v[0:1], 16, v[0:1]
	s_add_co_i32 s22, s22, -1
	s_delay_alu instid0(SALU_CYCLE_1) | instskip(SKIP_3) | instid1(VALU_DEP_2)
	s_cmp_eq_u32 s22, 0
	s_wait_loadcnt 0x0
	v_mul_f64_e32 v[26:27], s[6:7], v[22:23]
	v_mul_f64_e32 v[24:25], s[4:5], v[22:23]
	v_fma_f64 v[22:23], s[4:5], v[20:21], -v[26:27]
	s_delay_alu instid0(VALU_DEP_2)
	v_fmac_f64_e32 v[24:25], s[6:7], v[20:21]
	ds_store_b128 v2, v[22:25]
	v_add_nc_u32_e32 v2, 16, v2
	s_cbranch_scc0 .LBB210_23
; %bb.24:                               ;   in Loop: Header=BB210_22 Depth=3
	s_cmp_lt_i32 s18, 1
	s_cbranch_scc1 .LBB210_29
; %bb.25:                               ;   in Loop: Header=BB210_22 Depth=3
	s_mov_b32 s22, 0
	s_mov_b32 s30, s19
.LBB210_26:                             ;   Parent Loop BB210_4 Depth=1
                                        ;     Parent Loop BB210_19 Depth=2
                                        ;       Parent Loop BB210_22 Depth=3
                                        ; =>      This Loop Header: Depth=4
                                        ;           Child Loop BB210_27 Depth 5
	s_wait_xcnt 0x0
	v_lshl_add_u64 v[0:1], s[22:23], 4, v[4:5]
	v_mov_b32_e32 v19, v9
	s_mov_b32 s31, s30
	s_mov_b32 s44, s41
	global_load_b128 v[0:3], v[0:1], off
.LBB210_27:                             ;   Parent Loop BB210_4 Depth=1
                                        ;     Parent Loop BB210_19 Depth=2
                                        ;       Parent Loop BB210_22 Depth=3
                                        ;         Parent Loop BB210_26 Depth=4
                                        ; =>        This Inner Loop Header: Depth=5
	v_mov_b32_e32 v20, s31
	s_add_co_i32 s44, s44, -1
	s_addk_co_i32 s31, 0xc0
	s_cmp_eq_u32 s44, 0
	ds_load_b128 v[20:23], v20
	s_wait_loadcnt_dscnt 0x0
	v_mul_f64_e32 v[24:25], v[2:3], v[22:23]
	v_mul_f64_e32 v[26:27], v[0:1], v[22:23]
	s_delay_alu instid0(VALU_DEP_2) | instskip(NEXT) | instid1(VALU_DEP_2)
	v_fma_f64 v[24:25], v[0:1], v[20:21], -v[24:25]
	v_fmac_f64_e32 v[26:27], v[2:3], v[20:21]
	ds_load_b128 v[20:23], v19
	s_wait_dscnt 0x0
	v_add_f64_e64 v[20:21], v[20:21], -v[24:25]
	v_add_f64_e64 v[22:23], v[22:23], -v[26:27]
	ds_store_b128 v19, v[20:23]
	v_add_nc_u32_e32 v19, 16, v19
	s_cbranch_scc0 .LBB210_27
; %bb.28:                               ;   in Loop: Header=BB210_26 Depth=4
	s_add_co_i32 s22, s22, 1
	s_add_co_i32 s30, s30, 16
	s_cmp_eq_u32 s22, s18
	s_cbranch_scc0 .LBB210_26
.LBB210_29:                             ;   in Loop: Header=BB210_22 Depth=3
	s_mov_b32 s22, 0
	s_mov_b32 s44, s42
	s_branch .LBB210_31
.LBB210_30:                             ;   in Loop: Header=BB210_31 Depth=4
	s_mul_i32 s31, s30, 0xd0
	s_add_co_i32 s22, s22, 1
	v_mov_b32_e32 v20, s31
	s_ashr_i32 s31, s30, 31
	s_addk_co_i32 s44, 0xc0
	s_cmp_eq_u32 s22, s41
	ds_load_b128 v[20:23], v20
	s_wait_dscnt 0x0
	s_wait_xcnt 0x0
	v_mul_f64_e32 v[24:25], v[22:23], v[2:3]
	v_mul_f64_e32 v[26:27], v[20:21], v[2:3]
	s_delay_alu instid0(VALU_DEP_2) | instskip(NEXT) | instid1(VALU_DEP_2)
	v_fma_f64 v[24:25], v[20:21], v[0:1], -v[24:25]
	v_fmac_f64_e32 v[26:27], v[22:23], v[0:1]
	v_lshl_add_u64 v[0:1], s[30:31], 4, v[4:5]
	ds_store_b128 v19, v[24:27]
	global_store_b128 v[0:1], v[24:27], off
	s_cbranch_scc1 .LBB210_21
.LBB210_31:                             ;   Parent Loop BB210_4 Depth=1
                                        ;     Parent Loop BB210_19 Depth=2
                                        ;       Parent Loop BB210_22 Depth=3
                                        ; =>      This Loop Header: Depth=4
                                        ;           Child Loop BB210_33 Depth 5
	v_lshl_add_u32 v19, s22, 4, v9
	s_cmp_lg_u32 s22, 0
	s_cbranch_scc0 .LBB210_35
; %bb.32:                               ;   in Loop: Header=BB210_31 Depth=4
	s_wait_xcnt 0x0
	ds_load_b128 v[0:3], v19
	v_mov_b32_e32 v20, v9
	s_add_co_i32 s30, s22, s18
	s_mov_b32 s31, s44
	s_mov_b32 s45, s22
.LBB210_33:                             ;   Parent Loop BB210_4 Depth=1
                                        ;     Parent Loop BB210_19 Depth=2
                                        ;       Parent Loop BB210_22 Depth=3
                                        ;         Parent Loop BB210_31 Depth=4
                                        ; =>        This Inner Loop Header: Depth=5
	v_mov_b32_e32 v21, s31
	s_add_co_i32 s45, s45, -1
	s_add_co_i32 s31, s31, 16
	s_cmp_eq_u32 s45, 0
	ds_load_b128 v[22:25], v20
	ds_load_b128 v[26:29], v21
	v_add_nc_u32_e32 v20, 16, v20
	s_wait_dscnt 0x0
	v_mul_f64_e32 v[30:31], v[28:29], v[24:25]
	v_mul_f64_e32 v[24:25], v[26:27], v[24:25]
	s_delay_alu instid0(VALU_DEP_2) | instskip(NEXT) | instid1(VALU_DEP_2)
	v_fma_f64 v[26:27], v[26:27], v[22:23], -v[30:31]
	v_fmac_f64_e32 v[24:25], v[28:29], v[22:23]
	s_delay_alu instid0(VALU_DEP_2) | instskip(NEXT) | instid1(VALU_DEP_2)
	v_add_f64_e64 v[0:1], v[0:1], -v[26:27]
	v_add_f64_e64 v[2:3], v[2:3], -v[24:25]
	ds_store_b128 v19, v[0:3]
	s_cbranch_scc0 .LBB210_33
; %bb.34:                               ;   in Loop: Header=BB210_31 Depth=4
	s_branch .LBB210_30
.LBB210_35:                             ;   in Loop: Header=BB210_31 Depth=4
                                        ; implicit-def: $vgpr0_vgpr1
                                        ; implicit-def: $sgpr30
	s_cbranch_execz .LBB210_30
; %bb.36:                               ;   in Loop: Header=BB210_31 Depth=4
	s_wait_xcnt 0x0
	ds_load_b128 v[0:3], v9
	s_mov_b32 s30, s18
	s_branch .LBB210_30
.LBB210_37:                             ;   in Loop: Header=BB210_4 Depth=1
	s_mov_b32 s18, 0
.LBB210_38:                             ;   in Loop: Header=BB210_4 Depth=1
	s_delay_alu instid0(SALU_CYCLE_1)
	s_and_b32 vcc_lo, exec_lo, s18
	s_cbranch_vccz .LBB210_2
; %bb.39:                               ;   in Loop: Header=BB210_4 Depth=1
	v_add_nc_u64_e32 v[6:7], s[16:17], v[14:15]
	s_mov_b32 s21, 0
	s_mov_b32 s16, s35
	s_branch .LBB210_41
.LBB210_40:                             ;   in Loop: Header=BB210_41 Depth=2
	s_cmp_gt_i32 s16, -1
	s_cselect_b32 s17, -1, 0
	s_add_co_i32 s18, s21, 1
	s_cmp_lt_u32 s21, 2
	s_mov_b32 s21, s18
	s_cselect_b32 s19, -1, 0
	s_delay_alu instid0(SALU_CYCLE_1) | instskip(NEXT) | instid1(SALU_CYCLE_1)
	s_and_b32 s17, s17, s19
	s_and_not1_b32 vcc_lo, exec_lo, s17
	s_cbranch_vccnz .LBB210_2
.LBB210_41:                             ;   Parent Loop BB210_4 Depth=1
                                        ; =>  This Loop Header: Depth=2
                                        ;       Child Loop BB210_44 Depth 3
                                        ;         Child Loop BB210_45 Depth 4
                                        ;         Child Loop BB210_47 Depth 4
                                        ;           Child Loop BB210_48 Depth 5
                                        ;         Child Loop BB210_52 Depth 4
                                        ;           Child Loop BB210_54 Depth 5
	s_load_b32 s22, s[12:13], s21 offset:0x0 scale_offset
	s_wait_kmcnt 0x0
	s_add_co_i32 s28, s22, -1
	s_delay_alu instid0(SALU_CYCLE_1)
	s_cmp_lt_i32 s16, s28
	s_cbranch_scc1 .LBB210_40
; %bb.42:                               ;   in Loop: Header=BB210_41 Depth=2
	s_lshl_b32 s17, s16, 4
	s_lshl_b32 s18, s22, 4
	s_max_i32 s29, s22, 1
	s_add_co_i32 s30, s37, s17
	s_sub_co_i32 s31, 0, s18
	s_mul_i32 s40, s16, 0xd0
	s_mul_i32 s41, s22, 0xffffff30
	s_branch .LBB210_44
.LBB210_43:                             ;   in Loop: Header=BB210_44 Depth=3
	s_sub_co_i32 s16, s16, s22
	s_add_co_i32 s30, s30, s31
	s_add_co_i32 s40, s40, s41
	s_cmp_lt_i32 s16, s28
	s_cbranch_scc1 .LBB210_40
.LBB210_44:                             ;   Parent Loop BB210_4 Depth=1
                                        ;     Parent Loop BB210_41 Depth=2
                                        ; =>    This Loop Header: Depth=3
                                        ;         Child Loop BB210_45 Depth 4
                                        ;         Child Loop BB210_47 Depth 4
                                        ;           Child Loop BB210_48 Depth 5
                                        ;         Child Loop BB210_52 Depth 4
                                        ;           Child Loop BB210_54 Depth 5
	s_ashr_i32 s17, s16, 31
	v_mov_b32_e32 v2, v9
	s_wait_xcnt 0x0
	v_lshl_add_u64 v[0:1], s[16:17], 4, v[6:7]
	s_mov_b32 s18, s29
.LBB210_45:                             ;   Parent Loop BB210_4 Depth=1
                                        ;     Parent Loop BB210_41 Depth=2
                                        ;       Parent Loop BB210_44 Depth=3
                                        ; =>      This Inner Loop Header: Depth=4
	global_load_b128 v[20:23], v[0:1], off offset:-8
	s_wait_xcnt 0x0
	v_add_nc_u64_e32 v[0:1], -16, v[0:1]
	s_add_co_i32 s18, s18, -1
	s_delay_alu instid0(SALU_CYCLE_1) | instskip(SKIP_3) | instid1(VALU_DEP_2)
	s_cmp_eq_u32 s18, 0
	s_wait_loadcnt 0x0
	v_mul_f64_e32 v[16:17], s[6:7], v[22:23]
	v_mul_f64_e32 v[24:25], s[4:5], v[22:23]
	v_fma_f64 v[22:23], s[4:5], v[20:21], -v[16:17]
	s_delay_alu instid0(VALU_DEP_2)
	v_fmac_f64_e32 v[24:25], s[6:7], v[20:21]
	ds_store_b128 v2, v[22:25]
	v_add_nc_u32_e32 v2, 16, v2
	s_cbranch_scc0 .LBB210_45
; %bb.46:                               ;   in Loop: Header=BB210_44 Depth=3
	s_cmp_le_i32 s35, s16
	s_mov_b32 s26, s30
	s_mov_b32 s18, s35
	s_cbranch_scc1 .LBB210_50
.LBB210_47:                             ;   Parent Loop BB210_4 Depth=1
                                        ;     Parent Loop BB210_41 Depth=2
                                        ;       Parent Loop BB210_44 Depth=3
                                        ; =>      This Loop Header: Depth=4
                                        ;           Child Loop BB210_48 Depth 5
	s_ashr_i32 s19, s18, 31
	v_mov_b32_e32 v16, v9
	s_wait_xcnt 0x0
	v_lshl_add_u64 v[0:1], s[18:19], 4, v[4:5]
	s_mov_b32 s19, s26
	s_mov_b32 s27, s29
	global_load_b128 v[0:3], v[0:1], off
.LBB210_48:                             ;   Parent Loop BB210_4 Depth=1
                                        ;     Parent Loop BB210_41 Depth=2
                                        ;       Parent Loop BB210_44 Depth=3
                                        ;         Parent Loop BB210_47 Depth=4
                                        ; =>        This Inner Loop Header: Depth=5
	v_mov_b32_e32 v17, s19
	s_add_co_i32 s27, s27, -1
	s_add_co_i32 s19, s19, -16
	s_cmp_eq_u32 s27, 0
	ds_load_b128 v[20:23], v17
	s_wait_loadcnt_dscnt 0x0
	v_mul_f64_e32 v[24:25], v[2:3], v[22:23]
	v_mul_f64_e32 v[26:27], v[0:1], v[22:23]
	s_delay_alu instid0(VALU_DEP_2) | instskip(NEXT) | instid1(VALU_DEP_2)
	v_fma_f64 v[24:25], v[0:1], v[20:21], -v[24:25]
	v_fmac_f64_e32 v[26:27], v[2:3], v[20:21]
	ds_load_b128 v[20:23], v16
	s_wait_dscnt 0x0
	v_add_f64_e64 v[20:21], v[20:21], -v[24:25]
	v_add_f64_e64 v[22:23], v[22:23], -v[26:27]
	ds_store_b128 v16, v[20:23]
	v_add_nc_u32_e32 v16, 16, v16
	s_cbranch_scc0 .LBB210_48
; %bb.49:                               ;   in Loop: Header=BB210_47 Depth=4
	s_add_co_i32 s18, s18, -1
	s_addk_co_i32 s26, 0xff40
	s_cmp_le_i32 s18, s16
	s_cbranch_scc0 .LBB210_47
.LBB210_50:                             ;   in Loop: Header=BB210_44 Depth=3
	s_mov_b32 s42, 0
	s_mov_b32 s43, s40
	s_branch .LBB210_52
.LBB210_51:                             ;   in Loop: Header=BB210_52 Depth=4
	s_mulk_i32 s26, 0xd0
	s_add_co_i32 s42, s42, 1
	v_mov_b32_e32 v17, s26
	s_add_co_i32 s43, s43, -16
	s_cmp_eq_u32 s42, s29
	ds_load_b128 v[20:23], v17
	s_wait_dscnt 0x0
	s_wait_xcnt 0x0
	v_mul_f64_e32 v[24:25], v[22:23], v[2:3]
	v_mul_f64_e32 v[26:27], v[20:21], v[2:3]
	s_delay_alu instid0(VALU_DEP_2) | instskip(NEXT) | instid1(VALU_DEP_2)
	v_fma_f64 v[24:25], v[20:21], v[0:1], -v[24:25]
	v_fmac_f64_e32 v[26:27], v[22:23], v[0:1]
	s_wait_xcnt 0x0
	v_lshl_add_u64 v[0:1], s[18:19], 4, v[4:5]
	ds_store_b128 v16, v[24:27]
	global_store_b128 v[0:1], v[24:27], off
	s_cbranch_scc1 .LBB210_43
.LBB210_52:                             ;   Parent Loop BB210_4 Depth=1
                                        ;     Parent Loop BB210_41 Depth=2
                                        ;       Parent Loop BB210_44 Depth=3
                                        ; =>      This Loop Header: Depth=4
                                        ;           Child Loop BB210_54 Depth 5
	v_lshl_add_u32 v16, s42, 4, v9
	s_cmp_lg_u32 s42, 0
	s_cbranch_scc0 .LBB210_56
; %bb.53:                               ;   in Loop: Header=BB210_52 Depth=4
	s_wait_xcnt 0x0
	ds_load_b128 v[0:3], v16
	v_mov_b32_e32 v17, v9
	s_mov_b32 s18, s43
	s_mov_b32 s19, s42
.LBB210_54:                             ;   Parent Loop BB210_4 Depth=1
                                        ;     Parent Loop BB210_41 Depth=2
                                        ;       Parent Loop BB210_44 Depth=3
                                        ;         Parent Loop BB210_52 Depth=4
                                        ; =>        This Inner Loop Header: Depth=5
	v_mov_b32_e32 v19, s18
	s_add_co_i32 s19, s19, -1
	s_addk_co_i32 s18, 0xff40
	s_cmp_eq_u32 s19, 0
	ds_load_b128 v[20:23], v17
	ds_load_b128 v[24:27], v19
	s_wait_dscnt 0x0
	v_dual_mul_f64 v[28:29], v[26:27], v[22:23] :: v_dual_add_nc_u32 v17, 16, v17
	v_mul_f64_e32 v[22:23], v[24:25], v[22:23]
	s_delay_alu instid0(VALU_DEP_2) | instskip(NEXT) | instid1(VALU_DEP_2)
	v_fma_f64 v[24:25], v[24:25], v[20:21], -v[28:29]
	v_fmac_f64_e32 v[22:23], v[26:27], v[20:21]
	s_delay_alu instid0(VALU_DEP_2) | instskip(NEXT) | instid1(VALU_DEP_2)
	v_add_f64_e64 v[0:1], v[0:1], -v[24:25]
	v_add_f64_e64 v[2:3], v[2:3], -v[22:23]
	ds_store_b128 v16, v[0:3]
	s_cbranch_scc0 .LBB210_54
; %bb.55:                               ;   in Loop: Header=BB210_52 Depth=4
	s_sub_co_i32 s26, s16, s42
	s_delay_alu instid0(SALU_CYCLE_1) | instskip(NEXT) | instid1(SALU_CYCLE_1)
	s_ashr_i32 s27, s26, 31
	s_mov_b64 s[18:19], s[26:27]
	s_branch .LBB210_51
.LBB210_56:                             ;   in Loop: Header=BB210_52 Depth=4
                                        ; implicit-def: $vgpr0_vgpr1
                                        ; implicit-def: $sgpr26
                                        ; implicit-def: $sgpr18_sgpr19
	s_cbranch_execz .LBB210_51
; %bb.57:                               ;   in Loop: Header=BB210_52 Depth=4
	s_wait_xcnt 0x0
	ds_load_b128 v[0:3], v9
	s_mov_b64 s[18:19], s[16:17]
	s_mov_b32 s26, s16
	s_branch .LBB210_51
.LBB210_58:
	s_endpgm
	.section	.rodata,"a",@progbits
	.p2align	6, 0x0
	.amdhsa_kernel _ZL30rocblas_trsm_small_left_deviceILi12ELi12ELb0E19rocblas_complex_numIdES1_PKS1_PS1_Ev13rocblas_fill_18rocblas_operation_17rocblas_diagonal_iiT3_T4_lilT5_lili
		.amdhsa_group_segment_fixed_size 4608
		.amdhsa_private_segment_fixed_size 0
		.amdhsa_kernarg_size 368
		.amdhsa_user_sgpr_count 4
		.amdhsa_user_sgpr_dispatch_ptr 1
		.amdhsa_user_sgpr_queue_ptr 0
		.amdhsa_user_sgpr_kernarg_segment_ptr 1
		.amdhsa_user_sgpr_dispatch_id 0
		.amdhsa_user_sgpr_kernarg_preload_length 0
		.amdhsa_user_sgpr_kernarg_preload_offset 0
		.amdhsa_user_sgpr_private_segment_size 0
		.amdhsa_wavefront_size32 1
		.amdhsa_uses_dynamic_stack 0
		.amdhsa_enable_private_segment 0
		.amdhsa_system_sgpr_workgroup_id_x 1
		.amdhsa_system_sgpr_workgroup_id_y 0
		.amdhsa_system_sgpr_workgroup_id_z 1
		.amdhsa_system_sgpr_workgroup_info 0
		.amdhsa_system_vgpr_workitem_id 2
		.amdhsa_next_free_vgpr 32
		.amdhsa_next_free_sgpr 46
		.amdhsa_named_barrier_count 0
		.amdhsa_reserve_vcc 1
		.amdhsa_float_round_mode_32 0
		.amdhsa_float_round_mode_16_64 0
		.amdhsa_float_denorm_mode_32 3
		.amdhsa_float_denorm_mode_16_64 3
		.amdhsa_fp16_overflow 0
		.amdhsa_memory_ordered 1
		.amdhsa_forward_progress 1
		.amdhsa_inst_pref_size 21
		.amdhsa_round_robin_scheduling 0
		.amdhsa_exception_fp_ieee_invalid_op 0
		.amdhsa_exception_fp_denorm_src 0
		.amdhsa_exception_fp_ieee_div_zero 0
		.amdhsa_exception_fp_ieee_overflow 0
		.amdhsa_exception_fp_ieee_underflow 0
		.amdhsa_exception_fp_ieee_inexact 0
		.amdhsa_exception_int_div_zero 0
	.end_amdhsa_kernel
	.section	.text._ZL30rocblas_trsm_small_left_deviceILi12ELi12ELb0E19rocblas_complex_numIdES1_PKS1_PS1_Ev13rocblas_fill_18rocblas_operation_17rocblas_diagonal_iiT3_T4_lilT5_lili,"axG",@progbits,_ZL30rocblas_trsm_small_left_deviceILi12ELi12ELb0E19rocblas_complex_numIdES1_PKS1_PS1_Ev13rocblas_fill_18rocblas_operation_17rocblas_diagonal_iiT3_T4_lilT5_lili,comdat
.Lfunc_end210:
	.size	_ZL30rocblas_trsm_small_left_deviceILi12ELi12ELb0E19rocblas_complex_numIdES1_PKS1_PS1_Ev13rocblas_fill_18rocblas_operation_17rocblas_diagonal_iiT3_T4_lilT5_lili, .Lfunc_end210-_ZL30rocblas_trsm_small_left_deviceILi12ELi12ELb0E19rocblas_complex_numIdES1_PKS1_PS1_Ev13rocblas_fill_18rocblas_operation_17rocblas_diagonal_iiT3_T4_lilT5_lili
                                        ; -- End function
	.set _ZL30rocblas_trsm_small_left_deviceILi12ELi12ELb0E19rocblas_complex_numIdES1_PKS1_PS1_Ev13rocblas_fill_18rocblas_operation_17rocblas_diagonal_iiT3_T4_lilT5_lili.num_vgpr, 32
	.set _ZL30rocblas_trsm_small_left_deviceILi12ELi12ELb0E19rocblas_complex_numIdES1_PKS1_PS1_Ev13rocblas_fill_18rocblas_operation_17rocblas_diagonal_iiT3_T4_lilT5_lili.num_agpr, 0
	.set _ZL30rocblas_trsm_small_left_deviceILi12ELi12ELb0E19rocblas_complex_numIdES1_PKS1_PS1_Ev13rocblas_fill_18rocblas_operation_17rocblas_diagonal_iiT3_T4_lilT5_lili.numbered_sgpr, 46
	.set _ZL30rocblas_trsm_small_left_deviceILi12ELi12ELb0E19rocblas_complex_numIdES1_PKS1_PS1_Ev13rocblas_fill_18rocblas_operation_17rocblas_diagonal_iiT3_T4_lilT5_lili.num_named_barrier, 0
	.set _ZL30rocblas_trsm_small_left_deviceILi12ELi12ELb0E19rocblas_complex_numIdES1_PKS1_PS1_Ev13rocblas_fill_18rocblas_operation_17rocblas_diagonal_iiT3_T4_lilT5_lili.private_seg_size, 0
	.set _ZL30rocblas_trsm_small_left_deviceILi12ELi12ELb0E19rocblas_complex_numIdES1_PKS1_PS1_Ev13rocblas_fill_18rocblas_operation_17rocblas_diagonal_iiT3_T4_lilT5_lili.uses_vcc, 1
	.set _ZL30rocblas_trsm_small_left_deviceILi12ELi12ELb0E19rocblas_complex_numIdES1_PKS1_PS1_Ev13rocblas_fill_18rocblas_operation_17rocblas_diagonal_iiT3_T4_lilT5_lili.uses_flat_scratch, 0
	.set _ZL30rocblas_trsm_small_left_deviceILi12ELi12ELb0E19rocblas_complex_numIdES1_PKS1_PS1_Ev13rocblas_fill_18rocblas_operation_17rocblas_diagonal_iiT3_T4_lilT5_lili.has_dyn_sized_stack, 0
	.set _ZL30rocblas_trsm_small_left_deviceILi12ELi12ELb0E19rocblas_complex_numIdES1_PKS1_PS1_Ev13rocblas_fill_18rocblas_operation_17rocblas_diagonal_iiT3_T4_lilT5_lili.has_recursion, 0
	.set _ZL30rocblas_trsm_small_left_deviceILi12ELi12ELb0E19rocblas_complex_numIdES1_PKS1_PS1_Ev13rocblas_fill_18rocblas_operation_17rocblas_diagonal_iiT3_T4_lilT5_lili.has_indirect_call, 0
	.section	.AMDGPU.csdata,"",@progbits
; Kernel info:
; codeLenInByte = 2656
; TotalNumSgprs: 48
; NumVgprs: 32
; ScratchSize: 0
; MemoryBound: 0
; FloatMode: 240
; IeeeMode: 1
; LDSByteSize: 4608 bytes/workgroup (compile time only)
; SGPRBlocks: 0
; VGPRBlocks: 1
; NumSGPRsForWavesPerEU: 48
; NumVGPRsForWavesPerEU: 32
; NamedBarCnt: 0
; Occupancy: 16
; WaveLimiterHint : 0
; COMPUTE_PGM_RSRC2:SCRATCH_EN: 0
; COMPUTE_PGM_RSRC2:USER_SGPR: 4
; COMPUTE_PGM_RSRC2:TRAP_HANDLER: 0
; COMPUTE_PGM_RSRC2:TGID_X_EN: 1
; COMPUTE_PGM_RSRC2:TGID_Y_EN: 0
; COMPUTE_PGM_RSRC2:TGID_Z_EN: 1
; COMPUTE_PGM_RSRC2:TIDIG_COMP_CNT: 2
	.section	.text._ZL38rocblas_trsm_small_left_device_sharedBILi12ELi12ELb1E19rocblas_complex_numIdES1_PKS1_PS1_Ev13rocblas_fill_18rocblas_operation_17rocblas_diagonal_iiT3_T4_lilT5_lili,"axG",@progbits,_ZL38rocblas_trsm_small_left_device_sharedBILi12ELi12ELb1E19rocblas_complex_numIdES1_PKS1_PS1_Ev13rocblas_fill_18rocblas_operation_17rocblas_diagonal_iiT3_T4_lilT5_lili,comdat
	.globl	_ZL38rocblas_trsm_small_left_device_sharedBILi12ELi12ELb1E19rocblas_complex_numIdES1_PKS1_PS1_Ev13rocblas_fill_18rocblas_operation_17rocblas_diagonal_iiT3_T4_lilT5_lili ; -- Begin function _ZL38rocblas_trsm_small_left_device_sharedBILi12ELi12ELb1E19rocblas_complex_numIdES1_PKS1_PS1_Ev13rocblas_fill_18rocblas_operation_17rocblas_diagonal_iiT3_T4_lilT5_lili
	.p2align	8
	.type	_ZL38rocblas_trsm_small_left_device_sharedBILi12ELi12ELb1E19rocblas_complex_numIdES1_PKS1_PS1_Ev13rocblas_fill_18rocblas_operation_17rocblas_diagonal_iiT3_T4_lilT5_lili,@function
_ZL38rocblas_trsm_small_left_device_sharedBILi12ELi12ELb1E19rocblas_complex_numIdES1_PKS1_PS1_Ev13rocblas_fill_18rocblas_operation_17rocblas_diagonal_iiT3_T4_lilT5_lili: ; @_ZL38rocblas_trsm_small_left_device_sharedBILi12ELi12ELb1E19rocblas_complex_numIdES1_PKS1_PS1_Ev13rocblas_fill_18rocblas_operation_17rocblas_diagonal_iiT3_T4_lilT5_lili
; %bb.0:
	s_load_b32 s3, s[0:1], 0x68
	s_bfe_u32 s2, ttmp6, 0x40014
	s_lshr_b32 s4, ttmp7, 16
	s_add_co_i32 s2, s2, 1
	s_bfe_u32 s5, ttmp6, 0x40008
	s_mul_i32 s2, s4, s2
	s_getreg_b32 s8, hwreg(HW_REG_IB_STS2, 6, 4)
	s_add_co_i32 s5, s5, s2
	s_cmp_eq_u32 s8, 0
	s_mov_b32 s21, 0
	s_cselect_b32 s20, s4, s5
	s_wait_kmcnt 0x0
	s_cmp_ge_u32 s20, s3
	s_cbranch_scc1 .LBB211_62
; %bb.1:
	s_clause 0x5
	s_load_b32 s22, s[0:1], 0x38
	s_load_b96 s[16:18], s[0:1], 0x50
	s_load_b128 s[4:7], s[0:1], 0x4
	s_load_b32 s9, s[0:1], 0x70
	s_load_b64 s[28:29], s[0:1], 0x60
	s_load_b128 s[12:15], s[0:1], 0x40
	v_dual_mov_b32 v9, 0 :: v_dual_lshlrev_b32 v8, 4, v0
	s_wait_kmcnt 0x0
	s_ashr_i32 s23, s22, 31
	s_ashr_i32 s27, s18, 31
	s_cmp_eq_u32 s4, 0x71
	s_cselect_b32 s2, -1, 0
	s_bfe_u32 s10, ttmp6, 0x4000c
	s_min_i32 s19, s6, 12
	s_add_co_i32 s10, s10, 1
	s_and_b32 s11, ttmp6, 15
	s_mul_i32 s10, ttmp9, s10
	s_add_co_i32 s9, s9, -1
	s_add_co_i32 s24, s19, -1
	s_add_co_i32 s11, s11, s10
	s_cmp_eq_u32 s8, 0
	s_cselect_b32 s8, ttmp9, s11
	s_delay_alu instid0(SALU_CYCLE_1) | instskip(NEXT) | instid1(SALU_CYCLE_1)
	s_mul_i32 s10, s8, -12
	s_add_co_i32 s7, s7, s10
	s_cmp_ge_u32 s8, s9
	s_mul_i32 s8, s8, 12
	s_cselect_b32 s30, s7, 12
	s_ashr_i32 s9, s8, 31
	s_cmp_lg_u32 s5, 0x84
	v_lshl_add_u64 v[2:3], s[8:9], 4, v[8:9]
	s_cselect_b32 s25, -1, 0
	s_cmp_gt_i32 s6, 0
	v_cmp_gt_i32_e32 vcc_lo, s30, v0
	s_cselect_b32 s31, -1, 0
	s_cmp_lg_u32 s4, 0x6f
	s_cselect_b32 s26, -1, 0
	s_lshl_b64 s[4:5], s[16:17], 4
	s_delay_alu instid0(SALU_CYCLE_1) | instskip(SKIP_3) | instid1(VALU_DEP_1)
	s_add_nc_u64 s[14:15], s[14:15], s[4:5]
	s_load_b256 s[4:11], s[0:1], 0x18
	v_mad_nc_u64_u32 v[10:11], v2, s18, s[14:15]
	s_lshl_b64 s[14:15], s[28:29], 4
	v_mad_u32 v1, v3, s18, v11
	s_or_b32 s18, 0, 8
	s_wait_kmcnt 0x0
	s_lshl_b64 s[0:1], s[10:11], 4
	s_lshl_b64 s[10:11], s[22:23], 4
	s_add_nc_u64 s[0:1], s[8:9], s[0:1]
	s_delay_alu instid0(VALU_DEP_1)
	v_mad_u32 v11, v2, s27, v1
	v_add_nc_u64_e32 v[2:3], s[0:1], v[8:9]
	v_cmp_gt_i32_e64 s0, s19, v0
	v_mul_u32_u24_e32 v0, 0xc0, v0
	v_or_b32_e32 v9, 0x900, v8
	s_lshl_b32 s22, s19, 4
	s_and_b32 s1, vcc_lo, s31
	s_lshl_b64 s[8:9], s[12:13], 4
	v_add_nc_u64_e32 v[12:13], 8, v[2:3]
	v_add_nc_u32_e32 v16, v8, v0
	s_add_co_i32 s22, s22, -16
	v_add_nc_u64_e32 v[14:15], 8, v[10:11]
	s_get_pc_i64 s[12:13]
	s_add_nc_u64 s[12:13], s[12:13], __const._ZL38rocblas_trsm_small_left_device_sharedBILi12ELi12ELb1E19rocblas_complex_numIdES1_PKS1_PS1_Ev13rocblas_fill_18rocblas_operation_17rocblas_diagonal_iiT3_T4_lilT5_lili.step_sizes@rel64+4
	s_branch .LBB211_3
.LBB211_2:                              ;   in Loop: Header=BB211_3 Depth=1
	s_or_b32 exec_lo, exec_lo, s23
	s_add_co_i32 s20, s20, 0x10000
	s_delay_alu instid0(SALU_CYCLE_1)
	s_cmp_lt_u32 s20, s3
	s_cbranch_scc0 .LBB211_62
.LBB211_3:                              ; =>This Loop Header: Depth=1
                                        ;     Child Loop BB211_5 Depth 2
                                        ;     Child Loop BB211_16 Depth 2
	;; [unrolled: 1-line block ×3, first 2 shown]
                                        ;       Child Loop BB211_23 Depth 3
                                        ;         Child Loop BB211_24 Depth 4
                                        ;         Child Loop BB211_26 Depth 4
                                        ;           Child Loop BB211_27 Depth 5
                                        ;         Child Loop BB211_31 Depth 4
                                        ;           Child Loop BB211_33 Depth 5
                                        ;     Child Loop BB211_41 Depth 2
                                        ;       Child Loop BB211_44 Depth 3
                                        ;         Child Loop BB211_45 Depth 4
                                        ;         Child Loop BB211_48 Depth 4
                                        ;           Child Loop BB211_49 Depth 5
                                        ;         Child Loop BB211_53 Depth 4
                                        ;           Child Loop BB211_55 Depth 5
                                        ;     Child Loop BB211_61 Depth 2
	s_and_saveexec_b32 s16, s0
	s_cbranch_execz .LBB211_14
; %bb.4:                                ;   in Loop: Header=BB211_3 Depth=1
	v_mad_nc_u64_u32 v[0:1], s8, s20, v[12:13]
	v_mov_b32_e32 v2, v8
	s_mov_b32 s17, s19
	s_delay_alu instid0(VALU_DEP_2)
	v_mad_u32 v1, s9, s20, v1
.LBB211_5:                              ;   Parent Loop BB211_3 Depth=1
                                        ; =>  This Inner Loop Header: Depth=2
	global_load_b128 v[4:7], v[0:1], off offset:-8
	s_wait_xcnt 0x0
	v_add_nc_u64_e32 v[0:1], s[10:11], v[0:1]
	s_add_co_i32 s17, s17, -1
	s_delay_alu instid0(SALU_CYCLE_1) | instskip(SKIP_2) | instid1(VALU_DEP_1)
	s_cmp_eq_u32 s17, 0
	s_wait_loadcnt 0x0
	v_xor_b32_e32 v3, 0x80000000, v7
	v_cndmask_b32_e64 v7, v7, v3, s2
	ds_store_b128 v2, v[4:7]
	v_add_nc_u32_e32 v2, 0xc0, v2
	s_cbranch_scc0 .LBB211_5
; %bb.6:                                ;   in Loop: Header=BB211_3 Depth=1
	s_and_b32 vcc_lo, exec_lo, s25
	s_cbranch_vccz .LBB211_12
; %bb.7:                                ;   in Loop: Header=BB211_3 Depth=1
	ds_load_b128 v[0:3], v16
                                        ; implicit-def: $vgpr6_vgpr7
	s_wait_dscnt 0x0
	v_cmp_ngt_f64_e64 s17, |v[0:1]|, |v[2:3]|
	s_and_saveexec_b32 s23, s17
	s_delay_alu instid0(SALU_CYCLE_1)
	s_xor_b32 s17, exec_lo, s23
	s_cbranch_execz .LBB211_9
; %bb.8:                                ;   in Loop: Header=BB211_3 Depth=1
	v_div_scale_f64 v[4:5], null, v[2:3], v[2:3], v[0:1]
	v_div_scale_f64 v[20:21], vcc_lo, v[0:1], v[2:3], v[0:1]
	s_delay_alu instid0(VALU_DEP_2) | instskip(SKIP_1) | instid1(TRANS32_DEP_1)
	v_rcp_f64_e32 v[6:7], v[4:5]
	v_nop
	v_fma_f64 v[18:19], -v[4:5], v[6:7], 1.0
	s_delay_alu instid0(VALU_DEP_1) | instskip(NEXT) | instid1(VALU_DEP_1)
	v_fmac_f64_e32 v[6:7], v[6:7], v[18:19]
	v_fma_f64 v[18:19], -v[4:5], v[6:7], 1.0
	s_delay_alu instid0(VALU_DEP_1) | instskip(NEXT) | instid1(VALU_DEP_1)
	v_fmac_f64_e32 v[6:7], v[6:7], v[18:19]
	v_mul_f64_e32 v[18:19], v[20:21], v[6:7]
	s_delay_alu instid0(VALU_DEP_1) | instskip(NEXT) | instid1(VALU_DEP_1)
	v_fma_f64 v[4:5], -v[4:5], v[18:19], v[20:21]
	v_div_fmas_f64 v[4:5], v[4:5], v[6:7], v[18:19]
	s_delay_alu instid0(VALU_DEP_1) | instskip(NEXT) | instid1(VALU_DEP_1)
	v_div_fixup_f64 v[4:5], v[4:5], v[2:3], v[0:1]
	v_fmac_f64_e32 v[2:3], v[0:1], v[4:5]
	s_delay_alu instid0(VALU_DEP_1) | instskip(SKIP_1) | instid1(VALU_DEP_2)
	v_div_scale_f64 v[0:1], null, v[2:3], v[2:3], 1.0
	v_div_scale_f64 v[20:21], vcc_lo, 1.0, v[2:3], 1.0
	v_rcp_f64_e32 v[6:7], v[0:1]
	v_nop
	s_delay_alu instid0(TRANS32_DEP_1) | instskip(NEXT) | instid1(VALU_DEP_1)
	v_fma_f64 v[18:19], -v[0:1], v[6:7], 1.0
	v_fmac_f64_e32 v[6:7], v[6:7], v[18:19]
	s_delay_alu instid0(VALU_DEP_1) | instskip(NEXT) | instid1(VALU_DEP_1)
	v_fma_f64 v[18:19], -v[0:1], v[6:7], 1.0
	v_fmac_f64_e32 v[6:7], v[6:7], v[18:19]
	s_delay_alu instid0(VALU_DEP_1) | instskip(NEXT) | instid1(VALU_DEP_1)
	v_mul_f64_e32 v[18:19], v[20:21], v[6:7]
	v_fma_f64 v[0:1], -v[0:1], v[18:19], v[20:21]
	s_delay_alu instid0(VALU_DEP_1) | instskip(SKIP_1) | instid1(VALU_DEP_2)
	v_div_fmas_f64 v[0:1], v[0:1], v[6:7], v[18:19]
	v_add_f64_e32 v[6:7], 0, v[4:5]
	v_div_fixup_f64 v[0:1], v[0:1], v[2:3], 1.0
	v_fma_f64 v[2:3], v[4:5], 0, -1.0
	s_delay_alu instid0(VALU_DEP_2) | instskip(NEXT) | instid1(VALU_DEP_2)
	v_mul_f64_e32 v[4:5], v[6:7], v[0:1]
	v_mul_f64_e32 v[6:7], v[2:3], v[0:1]
                                        ; implicit-def: $vgpr0_vgpr1
.LBB211_9:                              ;   in Loop: Header=BB211_3 Depth=1
	s_and_not1_saveexec_b32 s17, s17
	s_cbranch_execz .LBB211_11
; %bb.10:                               ;   in Loop: Header=BB211_3 Depth=1
	v_div_scale_f64 v[4:5], null, v[0:1], v[0:1], v[2:3]
	v_div_scale_f64 v[20:21], vcc_lo, v[2:3], v[0:1], v[2:3]
	s_delay_alu instid0(VALU_DEP_2) | instskip(SKIP_1) | instid1(TRANS32_DEP_1)
	v_rcp_f64_e32 v[6:7], v[4:5]
	v_nop
	v_fma_f64 v[18:19], -v[4:5], v[6:7], 1.0
	s_delay_alu instid0(VALU_DEP_1) | instskip(NEXT) | instid1(VALU_DEP_1)
	v_fmac_f64_e32 v[6:7], v[6:7], v[18:19]
	v_fma_f64 v[18:19], -v[4:5], v[6:7], 1.0
	s_delay_alu instid0(VALU_DEP_1) | instskip(NEXT) | instid1(VALU_DEP_1)
	v_fmac_f64_e32 v[6:7], v[6:7], v[18:19]
	v_mul_f64_e32 v[18:19], v[20:21], v[6:7]
	s_delay_alu instid0(VALU_DEP_1) | instskip(NEXT) | instid1(VALU_DEP_1)
	v_fma_f64 v[4:5], -v[4:5], v[18:19], v[20:21]
	v_div_fmas_f64 v[4:5], v[4:5], v[6:7], v[18:19]
	s_delay_alu instid0(VALU_DEP_1) | instskip(NEXT) | instid1(VALU_DEP_1)
	v_div_fixup_f64 v[4:5], v[4:5], v[0:1], v[2:3]
	v_fmac_f64_e32 v[0:1], v[2:3], v[4:5]
	s_delay_alu instid0(VALU_DEP_1) | instskip(SKIP_1) | instid1(VALU_DEP_2)
	v_div_scale_f64 v[2:3], null, v[0:1], v[0:1], 1.0
	v_div_scale_f64 v[20:21], vcc_lo, 1.0, v[0:1], 1.0
	v_rcp_f64_e32 v[6:7], v[2:3]
	v_nop
	s_delay_alu instid0(TRANS32_DEP_1) | instskip(NEXT) | instid1(VALU_DEP_1)
	v_fma_f64 v[18:19], -v[2:3], v[6:7], 1.0
	v_fmac_f64_e32 v[6:7], v[6:7], v[18:19]
	s_delay_alu instid0(VALU_DEP_1) | instskip(NEXT) | instid1(VALU_DEP_1)
	v_fma_f64 v[18:19], -v[2:3], v[6:7], 1.0
	v_fmac_f64_e32 v[6:7], v[6:7], v[18:19]
	s_delay_alu instid0(VALU_DEP_1) | instskip(NEXT) | instid1(VALU_DEP_1)
	v_mul_f64_e32 v[18:19], v[20:21], v[6:7]
	v_fma_f64 v[2:3], -v[2:3], v[18:19], v[20:21]
	s_delay_alu instid0(VALU_DEP_1) | instskip(SKIP_1) | instid1(VALU_DEP_2)
	v_div_fmas_f64 v[2:3], v[2:3], v[6:7], v[18:19]
	v_fma_f64 v[6:7], v[4:5], 0, 1.0
	v_div_fixup_f64 v[0:1], v[2:3], v[0:1], 1.0
	v_add_f64_e64 v[2:3], -v[4:5], 0
	s_delay_alu instid0(VALU_DEP_2) | instskip(NEXT) | instid1(VALU_DEP_2)
	v_mul_f64_e32 v[4:5], v[6:7], v[0:1]
	v_mul_f64_e32 v[6:7], v[2:3], v[0:1]
.LBB211_11:                             ;   in Loop: Header=BB211_3 Depth=1
	s_or_b32 exec_lo, exec_lo, s17
	s_branch .LBB211_13
.LBB211_12:                             ;   in Loop: Header=BB211_3 Depth=1
	v_mov_b64_e32 v[6:7], 0
	v_mov_b64_e32 v[4:5], 1.0
.LBB211_13:                             ;   in Loop: Header=BB211_3 Depth=1
	ds_store_b128 v16, v[4:7]
.LBB211_14:                             ;   in Loop: Header=BB211_3 Depth=1
	s_or_b32 exec_lo, exec_lo, s16
	s_mul_u64 s[16:17], s[14:15], s[20:21]
	s_and_saveexec_b32 s23, s1
	s_cbranch_execz .LBB211_17
; %bb.15:                               ;   in Loop: Header=BB211_3 Depth=1
	v_add_nc_u64_e32 v[0:1], s[16:17], v[14:15]
	v_mov_b32_e32 v2, v9
	s_mov_b32 s27, s19
.LBB211_16:                             ;   Parent Loop BB211_3 Depth=1
                                        ; =>  This Inner Loop Header: Depth=2
	global_load_b128 v[4:7], v[0:1], off offset:-8
	s_wait_xcnt 0x0
	v_add_nc_u64_e32 v[0:1], 16, v[0:1]
	s_add_co_i32 s27, s27, -1
	s_delay_alu instid0(SALU_CYCLE_1) | instskip(SKIP_3) | instid1(VALU_DEP_2)
	s_cmp_lg_u32 s27, 0
	s_wait_loadcnt 0x0
	v_mul_f64_e32 v[18:19], s[6:7], v[6:7]
	v_mul_f64_e32 v[20:21], s[4:5], v[6:7]
	v_fma_f64 v[18:19], s[4:5], v[4:5], -v[18:19]
	s_delay_alu instid0(VALU_DEP_2)
	v_fmac_f64_e32 v[20:21], s[6:7], v[4:5]
	ds_store_b128 v2, v[18:21]
	v_add_nc_u32_e32 v2, 0xc0, v2
	s_cbranch_scc1 .LBB211_16
.LBB211_17:                             ;   in Loop: Header=BB211_3 Depth=1
	s_or_b32 exec_lo, exec_lo, s23
	s_delay_alu instid0(SALU_CYCLE_1)
	s_and_not1_b32 vcc_lo, exec_lo, s26
	s_mov_b32 s23, -1
	s_wait_dscnt 0x0
	; wave barrier
	s_cbranch_vccnz .LBB211_38
; %bb.18:                               ;   in Loop: Header=BB211_3 Depth=1
	s_mov_b32 s27, 0
	s_mov_b32 s23, s24
	s_branch .LBB211_20
.LBB211_19:                             ;   in Loop: Header=BB211_20 Depth=2
	s_cmp_gt_i32 s23, -1
	s_cselect_b32 s28, -1, 0
	s_add_co_i32 s29, s27, 1
	s_cmp_lt_u32 s27, 2
	s_wait_xcnt 0x0
	s_cselect_b32 s27, -1, 0
	s_delay_alu instid0(SALU_CYCLE_1) | instskip(NEXT) | instid1(SALU_CYCLE_1)
	s_and_b32 s27, s28, s27
	s_and_b32 vcc_lo, exec_lo, s27
	s_mov_b32 s27, s29
	s_cbranch_vccz .LBB211_37
.LBB211_20:                             ;   Parent Loop BB211_3 Depth=1
                                        ; =>  This Loop Header: Depth=2
                                        ;       Child Loop BB211_23 Depth 3
                                        ;         Child Loop BB211_24 Depth 4
                                        ;         Child Loop BB211_26 Depth 4
                                        ;           Child Loop BB211_27 Depth 5
                                        ;         Child Loop BB211_31 Depth 4
                                        ;           Child Loop BB211_33 Depth 5
	s_load_b32 s28, s[12:13], s27 offset:0x0 scale_offset
	s_wait_kmcnt 0x0
	s_add_co_i32 s29, s28, -1
	s_delay_alu instid0(SALU_CYCLE_1)
	s_cmp_lt_i32 s23, s29
	s_cbranch_scc1 .LBB211_19
; %bb.21:                               ;   in Loop: Header=BB211_20 Depth=2
	s_mul_i32 s33, s23, 0xc0
	s_max_i32 s30, s28, 1
	v_add_nc_u32_e32 v4, s33, v9
	s_mul_i32 s31, s28, 0xffffff40
	s_add_co_i32 s33, s22, s33
	s_mul_i32 s34, s23, 0xd0
	s_mul_i32 s35, s28, 0xffffff30
	s_branch .LBB211_23
.LBB211_22:                             ;   in Loop: Header=BB211_23 Depth=3
	v_add_nc_u32_e32 v4, s31, v4
	s_sub_co_i32 s23, s23, s28
	s_add_co_i32 s33, s33, s31
	s_add_co_i32 s34, s34, s35
	s_cmp_lt_i32 s23, s29
	s_cbranch_scc1 .LBB211_19
.LBB211_23:                             ;   Parent Loop BB211_3 Depth=1
                                        ;     Parent Loop BB211_20 Depth=2
                                        ; =>    This Loop Header: Depth=3
                                        ;         Child Loop BB211_24 Depth 4
                                        ;         Child Loop BB211_26 Depth 4
                                        ;           Child Loop BB211_27 Depth 5
                                        ;         Child Loop BB211_31 Depth 4
                                        ;           Child Loop BB211_33 Depth 5
	v_mov_b32_e32 v0, v4
	s_mov_b32 s36, 0
	s_mov_b32 s37, s30
.LBB211_24:                             ;   Parent Loop BB211_3 Depth=1
                                        ;     Parent Loop BB211_20 Depth=2
                                        ;       Parent Loop BB211_23 Depth=3
                                        ; =>      This Inner Loop Header: Depth=4
	ds_load_b128 v[18:21], v0
	v_add_nc_u32_e32 v0, 0xffffff40, v0
	s_add_co_i32 s37, s37, -1
	s_wait_dscnt 0x0
	scratch_store_b128 off, v[18:21], s36
	s_wait_xcnt 0x0
	s_add_co_i32 s36, s36, 16
	s_cmp_eq_u32 s37, 0
	s_cbranch_scc0 .LBB211_24
; %bb.25:                               ;   in Loop: Header=BB211_23 Depth=3
	s_cmp_le_i32 s24, s23
	s_mov_b32 s36, s33
	s_mov_b32 s37, s24
	s_cbranch_scc1 .LBB211_29
.LBB211_26:                             ;   Parent Loop BB211_3 Depth=1
                                        ;     Parent Loop BB211_20 Depth=2
                                        ;       Parent Loop BB211_23 Depth=3
                                        ; =>      This Loop Header: Depth=4
                                        ;           Child Loop BB211_27 Depth 5
	v_mad_u32 v0, 0xc0, s37, v9
	s_mov_b32 s38, s18
	s_mov_b32 s39, s36
	s_mov_b32 s40, s30
	ds_load_b128 v[0:3], v0
.LBB211_27:                             ;   Parent Loop BB211_3 Depth=1
                                        ;     Parent Loop BB211_20 Depth=2
                                        ;       Parent Loop BB211_23 Depth=3
                                        ;         Parent Loop BB211_26 Depth=4
                                        ; =>        This Inner Loop Header: Depth=5
	scratch_load_b128 v[18:21], off, s38 offset:-8
	v_mov_b32_e32 v5, s39
	s_add_co_i32 s40, s40, -1
	s_addk_co_i32 s39, 0xff40
	ds_load_b128 v[22:25], v5
	s_wait_dscnt 0x0
	v_mul_f64_e32 v[6:7], v[2:3], v[24:25]
	v_mul_f64_e32 v[24:25], v[0:1], v[24:25]
	s_delay_alu instid0(VALU_DEP_2) | instskip(NEXT) | instid1(VALU_DEP_2)
	v_fma_f64 v[6:7], v[0:1], v[22:23], -v[6:7]
	v_fmac_f64_e32 v[24:25], v[2:3], v[22:23]
	s_wait_loadcnt 0x0
	s_delay_alu instid0(VALU_DEP_2) | instskip(NEXT) | instid1(VALU_DEP_2)
	v_add_f64_e64 v[18:19], v[18:19], -v[6:7]
	v_add_f64_e64 v[20:21], v[20:21], -v[24:25]
	scratch_store_b128 off, v[18:21], s38 offset:-8
	s_wait_xcnt 0x0
	s_add_co_i32 s38, s38, 16
	s_cmp_eq_u32 s40, 0
	s_cbranch_scc0 .LBB211_27
; %bb.28:                               ;   in Loop: Header=BB211_26 Depth=4
	s_add_co_i32 s37, s37, -1
	s_add_co_i32 s36, s36, -16
	s_cmp_le_i32 s37, s23
	s_cbranch_scc0 .LBB211_26
.LBB211_29:                             ;   in Loop: Header=BB211_23 Depth=3
	s_mul_i32 s36, s23, 0xc0
	s_mov_b32 s37, 0
	s_mov_b32 s38, s34
	s_branch .LBB211_31
.LBB211_30:                             ;   in Loop: Header=BB211_31 Depth=4
	s_wait_xcnt 0x0
	s_mulk_i32 s40, 0xd0
	s_addk_co_i32 s38, 0xff40
	v_mov_b32_e32 v5, s40
	s_lshl_b32 s40, s37, 4
	s_add_co_i32 s37, s37, 1
	s_delay_alu instid0(SALU_CYCLE_1) | instskip(SKIP_4) | instid1(VALU_DEP_2)
	s_cmp_eq_u32 s37, s30
	ds_load_b128 v[18:21], v5
	s_wait_loadcnt_dscnt 0x0
	v_mul_f64_e32 v[6:7], v[20:21], v[2:3]
	v_mul_f64_e32 v[24:25], v[18:19], v[2:3]
	v_fma_f64 v[22:23], v[18:19], v[0:1], -v[6:7]
	s_delay_alu instid0(VALU_DEP_2)
	v_fmac_f64_e32 v[24:25], v[20:21], v[0:1]
	v_add_nc_u32_e32 v0, s39, v9
	scratch_store_b128 off, v[22:25], s40
	ds_store_b128 v0, v[22:25]
	s_cbranch_scc1 .LBB211_22
.LBB211_31:                             ;   Parent Loop BB211_3 Depth=1
                                        ;     Parent Loop BB211_20 Depth=2
                                        ;       Parent Loop BB211_23 Depth=3
                                        ; =>      This Loop Header: Depth=4
                                        ;           Child Loop BB211_33 Depth 5
	s_cmp_lg_u32 s37, 0
	s_cbranch_scc0 .LBB211_35
; %bb.32:                               ;   in Loop: Header=BB211_31 Depth=4
	s_lshl_b32 s41, s37, 4
	s_wait_xcnt 0x0
	s_sub_co_i32 s40, s23, s37
	scratch_load_b128 v[0:3], off, s41
	s_mul_i32 s39, s40, 0xc0
	s_mov_b32 s42, s18
	s_mov_b32 s43, s38
	;; [unrolled: 1-line block ×3, first 2 shown]
.LBB211_33:                             ;   Parent Loop BB211_3 Depth=1
                                        ;     Parent Loop BB211_20 Depth=2
                                        ;       Parent Loop BB211_23 Depth=3
                                        ;         Parent Loop BB211_31 Depth=4
                                        ; =>        This Inner Loop Header: Depth=5
	scratch_load_b128 v[18:21], off, s42 offset:-8
	v_mov_b32_e32 v5, s43
	s_add_co_i32 s44, s44, -1
	s_add_co_i32 s43, s43, -16
	s_wait_xcnt 0x0
	s_add_co_i32 s42, s42, 16
	s_cmp_eq_u32 s44, 0
	ds_load_b128 v[22:25], v5
	s_wait_loadcnt_dscnt 0x0
	v_mul_f64_e32 v[6:7], v[24:25], v[20:21]
	v_mul_f64_e32 v[20:21], v[22:23], v[20:21]
	s_delay_alu instid0(VALU_DEP_2) | instskip(NEXT) | instid1(VALU_DEP_2)
	v_fma_f64 v[6:7], v[22:23], v[18:19], -v[6:7]
	v_fmac_f64_e32 v[20:21], v[24:25], v[18:19]
	s_delay_alu instid0(VALU_DEP_2) | instskip(NEXT) | instid1(VALU_DEP_2)
	v_add_f64_e64 v[0:1], v[0:1], -v[6:7]
	v_add_f64_e64 v[2:3], v[2:3], -v[20:21]
	scratch_store_b128 off, v[0:3], s41
	s_cbranch_scc0 .LBB211_33
; %bb.34:                               ;   in Loop: Header=BB211_31 Depth=4
	s_wait_xcnt 0x0
	s_branch .LBB211_30
.LBB211_35:                             ;   in Loop: Header=BB211_31 Depth=4
                                        ; implicit-def: $vgpr0_vgpr1
                                        ; implicit-def: $sgpr40
                                        ; implicit-def: $sgpr39
	s_cbranch_execz .LBB211_30
; %bb.36:                               ;   in Loop: Header=BB211_31 Depth=4
	scratch_load_b128 v[0:3], off, off
	s_mov_b32 s39, s36
	s_wait_xcnt 0x1
	s_mov_b32 s40, s23
	s_branch .LBB211_30
.LBB211_37:                             ;   in Loop: Header=BB211_3 Depth=1
	s_mov_b32 s23, 0
.LBB211_38:                             ;   in Loop: Header=BB211_3 Depth=1
	s_delay_alu instid0(SALU_CYCLE_1)
	s_and_b32 vcc_lo, exec_lo, s23
	s_cbranch_vccz .LBB211_59
; %bb.39:                               ;   in Loop: Header=BB211_3 Depth=1
	s_mov_b32 s27, 0
	s_mov_b32 s23, 0
	s_branch .LBB211_41
.LBB211_40:                             ;   in Loop: Header=BB211_41 Depth=2
	s_cmp_lt_i32 s23, s19
	s_cselect_b32 s28, -1, 0
	s_add_co_i32 s29, s27, 1
	s_cmp_lt_u32 s27, 2
	s_wait_xcnt 0x0
	s_cselect_b32 s27, -1, 0
	s_delay_alu instid0(SALU_CYCLE_1) | instskip(NEXT) | instid1(SALU_CYCLE_1)
	s_and_b32 s27, s28, s27
	s_and_not1_b32 vcc_lo, exec_lo, s27
	s_mov_b32 s27, s29
	s_cbranch_vccnz .LBB211_59
.LBB211_41:                             ;   Parent Loop BB211_3 Depth=1
                                        ; =>  This Loop Header: Depth=2
                                        ;       Child Loop BB211_44 Depth 3
                                        ;         Child Loop BB211_45 Depth 4
                                        ;         Child Loop BB211_48 Depth 4
                                        ;           Child Loop BB211_49 Depth 5
                                        ;         Child Loop BB211_53 Depth 4
                                        ;           Child Loop BB211_55 Depth 5
	s_load_b32 s28, s[12:13], s27 offset:0x0 scale_offset
	s_wait_kmcnt 0x0
	s_add_co_i32 s29, s28, -1
	s_delay_alu instid0(SALU_CYCLE_1) | instskip(NEXT) | instid1(SALU_CYCLE_1)
	s_add_co_i32 s30, s29, s23
	s_cmp_ge_i32 s30, s19
	s_cbranch_scc1 .LBB211_40
; %bb.42:                               ;   in Loop: Header=BB211_41 Depth=2
	v_mad_u32 v4, 0xc0, s23, v9
	s_max_i32 s30, s28, 1
	s_mul_i32 s31, s28, 0xc0
	s_lshl_b32 s33, s23, 4
	s_lshl_b32 s34, s28, 4
	s_mul_i32 s35, s23, 0xd0
	s_mul_i32 s36, s28, 0xd0
	s_branch .LBB211_44
.LBB211_43:                             ;   in Loop: Header=BB211_44 Depth=3
	s_add_co_i32 s23, s23, s28
	v_add_nc_u32_e32 v4, s31, v4
	s_add_co_i32 s37, s29, s23
	s_add_co_i32 s33, s33, s34
	;; [unrolled: 1-line block ×3, first 2 shown]
	s_cmp_ge_i32 s37, s19
	s_cbranch_scc1 .LBB211_40
.LBB211_44:                             ;   Parent Loop BB211_3 Depth=1
                                        ;     Parent Loop BB211_41 Depth=2
                                        ; =>    This Loop Header: Depth=3
                                        ;         Child Loop BB211_45 Depth 4
                                        ;         Child Loop BB211_48 Depth 4
                                        ;           Child Loop BB211_49 Depth 5
                                        ;         Child Loop BB211_53 Depth 4
                                        ;           Child Loop BB211_55 Depth 5
	s_delay_alu instid0(VALU_DEP_1)
	v_mov_b32_e32 v0, v4
	s_mov_b32 s37, 0
	s_mov_b32 s38, s30
.LBB211_45:                             ;   Parent Loop BB211_3 Depth=1
                                        ;     Parent Loop BB211_41 Depth=2
                                        ;       Parent Loop BB211_44 Depth=3
                                        ; =>      This Inner Loop Header: Depth=4
	ds_load_b128 v[18:21], v0
	v_add_nc_u32_e32 v0, 0xc0, v0
	s_add_co_i32 s38, s38, -1
	s_wait_dscnt 0x0
	scratch_store_b128 off, v[18:21], s37
	s_wait_xcnt 0x0
	s_add_co_i32 s37, s37, 16
	s_cmp_eq_u32 s38, 0
	s_cbranch_scc0 .LBB211_45
; %bb.46:                               ;   in Loop: Header=BB211_44 Depth=3
	s_cmp_lt_i32 s23, 1
	s_cbranch_scc1 .LBB211_51
; %bb.47:                               ;   in Loop: Header=BB211_44 Depth=3
	s_mov_b32 s37, 0
	s_mov_b32 s38, s33
.LBB211_48:                             ;   Parent Loop BB211_3 Depth=1
                                        ;     Parent Loop BB211_41 Depth=2
                                        ;       Parent Loop BB211_44 Depth=3
                                        ; =>      This Loop Header: Depth=4
                                        ;           Child Loop BB211_49 Depth 5
	v_mad_u32 v0, 0xc0, s37, v9
	s_mov_b32 s39, s18
	s_mov_b32 s40, s38
	;; [unrolled: 1-line block ×3, first 2 shown]
	ds_load_b128 v[0:3], v0
.LBB211_49:                             ;   Parent Loop BB211_3 Depth=1
                                        ;     Parent Loop BB211_41 Depth=2
                                        ;       Parent Loop BB211_44 Depth=3
                                        ;         Parent Loop BB211_48 Depth=4
                                        ; =>        This Inner Loop Header: Depth=5
	scratch_load_b128 v[18:21], off, s39 offset:-8
	v_mov_b32_e32 v5, s40
	s_add_co_i32 s41, s41, -1
	s_add_co_i32 s40, s40, 16
	ds_load_b128 v[22:25], v5
	s_wait_dscnt 0x0
	v_mul_f64_e32 v[6:7], v[2:3], v[24:25]
	v_mul_f64_e32 v[24:25], v[0:1], v[24:25]
	s_delay_alu instid0(VALU_DEP_2) | instskip(NEXT) | instid1(VALU_DEP_2)
	v_fma_f64 v[6:7], v[0:1], v[22:23], -v[6:7]
	v_fmac_f64_e32 v[24:25], v[2:3], v[22:23]
	s_wait_loadcnt 0x0
	s_delay_alu instid0(VALU_DEP_2) | instskip(NEXT) | instid1(VALU_DEP_2)
	v_add_f64_e64 v[18:19], v[18:19], -v[6:7]
	v_add_f64_e64 v[20:21], v[20:21], -v[24:25]
	scratch_store_b128 off, v[18:21], s39 offset:-8
	s_wait_xcnt 0x0
	s_add_co_i32 s39, s39, 16
	s_cmp_eq_u32 s41, 0
	s_cbranch_scc0 .LBB211_49
; %bb.50:                               ;   in Loop: Header=BB211_48 Depth=4
	s_add_co_i32 s37, s37, 1
	s_addk_co_i32 s38, 0xc0
	s_cmp_eq_u32 s37, s23
	s_cbranch_scc0 .LBB211_48
.LBB211_51:                             ;   in Loop: Header=BB211_44 Depth=3
	s_mov_b32 s37, 0
	s_mov_b32 s38, s35
	s_branch .LBB211_53
.LBB211_52:                             ;   in Loop: Header=BB211_53 Depth=4
	s_add_co_i32 s39, s37, s23
	s_add_co_i32 s38, s38, 16
	s_mul_i32 s40, s39, 0xd0
	s_delay_alu instid0(SALU_CYCLE_1) | instskip(SKIP_4) | instid1(VALU_DEP_2)
	v_mov_b32_e32 v5, s40
	ds_load_b128 v[18:21], v5
	s_wait_loadcnt_dscnt 0x0
	v_mul_f64_e32 v[6:7], v[20:21], v[2:3]
	v_mul_f64_e32 v[24:25], v[18:19], v[2:3]
	v_fma_f64 v[22:23], v[18:19], v[0:1], -v[6:7]
	s_delay_alu instid0(VALU_DEP_2) | instskip(SKIP_3) | instid1(SALU_CYCLE_1)
	v_fmac_f64_e32 v[24:25], v[20:21], v[0:1]
	v_mad_u32 v0, 0xc0, s39, v9
	s_lshl_b32 s39, s37, 4
	s_add_co_i32 s37, s37, 1
	s_cmp_eq_u32 s37, s30
	scratch_store_b128 off, v[22:25], s39
	ds_store_b128 v0, v[22:25]
	s_cbranch_scc1 .LBB211_43
.LBB211_53:                             ;   Parent Loop BB211_3 Depth=1
                                        ;     Parent Loop BB211_41 Depth=2
                                        ;       Parent Loop BB211_44 Depth=3
                                        ; =>      This Loop Header: Depth=4
                                        ;           Child Loop BB211_55 Depth 5
	s_cmp_lg_u32 s37, 0
	s_cbranch_scc0 .LBB211_57
; %bb.54:                               ;   in Loop: Header=BB211_53 Depth=4
	s_wait_xcnt 0x0
	s_lshl_b32 s39, s37, 4
	s_mov_b32 s40, s18
	scratch_load_b128 v[0:3], off, s39
	s_mov_b32 s41, s38
	s_mov_b32 s42, s37
.LBB211_55:                             ;   Parent Loop BB211_3 Depth=1
                                        ;     Parent Loop BB211_41 Depth=2
                                        ;       Parent Loop BB211_44 Depth=3
                                        ;         Parent Loop BB211_53 Depth=4
                                        ; =>        This Inner Loop Header: Depth=5
	scratch_load_b128 v[18:21], off, s40 offset:-8
	v_mov_b32_e32 v5, s41
	s_add_co_i32 s42, s42, -1
	s_addk_co_i32 s41, 0xc0
	s_wait_xcnt 0x0
	s_add_co_i32 s40, s40, 16
	s_cmp_eq_u32 s42, 0
	ds_load_b128 v[22:25], v5
	s_wait_loadcnt_dscnt 0x0
	v_mul_f64_e32 v[6:7], v[24:25], v[20:21]
	v_mul_f64_e32 v[20:21], v[22:23], v[20:21]
	s_delay_alu instid0(VALU_DEP_2) | instskip(NEXT) | instid1(VALU_DEP_2)
	v_fma_f64 v[6:7], v[22:23], v[18:19], -v[6:7]
	v_fmac_f64_e32 v[20:21], v[24:25], v[18:19]
	s_delay_alu instid0(VALU_DEP_2) | instskip(NEXT) | instid1(VALU_DEP_2)
	v_add_f64_e64 v[0:1], v[0:1], -v[6:7]
	v_add_f64_e64 v[2:3], v[2:3], -v[20:21]
	scratch_store_b128 off, v[0:3], s39
	s_cbranch_scc0 .LBB211_55
; %bb.56:                               ;   in Loop: Header=BB211_53 Depth=4
	s_wait_xcnt 0x0
	s_branch .LBB211_52
.LBB211_57:                             ;   in Loop: Header=BB211_53 Depth=4
	s_wait_xcnt 0x0
                                        ; implicit-def: $vgpr0_vgpr1
	s_cbranch_execz .LBB211_52
; %bb.58:                               ;   in Loop: Header=BB211_53 Depth=4
	scratch_load_b128 v[0:3], off, off
	s_branch .LBB211_52
.LBB211_59:                             ;   in Loop: Header=BB211_3 Depth=1
	; wave barrier
	s_wait_storecnt_dscnt 0x0
	s_wait_xcnt 0x0
	s_and_saveexec_b32 s23, s1
	s_cbranch_execz .LBB211_2
; %bb.60:                               ;   in Loop: Header=BB211_3 Depth=1
	v_add_nc_u64_e32 v[0:1], s[16:17], v[10:11]
	v_mov_b32_e32 v2, v9
	s_mov_b32 s16, s19
.LBB211_61:                             ;   Parent Loop BB211_3 Depth=1
                                        ; =>  This Inner Loop Header: Depth=2
	ds_load_2addr_b64 v[4:7], v2 offset1:1
	v_add_nc_u32_e32 v2, 0xc0, v2
	s_add_co_i32 s16, s16, -1
	s_delay_alu instid0(SALU_CYCLE_1)
	s_cmp_lg_u32 s16, 0
	s_wait_dscnt 0x0
	global_store_b128 v[0:1], v[4:7], off
	s_wait_xcnt 0x0
	v_add_nc_u64_e32 v[0:1], 16, v[0:1]
	s_cbranch_scc1 .LBB211_61
	s_branch .LBB211_2
.LBB211_62:
	s_endpgm
	.section	.rodata,"a",@progbits
	.p2align	6, 0x0
	.amdhsa_kernel _ZL38rocblas_trsm_small_left_device_sharedBILi12ELi12ELb1E19rocblas_complex_numIdES1_PKS1_PS1_Ev13rocblas_fill_18rocblas_operation_17rocblas_diagonal_iiT3_T4_lilT5_lili
		.amdhsa_group_segment_fixed_size 4608
		.amdhsa_private_segment_fixed_size 208
		.amdhsa_kernarg_size 368
		.amdhsa_user_sgpr_count 2
		.amdhsa_user_sgpr_dispatch_ptr 0
		.amdhsa_user_sgpr_queue_ptr 0
		.amdhsa_user_sgpr_kernarg_segment_ptr 1
		.amdhsa_user_sgpr_dispatch_id 0
		.amdhsa_user_sgpr_kernarg_preload_length 0
		.amdhsa_user_sgpr_kernarg_preload_offset 0
		.amdhsa_user_sgpr_private_segment_size 0
		.amdhsa_wavefront_size32 1
		.amdhsa_uses_dynamic_stack 0
		.amdhsa_enable_private_segment 1
		.amdhsa_system_sgpr_workgroup_id_x 1
		.amdhsa_system_sgpr_workgroup_id_y 0
		.amdhsa_system_sgpr_workgroup_id_z 1
		.amdhsa_system_sgpr_workgroup_info 0
		.amdhsa_system_vgpr_workitem_id 0
		.amdhsa_next_free_vgpr 26
		.amdhsa_next_free_sgpr 45
		.amdhsa_named_barrier_count 0
		.amdhsa_reserve_vcc 1
		.amdhsa_float_round_mode_32 0
		.amdhsa_float_round_mode_16_64 0
		.amdhsa_float_denorm_mode_32 3
		.amdhsa_float_denorm_mode_16_64 3
		.amdhsa_fp16_overflow 0
		.amdhsa_memory_ordered 1
		.amdhsa_forward_progress 1
		.amdhsa_inst_pref_size 22
		.amdhsa_round_robin_scheduling 0
		.amdhsa_exception_fp_ieee_invalid_op 0
		.amdhsa_exception_fp_denorm_src 0
		.amdhsa_exception_fp_ieee_div_zero 0
		.amdhsa_exception_fp_ieee_overflow 0
		.amdhsa_exception_fp_ieee_underflow 0
		.amdhsa_exception_fp_ieee_inexact 0
		.amdhsa_exception_int_div_zero 0
	.end_amdhsa_kernel
	.section	.text._ZL38rocblas_trsm_small_left_device_sharedBILi12ELi12ELb1E19rocblas_complex_numIdES1_PKS1_PS1_Ev13rocblas_fill_18rocblas_operation_17rocblas_diagonal_iiT3_T4_lilT5_lili,"axG",@progbits,_ZL38rocblas_trsm_small_left_device_sharedBILi12ELi12ELb1E19rocblas_complex_numIdES1_PKS1_PS1_Ev13rocblas_fill_18rocblas_operation_17rocblas_diagonal_iiT3_T4_lilT5_lili,comdat
.Lfunc_end211:
	.size	_ZL38rocblas_trsm_small_left_device_sharedBILi12ELi12ELb1E19rocblas_complex_numIdES1_PKS1_PS1_Ev13rocblas_fill_18rocblas_operation_17rocblas_diagonal_iiT3_T4_lilT5_lili, .Lfunc_end211-_ZL38rocblas_trsm_small_left_device_sharedBILi12ELi12ELb1E19rocblas_complex_numIdES1_PKS1_PS1_Ev13rocblas_fill_18rocblas_operation_17rocblas_diagonal_iiT3_T4_lilT5_lili
                                        ; -- End function
	.set _ZL38rocblas_trsm_small_left_device_sharedBILi12ELi12ELb1E19rocblas_complex_numIdES1_PKS1_PS1_Ev13rocblas_fill_18rocblas_operation_17rocblas_diagonal_iiT3_T4_lilT5_lili.num_vgpr, 26
	.set _ZL38rocblas_trsm_small_left_device_sharedBILi12ELi12ELb1E19rocblas_complex_numIdES1_PKS1_PS1_Ev13rocblas_fill_18rocblas_operation_17rocblas_diagonal_iiT3_T4_lilT5_lili.num_agpr, 0
	.set _ZL38rocblas_trsm_small_left_device_sharedBILi12ELi12ELb1E19rocblas_complex_numIdES1_PKS1_PS1_Ev13rocblas_fill_18rocblas_operation_17rocblas_diagonal_iiT3_T4_lilT5_lili.numbered_sgpr, 45
	.set _ZL38rocblas_trsm_small_left_device_sharedBILi12ELi12ELb1E19rocblas_complex_numIdES1_PKS1_PS1_Ev13rocblas_fill_18rocblas_operation_17rocblas_diagonal_iiT3_T4_lilT5_lili.num_named_barrier, 0
	.set _ZL38rocblas_trsm_small_left_device_sharedBILi12ELi12ELb1E19rocblas_complex_numIdES1_PKS1_PS1_Ev13rocblas_fill_18rocblas_operation_17rocblas_diagonal_iiT3_T4_lilT5_lili.private_seg_size, 208
	.set _ZL38rocblas_trsm_small_left_device_sharedBILi12ELi12ELb1E19rocblas_complex_numIdES1_PKS1_PS1_Ev13rocblas_fill_18rocblas_operation_17rocblas_diagonal_iiT3_T4_lilT5_lili.uses_vcc, 1
	.set _ZL38rocblas_trsm_small_left_device_sharedBILi12ELi12ELb1E19rocblas_complex_numIdES1_PKS1_PS1_Ev13rocblas_fill_18rocblas_operation_17rocblas_diagonal_iiT3_T4_lilT5_lili.uses_flat_scratch, 0
	.set _ZL38rocblas_trsm_small_left_device_sharedBILi12ELi12ELb1E19rocblas_complex_numIdES1_PKS1_PS1_Ev13rocblas_fill_18rocblas_operation_17rocblas_diagonal_iiT3_T4_lilT5_lili.has_dyn_sized_stack, 0
	.set _ZL38rocblas_trsm_small_left_device_sharedBILi12ELi12ELb1E19rocblas_complex_numIdES1_PKS1_PS1_Ev13rocblas_fill_18rocblas_operation_17rocblas_diagonal_iiT3_T4_lilT5_lili.has_recursion, 0
	.set _ZL38rocblas_trsm_small_left_device_sharedBILi12ELi12ELb1E19rocblas_complex_numIdES1_PKS1_PS1_Ev13rocblas_fill_18rocblas_operation_17rocblas_diagonal_iiT3_T4_lilT5_lili.has_indirect_call, 0
	.section	.AMDGPU.csdata,"",@progbits
; Kernel info:
; codeLenInByte = 2732
; TotalNumSgprs: 47
; NumVgprs: 26
; ScratchSize: 208
; MemoryBound: 0
; FloatMode: 240
; IeeeMode: 1
; LDSByteSize: 4608 bytes/workgroup (compile time only)
; SGPRBlocks: 0
; VGPRBlocks: 1
; NumSGPRsForWavesPerEU: 47
; NumVGPRsForWavesPerEU: 26
; NamedBarCnt: 0
; Occupancy: 16
; WaveLimiterHint : 0
; COMPUTE_PGM_RSRC2:SCRATCH_EN: 1
; COMPUTE_PGM_RSRC2:USER_SGPR: 2
; COMPUTE_PGM_RSRC2:TRAP_HANDLER: 0
; COMPUTE_PGM_RSRC2:TGID_X_EN: 1
; COMPUTE_PGM_RSRC2:TGID_Y_EN: 0
; COMPUTE_PGM_RSRC2:TGID_Z_EN: 1
; COMPUTE_PGM_RSRC2:TIDIG_COMP_CNT: 0
	.section	.text._ZL30rocblas_trsm_small_left_deviceILi12ELi12ELb1E19rocblas_complex_numIdES1_PKS1_PS1_Ev13rocblas_fill_18rocblas_operation_17rocblas_diagonal_iiT3_T4_lilT5_lili,"axG",@progbits,_ZL30rocblas_trsm_small_left_deviceILi12ELi12ELb1E19rocblas_complex_numIdES1_PKS1_PS1_Ev13rocblas_fill_18rocblas_operation_17rocblas_diagonal_iiT3_T4_lilT5_lili,comdat
	.globl	_ZL30rocblas_trsm_small_left_deviceILi12ELi12ELb1E19rocblas_complex_numIdES1_PKS1_PS1_Ev13rocblas_fill_18rocblas_operation_17rocblas_diagonal_iiT3_T4_lilT5_lili ; -- Begin function _ZL30rocblas_trsm_small_left_deviceILi12ELi12ELb1E19rocblas_complex_numIdES1_PKS1_PS1_Ev13rocblas_fill_18rocblas_operation_17rocblas_diagonal_iiT3_T4_lilT5_lili
	.p2align	8
	.type	_ZL30rocblas_trsm_small_left_deviceILi12ELi12ELb1E19rocblas_complex_numIdES1_PKS1_PS1_Ev13rocblas_fill_18rocblas_operation_17rocblas_diagonal_iiT3_T4_lilT5_lili,@function
_ZL30rocblas_trsm_small_left_deviceILi12ELi12ELb1E19rocblas_complex_numIdES1_PKS1_PS1_Ev13rocblas_fill_18rocblas_operation_17rocblas_diagonal_iiT3_T4_lilT5_lili: ; @_ZL30rocblas_trsm_small_left_deviceILi12ELi12ELb1E19rocblas_complex_numIdES1_PKS1_PS1_Ev13rocblas_fill_18rocblas_operation_17rocblas_diagonal_iiT3_T4_lilT5_lili
; %bb.0:
	s_load_b32 s30, s[2:3], 0x68
	s_bfe_u32 s4, ttmp6, 0x40014
	s_lshr_b32 s5, ttmp7, 16
	s_add_co_i32 s4, s4, 1
	s_bfe_u32 s6, ttmp6, 0x40008
	s_mul_i32 s4, s5, s4
	s_getreg_b32 s7, hwreg(HW_REG_IB_STS2, 6, 4)
	s_add_co_i32 s6, s6, s4
	s_cmp_eq_u32 s7, 0
	s_mov_b32 s23, 0
	s_cselect_b32 s20, s5, s6
	s_wait_kmcnt 0x0
	s_cmp_ge_u32 s20, s30
	s_cbranch_scc1 .LBB212_58
; %bb.1:
	s_clause 0x1
	s_load_b32 s26, s[2:3], 0x38
	s_load_b96 s[4:6], s[2:3], 0x50
	s_load_b64 s[28:29], s[0:1], 0x4
	s_clause 0x3
	s_load_b128 s[12:15], s[2:3], 0x4
	s_load_b32 s8, s[2:3], 0x70
	s_load_b64 s[24:25], s[2:3], 0x60
	s_load_b128 s[16:19], s[2:3], 0x40
	v_and_b32_e32 v4, 0x3ff, v0
	v_bfe_u32 v1, v0, 10, 10
	v_bfe_u32 v0, v0, 20, 10
	s_delay_alu instid0(VALU_DEP_3) | instskip(SKIP_1) | instid1(VALU_DEP_1)
	v_dual_mov_b32 v9, 0 :: v_dual_lshlrev_b32 v8, 4, v4
	v_mul_u32_u24_e32 v6, 0xc0, v4
	v_add_nc_u32_e32 v18, v8, v6
	s_wait_kmcnt 0x0
	s_ashr_i32 s27, s26, 31
	s_ashr_i32 s9, s6, 31
	s_lshr_b32 s1, s28, 16
	s_cmp_eq_u32 s12, 0x71
	s_mul_i32 s1, s1, s29
	s_cselect_b32 s0, -1, 0
	s_lshl_b64 s[36:37], s[4:5], 4
	s_bfe_u32 s4, ttmp6, 0x4000c
	s_min_i32 s31, s14, 12
	s_add_co_i32 s4, s4, 1
	s_and_b32 s5, ttmp6, 15
	s_mul_i32 s4, ttmp9, s4
	s_add_co_i32 s14, s8, -1
	s_add_co_i32 s33, s31, -1
	s_add_co_i32 s5, s5, s4
	s_cmp_eq_u32 s7, 0
	s_mov_b32 s8, s6
	s_cselect_b32 s21, ttmp9, s5
	v_mul_u32_u24_e32 v1, s29, v1
	v_mad_u32 v2, s21, 12, v4
	v_mul_u32_u24_e32 v5, s1, v4
	v_cmp_gt_i32_e64 s1, s31, v4
	s_delay_alu instid0(VALU_DEP_2) | instskip(NEXT) | instid1(VALU_DEP_4)
	v_add3_u32 v5, v5, v1, v0
	v_ashrrev_i32_e32 v3, 31, v2
	s_delay_alu instid0(VALU_DEP_1)
	v_mul_u64_e32 v[2:3], s[8:9], v[2:3]
	s_load_b256 s[4:11], s[2:3], 0x18
	s_wait_xcnt 0x0
	s_mul_i32 s3, s21, -12
	s_movk_i32 s2, 0xc0
	s_add_co_i32 s3, s15, s3
	s_cmp_ge_u32 s21, s14
	s_cselect_b32 s14, s3, 12
	s_cmp_lg_u32 s13, 0x84
	s_cselect_b32 s3, -1, 0
	s_cmp_lg_u32 s12, 0x6f
	s_get_pc_i64 s[12:13]
	s_add_nc_u64 s[12:13], s[12:13], __const._ZL30rocblas_trsm_small_left_deviceILi12ELi12ELb1E19rocblas_complex_numIdES1_PKS1_PS1_Ev13rocblas_fill_18rocblas_operation_17rocblas_diagonal_iiT3_T4_lilT5_lili.step_sizes@rel64+4
	s_cselect_b32 s34, -1, 0
	s_lshl_b32 s35, s31, 4
	s_delay_alu instid0(SALU_CYCLE_1) | instskip(SKIP_2) | instid1(SALU_CYCLE_1)
	s_add_co_i32 s35, s35, -16
	s_wait_kmcnt 0x0
	s_lshl_b64 s[10:11], s[10:11], 4
	s_add_nc_u64 s[8:9], s[8:9], s[10:11]
	s_add_nc_u64 s[10:11], s[18:19], s[36:37]
	v_add_nc_u64_e32 v[0:1], s[8:9], v[8:9]
	v_mad_u32 v9, v5, s2, 0x900
	v_cmp_gt_i32_e64 s2, s14, v4
	s_lshl_b64 s[8:9], s[16:17], 4
	s_lshl_b64 s[14:15], s[24:25], 4
	s_mov_b32 s36, 0
	v_lshl_add_u64 v[10:11], v[2:3], 4, s[10:11]
	v_add_nc_u64_e32 v[12:13], 8, v[0:1]
	s_lshl_b64 s[10:11], s[26:27], 4
	s_delay_alu instid0(VALU_DEP_2)
	v_add_nc_u64_e32 v[14:15], 8, v[10:11]
	s_branch .LBB212_4
.LBB212_2:                              ;   in Loop: Header=BB212_4 Depth=1
	s_add_co_i32 s20, s20, 0x10000
	s_delay_alu instid0(SALU_CYCLE_1) | instskip(SKIP_1) | instid1(SALU_CYCLE_1)
	s_cmp_ge_u32 s20, s30
	s_cselect_b32 s16, -1, 0
	s_or_not1_b32 s16, s16, exec_lo
.LBB212_3:                              ;   in Loop: Header=BB212_4 Depth=1
	s_wait_xcnt 0x0
	s_or_b32 exec_lo, exec_lo, s37
	s_delay_alu instid0(SALU_CYCLE_1) | instskip(NEXT) | instid1(SALU_CYCLE_1)
	s_and_b32 s16, exec_lo, s16
	s_or_b32 s36, s16, s36
	s_delay_alu instid0(SALU_CYCLE_1)
	s_and_not1_b32 exec_lo, exec_lo, s36
	s_cbranch_execz .LBB212_58
.LBB212_4:                              ; =>This Loop Header: Depth=1
                                        ;     Child Loop BB212_6 Depth 2
                                        ;     Child Loop BB212_19 Depth 2
                                        ;       Child Loop BB212_22 Depth 3
                                        ;         Child Loop BB212_23 Depth 4
                                        ;         Child Loop BB212_25 Depth 4
                                        ;           Child Loop BB212_26 Depth 5
                                        ;         Child Loop BB212_30 Depth 4
                                        ;           Child Loop BB212_32 Depth 5
                                        ;     Child Loop BB212_40 Depth 2
                                        ;       Child Loop BB212_43 Depth 3
                                        ;         Child Loop BB212_44 Depth 4
                                        ;         Child Loop BB212_47 Depth 4
                                        ;           Child Loop BB212_48 Depth 5
                                        ;         Child Loop BB212_52 Depth 4
                                        ;           Child Loop BB212_54 Depth 5
	s_mov_b32 s21, s23
	s_and_saveexec_b32 s16, s1
	s_cbranch_execz .LBB212_15
; %bb.5:                                ;   in Loop: Header=BB212_4 Depth=1
	v_mad_nc_u64_u32 v[0:1], s8, s20, v[12:13]
	v_mov_b32_e32 v2, v8
	s_mov_b32 s17, s31
	s_delay_alu instid0(VALU_DEP_2)
	v_mad_u32 v1, s9, s20, v1
.LBB212_6:                              ;   Parent Loop BB212_4 Depth=1
                                        ; =>  This Inner Loop Header: Depth=2
	global_load_b128 v[4:7], v[0:1], off offset:-8
	s_wait_xcnt 0x0
	v_add_nc_u64_e32 v[0:1], s[10:11], v[0:1]
	s_add_co_i32 s17, s17, -1
	s_delay_alu instid0(SALU_CYCLE_1) | instskip(SKIP_2) | instid1(VALU_DEP_1)
	s_cmp_eq_u32 s17, 0
	s_wait_loadcnt 0x0
	v_xor_b32_e32 v3, 0x80000000, v7
	v_cndmask_b32_e64 v7, v7, v3, s0
	ds_store_b128 v2, v[4:7]
	v_add_nc_u32_e32 v2, 0xc0, v2
	s_cbranch_scc0 .LBB212_6
; %bb.7:                                ;   in Loop: Header=BB212_4 Depth=1
	s_and_b32 vcc_lo, exec_lo, s3
	s_cbranch_vccz .LBB212_13
; %bb.8:                                ;   in Loop: Header=BB212_4 Depth=1
	ds_load_b128 v[0:3], v18
                                        ; implicit-def: $vgpr6_vgpr7
	s_wait_dscnt 0x0
	v_cmp_ngt_f64_e64 s17, |v[0:1]|, |v[2:3]|
	s_and_saveexec_b32 s18, s17
	s_delay_alu instid0(SALU_CYCLE_1)
	s_xor_b32 s17, exec_lo, s18
	s_cbranch_execz .LBB212_10
; %bb.9:                                ;   in Loop: Header=BB212_4 Depth=1
	v_div_scale_f64 v[4:5], null, v[2:3], v[2:3], v[0:1]
	v_div_scale_f64 v[20:21], vcc_lo, v[0:1], v[2:3], v[0:1]
	s_delay_alu instid0(VALU_DEP_2) | instskip(SKIP_1) | instid1(TRANS32_DEP_1)
	v_rcp_f64_e32 v[6:7], v[4:5]
	v_nop
	v_fma_f64 v[16:17], -v[4:5], v[6:7], 1.0
	s_delay_alu instid0(VALU_DEP_1) | instskip(NEXT) | instid1(VALU_DEP_1)
	v_fmac_f64_e32 v[6:7], v[6:7], v[16:17]
	v_fma_f64 v[16:17], -v[4:5], v[6:7], 1.0
	s_delay_alu instid0(VALU_DEP_1) | instskip(NEXT) | instid1(VALU_DEP_1)
	v_fmac_f64_e32 v[6:7], v[6:7], v[16:17]
	v_mul_f64_e32 v[16:17], v[20:21], v[6:7]
	s_delay_alu instid0(VALU_DEP_1) | instskip(NEXT) | instid1(VALU_DEP_1)
	v_fma_f64 v[4:5], -v[4:5], v[16:17], v[20:21]
	v_div_fmas_f64 v[4:5], v[4:5], v[6:7], v[16:17]
	s_delay_alu instid0(VALU_DEP_1) | instskip(NEXT) | instid1(VALU_DEP_1)
	v_div_fixup_f64 v[4:5], v[4:5], v[2:3], v[0:1]
	v_fmac_f64_e32 v[2:3], v[0:1], v[4:5]
	s_delay_alu instid0(VALU_DEP_1) | instskip(SKIP_1) | instid1(VALU_DEP_2)
	v_div_scale_f64 v[0:1], null, v[2:3], v[2:3], 1.0
	v_div_scale_f64 v[20:21], vcc_lo, 1.0, v[2:3], 1.0
	v_rcp_f64_e32 v[6:7], v[0:1]
	v_nop
	s_delay_alu instid0(TRANS32_DEP_1) | instskip(NEXT) | instid1(VALU_DEP_1)
	v_fma_f64 v[16:17], -v[0:1], v[6:7], 1.0
	v_fmac_f64_e32 v[6:7], v[6:7], v[16:17]
	s_delay_alu instid0(VALU_DEP_1) | instskip(NEXT) | instid1(VALU_DEP_1)
	v_fma_f64 v[16:17], -v[0:1], v[6:7], 1.0
	v_fmac_f64_e32 v[6:7], v[6:7], v[16:17]
	s_delay_alu instid0(VALU_DEP_1) | instskip(NEXT) | instid1(VALU_DEP_1)
	v_mul_f64_e32 v[16:17], v[20:21], v[6:7]
	v_fma_f64 v[0:1], -v[0:1], v[16:17], v[20:21]
	s_delay_alu instid0(VALU_DEP_1) | instskip(SKIP_1) | instid1(VALU_DEP_2)
	v_div_fmas_f64 v[0:1], v[0:1], v[6:7], v[16:17]
	v_add_f64_e32 v[6:7], 0, v[4:5]
	v_div_fixup_f64 v[0:1], v[0:1], v[2:3], 1.0
	v_fma_f64 v[2:3], v[4:5], 0, -1.0
	s_delay_alu instid0(VALU_DEP_2) | instskip(NEXT) | instid1(VALU_DEP_2)
	v_mul_f64_e32 v[4:5], v[6:7], v[0:1]
	v_mul_f64_e32 v[6:7], v[2:3], v[0:1]
                                        ; implicit-def: $vgpr0_vgpr1
.LBB212_10:                             ;   in Loop: Header=BB212_4 Depth=1
	s_and_not1_saveexec_b32 s17, s17
	s_cbranch_execz .LBB212_12
; %bb.11:                               ;   in Loop: Header=BB212_4 Depth=1
	v_div_scale_f64 v[4:5], null, v[0:1], v[0:1], v[2:3]
	v_div_scale_f64 v[20:21], vcc_lo, v[2:3], v[0:1], v[2:3]
	s_delay_alu instid0(VALU_DEP_2) | instskip(SKIP_1) | instid1(TRANS32_DEP_1)
	v_rcp_f64_e32 v[6:7], v[4:5]
	v_nop
	v_fma_f64 v[16:17], -v[4:5], v[6:7], 1.0
	s_delay_alu instid0(VALU_DEP_1) | instskip(NEXT) | instid1(VALU_DEP_1)
	v_fmac_f64_e32 v[6:7], v[6:7], v[16:17]
	v_fma_f64 v[16:17], -v[4:5], v[6:7], 1.0
	s_delay_alu instid0(VALU_DEP_1) | instskip(NEXT) | instid1(VALU_DEP_1)
	v_fmac_f64_e32 v[6:7], v[6:7], v[16:17]
	v_mul_f64_e32 v[16:17], v[20:21], v[6:7]
	s_delay_alu instid0(VALU_DEP_1) | instskip(NEXT) | instid1(VALU_DEP_1)
	v_fma_f64 v[4:5], -v[4:5], v[16:17], v[20:21]
	v_div_fmas_f64 v[4:5], v[4:5], v[6:7], v[16:17]
	s_delay_alu instid0(VALU_DEP_1) | instskip(NEXT) | instid1(VALU_DEP_1)
	v_div_fixup_f64 v[4:5], v[4:5], v[0:1], v[2:3]
	v_fmac_f64_e32 v[0:1], v[2:3], v[4:5]
	s_delay_alu instid0(VALU_DEP_1) | instskip(SKIP_1) | instid1(VALU_DEP_2)
	v_div_scale_f64 v[2:3], null, v[0:1], v[0:1], 1.0
	v_div_scale_f64 v[20:21], vcc_lo, 1.0, v[0:1], 1.0
	v_rcp_f64_e32 v[6:7], v[2:3]
	v_nop
	s_delay_alu instid0(TRANS32_DEP_1) | instskip(NEXT) | instid1(VALU_DEP_1)
	v_fma_f64 v[16:17], -v[2:3], v[6:7], 1.0
	v_fmac_f64_e32 v[6:7], v[6:7], v[16:17]
	s_delay_alu instid0(VALU_DEP_1) | instskip(NEXT) | instid1(VALU_DEP_1)
	v_fma_f64 v[16:17], -v[2:3], v[6:7], 1.0
	v_fmac_f64_e32 v[6:7], v[6:7], v[16:17]
	s_delay_alu instid0(VALU_DEP_1) | instskip(NEXT) | instid1(VALU_DEP_1)
	v_mul_f64_e32 v[16:17], v[20:21], v[6:7]
	v_fma_f64 v[2:3], -v[2:3], v[16:17], v[20:21]
	s_delay_alu instid0(VALU_DEP_1) | instskip(SKIP_1) | instid1(VALU_DEP_2)
	v_div_fmas_f64 v[2:3], v[2:3], v[6:7], v[16:17]
	v_fma_f64 v[6:7], v[4:5], 0, 1.0
	v_div_fixup_f64 v[0:1], v[2:3], v[0:1], 1.0
	v_add_f64_e64 v[2:3], -v[4:5], 0
	s_delay_alu instid0(VALU_DEP_2) | instskip(NEXT) | instid1(VALU_DEP_2)
	v_mul_f64_e32 v[4:5], v[6:7], v[0:1]
	v_mul_f64_e32 v[6:7], v[2:3], v[0:1]
.LBB212_12:                             ;   in Loop: Header=BB212_4 Depth=1
	s_or_b32 exec_lo, exec_lo, s17
	s_branch .LBB212_14
.LBB212_13:                             ;   in Loop: Header=BB212_4 Depth=1
	v_mov_b64_e32 v[6:7], 0
	v_mov_b64_e32 v[4:5], 1.0
.LBB212_14:                             ;   in Loop: Header=BB212_4 Depth=1
	ds_store_b128 v18, v[4:7]
.LBB212_15:                             ;   in Loop: Header=BB212_4 Depth=1
	s_or_b32 exec_lo, exec_lo, s16
	s_mov_b32 s16, -1
	s_wait_dscnt 0x0
	; wave barrier
	s_and_saveexec_b32 s37, s2
	s_cbranch_execz .LBB212_3
; %bb.16:                               ;   in Loop: Header=BB212_4 Depth=1
	s_mul_u64 s[16:17], s[24:25], s[20:21]
	s_and_not1_b32 vcc_lo, exec_lo, s34
	v_lshl_add_u64 v[4:5], s[16:17], 4, v[10:11]
	s_mul_u64 s[16:17], s[14:15], s[20:21]
	s_mov_b32 s18, -1
	s_cbranch_vccnz .LBB212_37
; %bb.17:                               ;   in Loop: Header=BB212_4 Depth=1
	v_add_nc_u64_e32 v[6:7], s[16:17], v[14:15]
	s_mov_b32 s21, 0
	s_mov_b32 s18, s33
	s_branch .LBB212_19
.LBB212_18:                             ;   in Loop: Header=BB212_19 Depth=2
	s_cmp_gt_i32 s18, -1
	s_cselect_b32 s19, -1, 0
	s_add_co_i32 s22, s21, 1
	s_cmp_lt_u32 s21, 2
	s_wait_xcnt 0x0
	s_cselect_b32 s21, -1, 0
	s_delay_alu instid0(SALU_CYCLE_1)
	s_and_b32 s19, s19, s21
	s_mov_b32 s21, s22
	s_and_b32 vcc_lo, exec_lo, s19
	s_cbranch_vccz .LBB212_36
.LBB212_19:                             ;   Parent Loop BB212_4 Depth=1
                                        ; =>  This Loop Header: Depth=2
                                        ;       Child Loop BB212_22 Depth 3
                                        ;         Child Loop BB212_23 Depth 4
                                        ;         Child Loop BB212_25 Depth 4
                                        ;           Child Loop BB212_26 Depth 5
                                        ;         Child Loop BB212_30 Depth 4
                                        ;           Child Loop BB212_32 Depth 5
	s_load_b32 s22, s[12:13], s21 offset:0x0 scale_offset
	s_wait_kmcnt 0x0
	s_add_co_i32 s38, s22, -1
	s_delay_alu instid0(SALU_CYCLE_1)
	s_cmp_lt_i32 s18, s38
	s_cbranch_scc1 .LBB212_18
; %bb.20:                               ;   in Loop: Header=BB212_19 Depth=2
	s_mul_i32 s19, s18, 0xc0
	s_max_i32 s39, s22, 1
	s_add_co_i32 s40, s35, s19
	s_mul_i32 s41, s22, 0xffffff40
	s_mul_i32 s42, s18, 0xd0
	;; [unrolled: 1-line block ×3, first 2 shown]
	s_branch .LBB212_22
.LBB212_21:                             ;   in Loop: Header=BB212_22 Depth=3
	s_sub_co_i32 s18, s18, s22
	s_add_co_i32 s40, s40, s41
	s_add_co_i32 s42, s42, s43
	s_cmp_lt_i32 s18, s38
	s_cbranch_scc1 .LBB212_18
.LBB212_22:                             ;   Parent Loop BB212_4 Depth=1
                                        ;     Parent Loop BB212_19 Depth=2
                                        ; =>    This Loop Header: Depth=3
                                        ;         Child Loop BB212_23 Depth 4
                                        ;         Child Loop BB212_25 Depth 4
                                        ;           Child Loop BB212_26 Depth 5
                                        ;         Child Loop BB212_30 Depth 4
                                        ;           Child Loop BB212_32 Depth 5
	s_ashr_i32 s19, s18, 31
	v_mov_b32_e32 v2, v9
	s_wait_xcnt 0x0
	v_lshl_add_u64 v[0:1], s[18:19], 4, v[6:7]
	s_mov_b32 s26, s39
.LBB212_23:                             ;   Parent Loop BB212_4 Depth=1
                                        ;     Parent Loop BB212_19 Depth=2
                                        ;       Parent Loop BB212_22 Depth=3
                                        ; =>      This Inner Loop Header: Depth=4
	global_load_b128 v[20:23], v[0:1], off offset:-8
	s_wait_xcnt 0x0
	v_add_nc_u64_e32 v[0:1], -16, v[0:1]
	s_add_co_i32 s26, s26, -1
	s_delay_alu instid0(SALU_CYCLE_1) | instskip(SKIP_3) | instid1(VALU_DEP_2)
	s_cmp_eq_u32 s26, 0
	s_wait_loadcnt 0x0
	v_mul_f64_e32 v[16:17], s[6:7], v[22:23]
	v_mul_f64_e32 v[24:25], s[4:5], v[22:23]
	v_fma_f64 v[22:23], s[4:5], v[20:21], -v[16:17]
	s_delay_alu instid0(VALU_DEP_2)
	v_fmac_f64_e32 v[24:25], s[6:7], v[20:21]
	ds_store_b128 v2, v[22:25]
	v_add_nc_u32_e32 v2, 16, v2
	s_cbranch_scc0 .LBB212_23
; %bb.24:                               ;   in Loop: Header=BB212_22 Depth=3
	s_cmp_le_i32 s33, s18
	s_mov_b32 s28, s40
	s_mov_b32 s26, s33
	s_cbranch_scc1 .LBB212_28
.LBB212_25:                             ;   Parent Loop BB212_4 Depth=1
                                        ;     Parent Loop BB212_19 Depth=2
                                        ;       Parent Loop BB212_22 Depth=3
                                        ; =>      This Loop Header: Depth=4
                                        ;           Child Loop BB212_26 Depth 5
	s_ashr_i32 s27, s26, 31
	v_mov_b32_e32 v16, v9
	s_wait_xcnt 0x0
	v_lshl_add_u64 v[0:1], s[26:27], 4, v[4:5]
	s_mov_b32 s27, s28
	s_mov_b32 s29, s39
	global_load_b128 v[0:3], v[0:1], off
.LBB212_26:                             ;   Parent Loop BB212_4 Depth=1
                                        ;     Parent Loop BB212_19 Depth=2
                                        ;       Parent Loop BB212_22 Depth=3
                                        ;         Parent Loop BB212_25 Depth=4
                                        ; =>        This Inner Loop Header: Depth=5
	v_mov_b32_e32 v17, s27
	s_add_co_i32 s29, s29, -1
	s_addk_co_i32 s27, 0xff40
	s_cmp_eq_u32 s29, 0
	ds_load_b128 v[20:23], v17
	s_wait_loadcnt_dscnt 0x0
	v_mul_f64_e32 v[24:25], v[2:3], v[22:23]
	v_mul_f64_e32 v[26:27], v[0:1], v[22:23]
	s_delay_alu instid0(VALU_DEP_2) | instskip(NEXT) | instid1(VALU_DEP_2)
	v_fma_f64 v[24:25], v[0:1], v[20:21], -v[24:25]
	v_fmac_f64_e32 v[26:27], v[2:3], v[20:21]
	ds_load_b128 v[20:23], v16
	s_wait_dscnt 0x0
	v_add_f64_e64 v[20:21], v[20:21], -v[24:25]
	v_add_f64_e64 v[22:23], v[22:23], -v[26:27]
	ds_store_b128 v16, v[20:23]
	v_add_nc_u32_e32 v16, 16, v16
	s_cbranch_scc0 .LBB212_26
; %bb.27:                               ;   in Loop: Header=BB212_25 Depth=4
	s_add_co_i32 s26, s26, -1
	s_add_co_i32 s28, s28, -16
	s_cmp_le_i32 s26, s18
	s_cbranch_scc0 .LBB212_25
.LBB212_28:                             ;   in Loop: Header=BB212_22 Depth=3
	s_mov_b32 s44, 0
	s_mov_b32 s45, s42
	s_branch .LBB212_30
.LBB212_29:                             ;   in Loop: Header=BB212_30 Depth=4
	s_mulk_i32 s28, 0xd0
	s_add_co_i32 s44, s44, 1
	v_mov_b32_e32 v17, s28
	s_addk_co_i32 s45, 0xff40
	s_cmp_eq_u32 s44, s39
	ds_load_b128 v[20:23], v17
	s_wait_dscnt 0x0
	s_wait_xcnt 0x0
	v_mul_f64_e32 v[24:25], v[22:23], v[2:3]
	v_mul_f64_e32 v[26:27], v[20:21], v[2:3]
	s_delay_alu instid0(VALU_DEP_2) | instskip(NEXT) | instid1(VALU_DEP_2)
	v_fma_f64 v[24:25], v[20:21], v[0:1], -v[24:25]
	v_fmac_f64_e32 v[26:27], v[22:23], v[0:1]
	v_lshl_add_u64 v[0:1], s[26:27], 4, v[4:5]
	ds_store_b128 v16, v[24:27]
	global_store_b128 v[0:1], v[24:27], off
	s_cbranch_scc1 .LBB212_21
.LBB212_30:                             ;   Parent Loop BB212_4 Depth=1
                                        ;     Parent Loop BB212_19 Depth=2
                                        ;       Parent Loop BB212_22 Depth=3
                                        ; =>      This Loop Header: Depth=4
                                        ;           Child Loop BB212_32 Depth 5
	v_lshl_add_u32 v16, s44, 4, v9
	s_cmp_lg_u32 s44, 0
	s_cbranch_scc0 .LBB212_34
; %bb.31:                               ;   in Loop: Header=BB212_30 Depth=4
	s_wait_xcnt 0x0
	ds_load_b128 v[0:3], v16
	v_mov_b32_e32 v17, v9
	s_mov_b32 s26, s45
	s_mov_b32 s27, s44
.LBB212_32:                             ;   Parent Loop BB212_4 Depth=1
                                        ;     Parent Loop BB212_19 Depth=2
                                        ;       Parent Loop BB212_22 Depth=3
                                        ;         Parent Loop BB212_30 Depth=4
                                        ; =>        This Inner Loop Header: Depth=5
	v_mov_b32_e32 v19, s26
	s_add_co_i32 s27, s27, -1
	s_add_co_i32 s26, s26, -16
	s_cmp_eq_u32 s27, 0
	ds_load_b128 v[20:23], v17
	ds_load_b128 v[24:27], v19
	s_wait_dscnt 0x0
	v_dual_mul_f64 v[28:29], v[26:27], v[22:23] :: v_dual_add_nc_u32 v17, 16, v17
	v_mul_f64_e32 v[22:23], v[24:25], v[22:23]
	s_delay_alu instid0(VALU_DEP_2) | instskip(NEXT) | instid1(VALU_DEP_2)
	v_fma_f64 v[24:25], v[24:25], v[20:21], -v[28:29]
	v_fmac_f64_e32 v[22:23], v[26:27], v[20:21]
	s_delay_alu instid0(VALU_DEP_2) | instskip(NEXT) | instid1(VALU_DEP_2)
	v_add_f64_e64 v[0:1], v[0:1], -v[24:25]
	v_add_f64_e64 v[2:3], v[2:3], -v[22:23]
	ds_store_b128 v16, v[0:3]
	s_cbranch_scc0 .LBB212_32
; %bb.33:                               ;   in Loop: Header=BB212_30 Depth=4
	s_sub_co_i32 s28, s18, s44
	s_delay_alu instid0(SALU_CYCLE_1) | instskip(NEXT) | instid1(SALU_CYCLE_1)
	s_ashr_i32 s29, s28, 31
	s_mov_b64 s[26:27], s[28:29]
	s_branch .LBB212_29
.LBB212_34:                             ;   in Loop: Header=BB212_30 Depth=4
                                        ; implicit-def: $vgpr0_vgpr1
                                        ; implicit-def: $sgpr28
                                        ; implicit-def: $sgpr26_sgpr27
	s_cbranch_execz .LBB212_29
; %bb.35:                               ;   in Loop: Header=BB212_30 Depth=4
	s_wait_xcnt 0x0
	ds_load_b128 v[0:3], v9
	s_mov_b64 s[26:27], s[18:19]
	s_mov_b32 s28, s18
	s_branch .LBB212_29
.LBB212_36:                             ;   in Loop: Header=BB212_4 Depth=1
	s_mov_b32 s18, 0
.LBB212_37:                             ;   in Loop: Header=BB212_4 Depth=1
	s_delay_alu instid0(SALU_CYCLE_1)
	s_and_b32 vcc_lo, exec_lo, s18
	s_cbranch_vccz .LBB212_2
; %bb.38:                               ;   in Loop: Header=BB212_4 Depth=1
	v_add_nc_u64_e32 v[6:7], s[16:17], v[14:15]
	s_mov_b32 s16, 0
	s_mov_b32 s21, 0
	s_branch .LBB212_40
.LBB212_39:                             ;   in Loop: Header=BB212_40 Depth=2
	s_cmp_lt_i32 s16, s31
	s_cselect_b32 s17, -1, 0
	s_add_co_i32 s18, s21, 1
	s_cmp_lt_u32 s21, 2
	s_mov_b32 s21, s18
	s_cselect_b32 s19, -1, 0
	s_delay_alu instid0(SALU_CYCLE_1) | instskip(NEXT) | instid1(SALU_CYCLE_1)
	s_and_b32 s17, s17, s19
	s_and_not1_b32 vcc_lo, exec_lo, s17
	s_cbranch_vccnz .LBB212_2
.LBB212_40:                             ;   Parent Loop BB212_4 Depth=1
                                        ; =>  This Loop Header: Depth=2
                                        ;       Child Loop BB212_43 Depth 3
                                        ;         Child Loop BB212_44 Depth 4
                                        ;         Child Loop BB212_47 Depth 4
                                        ;           Child Loop BB212_48 Depth 5
                                        ;         Child Loop BB212_52 Depth 4
                                        ;           Child Loop BB212_54 Depth 5
	s_load_b32 s18, s[12:13], s21 offset:0x0 scale_offset
	s_wait_kmcnt 0x0
	s_add_co_i32 s28, s18, -1
	s_delay_alu instid0(SALU_CYCLE_1) | instskip(NEXT) | instid1(SALU_CYCLE_1)
	s_add_co_i32 s17, s28, s16
	s_cmp_ge_i32 s17, s31
	s_cbranch_scc1 .LBB212_39
; %bb.41:                               ;   in Loop: Header=BB212_40 Depth=2
	s_ashr_i32 s17, s16, 31
	s_ashr_i32 s19, s18, 31
	v_lshl_add_u64 v[16:17], s[16:17], 4, v[6:7]
	s_max_i32 s29, s18, 1
	s_lshl_b64 s[26:27], s[18:19], 4
	s_lshl_b32 s17, s16, 4
	s_lshl_b32 s19, s18, 4
	s_mul_i32 s38, s16, 0xd0
	s_mul_i32 s39, s18, 0xd0
	s_branch .LBB212_43
.LBB212_42:                             ;   in Loop: Header=BB212_43 Depth=3
	v_add_nc_u64_e32 v[16:17], s[26:27], v[16:17]
	s_add_co_i32 s16, s16, s18
	s_add_co_i32 s17, s17, s19
	;; [unrolled: 1-line block ×4, first 2 shown]
	s_cmp_ge_i32 s22, s31
	s_cbranch_scc1 .LBB212_39
.LBB212_43:                             ;   Parent Loop BB212_4 Depth=1
                                        ;     Parent Loop BB212_40 Depth=2
                                        ; =>    This Loop Header: Depth=3
                                        ;         Child Loop BB212_44 Depth 4
                                        ;         Child Loop BB212_47 Depth 4
                                        ;           Child Loop BB212_48 Depth 5
                                        ;         Child Loop BB212_52 Depth 4
                                        ;           Child Loop BB212_54 Depth 5
	s_wait_xcnt 0x0
	v_mov_b64_e32 v[0:1], v[16:17]
	v_mov_b32_e32 v2, v9
	s_mov_b32 s22, s29
.LBB212_44:                             ;   Parent Loop BB212_4 Depth=1
                                        ;     Parent Loop BB212_40 Depth=2
                                        ;       Parent Loop BB212_43 Depth=3
                                        ; =>      This Inner Loop Header: Depth=4
	global_load_b128 v[20:23], v[0:1], off offset:-8
	s_wait_xcnt 0x0
	v_add_nc_u64_e32 v[0:1], 16, v[0:1]
	s_add_co_i32 s22, s22, -1
	s_delay_alu instid0(SALU_CYCLE_1) | instskip(SKIP_3) | instid1(VALU_DEP_2)
	s_cmp_eq_u32 s22, 0
	s_wait_loadcnt 0x0
	v_mul_f64_e32 v[26:27], s[6:7], v[22:23]
	v_mul_f64_e32 v[24:25], s[4:5], v[22:23]
	v_fma_f64 v[22:23], s[4:5], v[20:21], -v[26:27]
	s_delay_alu instid0(VALU_DEP_2)
	v_fmac_f64_e32 v[24:25], s[6:7], v[20:21]
	ds_store_b128 v2, v[22:25]
	v_add_nc_u32_e32 v2, 16, v2
	s_cbranch_scc0 .LBB212_44
; %bb.45:                               ;   in Loop: Header=BB212_43 Depth=3
	s_cmp_lt_i32 s16, 1
	s_cbranch_scc1 .LBB212_50
; %bb.46:                               ;   in Loop: Header=BB212_43 Depth=3
	s_mov_b32 s22, 0
	s_mov_b32 s40, s17
.LBB212_47:                             ;   Parent Loop BB212_4 Depth=1
                                        ;     Parent Loop BB212_40 Depth=2
                                        ;       Parent Loop BB212_43 Depth=3
                                        ; =>      This Loop Header: Depth=4
                                        ;           Child Loop BB212_48 Depth 5
	s_wait_xcnt 0x0
	v_lshl_add_u64 v[0:1], s[22:23], 4, v[4:5]
	v_mov_b32_e32 v19, v9
	s_mov_b32 s41, s40
	s_mov_b32 s42, s29
	global_load_b128 v[0:3], v[0:1], off
.LBB212_48:                             ;   Parent Loop BB212_4 Depth=1
                                        ;     Parent Loop BB212_40 Depth=2
                                        ;       Parent Loop BB212_43 Depth=3
                                        ;         Parent Loop BB212_47 Depth=4
                                        ; =>        This Inner Loop Header: Depth=5
	v_mov_b32_e32 v20, s41
	s_add_co_i32 s42, s42, -1
	s_add_co_i32 s41, s41, 16
	s_cmp_eq_u32 s42, 0
	ds_load_b128 v[20:23], v20
	s_wait_loadcnt_dscnt 0x0
	v_mul_f64_e32 v[24:25], v[2:3], v[22:23]
	v_mul_f64_e32 v[26:27], v[0:1], v[22:23]
	s_delay_alu instid0(VALU_DEP_2) | instskip(NEXT) | instid1(VALU_DEP_2)
	v_fma_f64 v[24:25], v[0:1], v[20:21], -v[24:25]
	v_fmac_f64_e32 v[26:27], v[2:3], v[20:21]
	ds_load_b128 v[20:23], v19
	s_wait_dscnt 0x0
	v_add_f64_e64 v[20:21], v[20:21], -v[24:25]
	v_add_f64_e64 v[22:23], v[22:23], -v[26:27]
	ds_store_b128 v19, v[20:23]
	v_add_nc_u32_e32 v19, 16, v19
	s_cbranch_scc0 .LBB212_48
; %bb.49:                               ;   in Loop: Header=BB212_47 Depth=4
	s_add_co_i32 s22, s22, 1
	s_addk_co_i32 s40, 0xc0
	s_cmp_eq_u32 s22, s16
	s_cbranch_scc0 .LBB212_47
.LBB212_50:                             ;   in Loop: Header=BB212_43 Depth=3
	s_mov_b32 s22, 0
	s_mov_b32 s40, s38
	s_branch .LBB212_52
.LBB212_51:                             ;   in Loop: Header=BB212_52 Depth=4
	s_add_co_i32 s42, s22, s16
	s_add_co_i32 s22, s22, 1
	s_mul_i32 s41, s42, 0xd0
	s_ashr_i32 s43, s42, 31
	v_mov_b32_e32 v20, s41
	s_add_co_i32 s40, s40, 16
	s_cmp_eq_u32 s22, s29
	ds_load_b128 v[20:23], v20
	s_wait_dscnt 0x0
	s_wait_xcnt 0x0
	v_mul_f64_e32 v[24:25], v[22:23], v[2:3]
	v_mul_f64_e32 v[26:27], v[20:21], v[2:3]
	s_delay_alu instid0(VALU_DEP_2) | instskip(NEXT) | instid1(VALU_DEP_2)
	v_fma_f64 v[24:25], v[20:21], v[0:1], -v[24:25]
	v_fmac_f64_e32 v[26:27], v[22:23], v[0:1]
	s_wait_xcnt 0x0
	v_lshl_add_u64 v[0:1], s[42:43], 4, v[4:5]
	ds_store_b128 v19, v[24:27]
	global_store_b128 v[0:1], v[24:27], off
	s_cbranch_scc1 .LBB212_42
.LBB212_52:                             ;   Parent Loop BB212_4 Depth=1
                                        ;     Parent Loop BB212_40 Depth=2
                                        ;       Parent Loop BB212_43 Depth=3
                                        ; =>      This Loop Header: Depth=4
                                        ;           Child Loop BB212_54 Depth 5
	v_lshl_add_u32 v19, s22, 4, v9
	s_cmp_lg_u32 s22, 0
	s_cbranch_scc0 .LBB212_56
; %bb.53:                               ;   in Loop: Header=BB212_52 Depth=4
	s_wait_xcnt 0x0
	ds_load_b128 v[0:3], v19
	v_mov_b32_e32 v20, v9
	s_mov_b32 s41, s40
	s_mov_b32 s42, s22
.LBB212_54:                             ;   Parent Loop BB212_4 Depth=1
                                        ;     Parent Loop BB212_40 Depth=2
                                        ;       Parent Loop BB212_43 Depth=3
                                        ;         Parent Loop BB212_52 Depth=4
                                        ; =>        This Inner Loop Header: Depth=5
	v_mov_b32_e32 v21, s41
	s_add_co_i32 s42, s42, -1
	s_addk_co_i32 s41, 0xc0
	s_cmp_eq_u32 s42, 0
	ds_load_b128 v[22:25], v20
	ds_load_b128 v[26:29], v21
	v_add_nc_u32_e32 v20, 16, v20
	s_wait_dscnt 0x0
	v_mul_f64_e32 v[30:31], v[28:29], v[24:25]
	v_mul_f64_e32 v[24:25], v[26:27], v[24:25]
	s_delay_alu instid0(VALU_DEP_2) | instskip(NEXT) | instid1(VALU_DEP_2)
	v_fma_f64 v[26:27], v[26:27], v[22:23], -v[30:31]
	v_fmac_f64_e32 v[24:25], v[28:29], v[22:23]
	s_delay_alu instid0(VALU_DEP_2) | instskip(NEXT) | instid1(VALU_DEP_2)
	v_add_f64_e64 v[0:1], v[0:1], -v[26:27]
	v_add_f64_e64 v[2:3], v[2:3], -v[24:25]
	ds_store_b128 v19, v[0:3]
	s_cbranch_scc0 .LBB212_54
; %bb.55:                               ;   in Loop: Header=BB212_52 Depth=4
	s_branch .LBB212_51
.LBB212_56:                             ;   in Loop: Header=BB212_52 Depth=4
                                        ; implicit-def: $vgpr0_vgpr1
	s_cbranch_execz .LBB212_51
; %bb.57:                               ;   in Loop: Header=BB212_52 Depth=4
	s_wait_xcnt 0x0
	ds_load_b128 v[0:3], v9
	s_branch .LBB212_51
.LBB212_58:
	s_endpgm
	.section	.rodata,"a",@progbits
	.p2align	6, 0x0
	.amdhsa_kernel _ZL30rocblas_trsm_small_left_deviceILi12ELi12ELb1E19rocblas_complex_numIdES1_PKS1_PS1_Ev13rocblas_fill_18rocblas_operation_17rocblas_diagonal_iiT3_T4_lilT5_lili
		.amdhsa_group_segment_fixed_size 4608
		.amdhsa_private_segment_fixed_size 0
		.amdhsa_kernarg_size 368
		.amdhsa_user_sgpr_count 4
		.amdhsa_user_sgpr_dispatch_ptr 1
		.amdhsa_user_sgpr_queue_ptr 0
		.amdhsa_user_sgpr_kernarg_segment_ptr 1
		.amdhsa_user_sgpr_dispatch_id 0
		.amdhsa_user_sgpr_kernarg_preload_length 0
		.amdhsa_user_sgpr_kernarg_preload_offset 0
		.amdhsa_user_sgpr_private_segment_size 0
		.amdhsa_wavefront_size32 1
		.amdhsa_uses_dynamic_stack 0
		.amdhsa_enable_private_segment 0
		.amdhsa_system_sgpr_workgroup_id_x 1
		.amdhsa_system_sgpr_workgroup_id_y 0
		.amdhsa_system_sgpr_workgroup_id_z 1
		.amdhsa_system_sgpr_workgroup_info 0
		.amdhsa_system_vgpr_workitem_id 2
		.amdhsa_next_free_vgpr 32
		.amdhsa_next_free_sgpr 46
		.amdhsa_named_barrier_count 0
		.amdhsa_reserve_vcc 1
		.amdhsa_float_round_mode_32 0
		.amdhsa_float_round_mode_16_64 0
		.amdhsa_float_denorm_mode_32 3
		.amdhsa_float_denorm_mode_16_64 3
		.amdhsa_fp16_overflow 0
		.amdhsa_memory_ordered 1
		.amdhsa_forward_progress 1
		.amdhsa_inst_pref_size 21
		.amdhsa_round_robin_scheduling 0
		.amdhsa_exception_fp_ieee_invalid_op 0
		.amdhsa_exception_fp_denorm_src 0
		.amdhsa_exception_fp_ieee_div_zero 0
		.amdhsa_exception_fp_ieee_overflow 0
		.amdhsa_exception_fp_ieee_underflow 0
		.amdhsa_exception_fp_ieee_inexact 0
		.amdhsa_exception_int_div_zero 0
	.end_amdhsa_kernel
	.section	.text._ZL30rocblas_trsm_small_left_deviceILi12ELi12ELb1E19rocblas_complex_numIdES1_PKS1_PS1_Ev13rocblas_fill_18rocblas_operation_17rocblas_diagonal_iiT3_T4_lilT5_lili,"axG",@progbits,_ZL30rocblas_trsm_small_left_deviceILi12ELi12ELb1E19rocblas_complex_numIdES1_PKS1_PS1_Ev13rocblas_fill_18rocblas_operation_17rocblas_diagonal_iiT3_T4_lilT5_lili,comdat
.Lfunc_end212:
	.size	_ZL30rocblas_trsm_small_left_deviceILi12ELi12ELb1E19rocblas_complex_numIdES1_PKS1_PS1_Ev13rocblas_fill_18rocblas_operation_17rocblas_diagonal_iiT3_T4_lilT5_lili, .Lfunc_end212-_ZL30rocblas_trsm_small_left_deviceILi12ELi12ELb1E19rocblas_complex_numIdES1_PKS1_PS1_Ev13rocblas_fill_18rocblas_operation_17rocblas_diagonal_iiT3_T4_lilT5_lili
                                        ; -- End function
	.set _ZL30rocblas_trsm_small_left_deviceILi12ELi12ELb1E19rocblas_complex_numIdES1_PKS1_PS1_Ev13rocblas_fill_18rocblas_operation_17rocblas_diagonal_iiT3_T4_lilT5_lili.num_vgpr, 32
	.set _ZL30rocblas_trsm_small_left_deviceILi12ELi12ELb1E19rocblas_complex_numIdES1_PKS1_PS1_Ev13rocblas_fill_18rocblas_operation_17rocblas_diagonal_iiT3_T4_lilT5_lili.num_agpr, 0
	.set _ZL30rocblas_trsm_small_left_deviceILi12ELi12ELb1E19rocblas_complex_numIdES1_PKS1_PS1_Ev13rocblas_fill_18rocblas_operation_17rocblas_diagonal_iiT3_T4_lilT5_lili.numbered_sgpr, 46
	.set _ZL30rocblas_trsm_small_left_deviceILi12ELi12ELb1E19rocblas_complex_numIdES1_PKS1_PS1_Ev13rocblas_fill_18rocblas_operation_17rocblas_diagonal_iiT3_T4_lilT5_lili.num_named_barrier, 0
	.set _ZL30rocblas_trsm_small_left_deviceILi12ELi12ELb1E19rocblas_complex_numIdES1_PKS1_PS1_Ev13rocblas_fill_18rocblas_operation_17rocblas_diagonal_iiT3_T4_lilT5_lili.private_seg_size, 0
	.set _ZL30rocblas_trsm_small_left_deviceILi12ELi12ELb1E19rocblas_complex_numIdES1_PKS1_PS1_Ev13rocblas_fill_18rocblas_operation_17rocblas_diagonal_iiT3_T4_lilT5_lili.uses_vcc, 1
	.set _ZL30rocblas_trsm_small_left_deviceILi12ELi12ELb1E19rocblas_complex_numIdES1_PKS1_PS1_Ev13rocblas_fill_18rocblas_operation_17rocblas_diagonal_iiT3_T4_lilT5_lili.uses_flat_scratch, 0
	.set _ZL30rocblas_trsm_small_left_deviceILi12ELi12ELb1E19rocblas_complex_numIdES1_PKS1_PS1_Ev13rocblas_fill_18rocblas_operation_17rocblas_diagonal_iiT3_T4_lilT5_lili.has_dyn_sized_stack, 0
	.set _ZL30rocblas_trsm_small_left_deviceILi12ELi12ELb1E19rocblas_complex_numIdES1_PKS1_PS1_Ev13rocblas_fill_18rocblas_operation_17rocblas_diagonal_iiT3_T4_lilT5_lili.has_recursion, 0
	.set _ZL30rocblas_trsm_small_left_deviceILi12ELi12ELb1E19rocblas_complex_numIdES1_PKS1_PS1_Ev13rocblas_fill_18rocblas_operation_17rocblas_diagonal_iiT3_T4_lilT5_lili.has_indirect_call, 0
	.section	.AMDGPU.csdata,"",@progbits
; Kernel info:
; codeLenInByte = 2648
; TotalNumSgprs: 48
; NumVgprs: 32
; ScratchSize: 0
; MemoryBound: 0
; FloatMode: 240
; IeeeMode: 1
; LDSByteSize: 4608 bytes/workgroup (compile time only)
; SGPRBlocks: 0
; VGPRBlocks: 1
; NumSGPRsForWavesPerEU: 48
; NumVGPRsForWavesPerEU: 32
; NamedBarCnt: 0
; Occupancy: 16
; WaveLimiterHint : 0
; COMPUTE_PGM_RSRC2:SCRATCH_EN: 0
; COMPUTE_PGM_RSRC2:USER_SGPR: 4
; COMPUTE_PGM_RSRC2:TRAP_HANDLER: 0
; COMPUTE_PGM_RSRC2:TGID_X_EN: 1
; COMPUTE_PGM_RSRC2:TGID_Y_EN: 0
; COMPUTE_PGM_RSRC2:TGID_Z_EN: 1
; COMPUTE_PGM_RSRC2:TIDIG_COMP_CNT: 2
	.section	.text._ZL31rocblas_trsm_small_right_deviceI19rocblas_complex_numIdES1_PKS1_PS1_Li12EEv13rocblas_fill_18rocblas_operation_17rocblas_diagonal_iiT0_T1_lilT2_lili,"axG",@progbits,_ZL31rocblas_trsm_small_right_deviceI19rocblas_complex_numIdES1_PKS1_PS1_Li12EEv13rocblas_fill_18rocblas_operation_17rocblas_diagonal_iiT0_T1_lilT2_lili,comdat
	.globl	_ZL31rocblas_trsm_small_right_deviceI19rocblas_complex_numIdES1_PKS1_PS1_Li12EEv13rocblas_fill_18rocblas_operation_17rocblas_diagonal_iiT0_T1_lilT2_lili ; -- Begin function _ZL31rocblas_trsm_small_right_deviceI19rocblas_complex_numIdES1_PKS1_PS1_Li12EEv13rocblas_fill_18rocblas_operation_17rocblas_diagonal_iiT0_T1_lilT2_lili
	.p2align	8
	.type	_ZL31rocblas_trsm_small_right_deviceI19rocblas_complex_numIdES1_PKS1_PS1_Li12EEv13rocblas_fill_18rocblas_operation_17rocblas_diagonal_iiT0_T1_lilT2_lili,@function
_ZL31rocblas_trsm_small_right_deviceI19rocblas_complex_numIdES1_PKS1_PS1_Li12EEv13rocblas_fill_18rocblas_operation_17rocblas_diagonal_iiT0_T1_lilT2_lili: ; @_ZL31rocblas_trsm_small_right_deviceI19rocblas_complex_numIdES1_PKS1_PS1_Li12EEv13rocblas_fill_18rocblas_operation_17rocblas_diagonal_iiT0_T1_lilT2_lili
; %bb.0:
	s_load_b32 s23, s[0:1], 0x68
	s_bfe_u32 s2, ttmp6, 0x40014
	s_lshr_b32 s3, ttmp7, 16
	s_add_co_i32 s2, s2, 1
	s_bfe_u32 s4, ttmp6, 0x40008
	s_mul_i32 s2, s3, s2
	s_getreg_b32 s31, hwreg(HW_REG_IB_STS2, 6, 4)
	s_add_co_i32 s4, s4, s2
	s_cmp_eq_u32 s31, 0
	s_cselect_b32 s2, s3, s4
	s_mov_b32 s3, 0
	s_wait_kmcnt 0x0
	s_cmp_ge_u32 s2, s23
	s_cbranch_scc1 .LBB213_146
; %bb.1:
	s_clause 0x7
	s_load_b32 s24, s[0:1], 0x38
	s_load_b96 s[20:22], s[0:1], 0x50
	s_load_b128 s[12:15], s[0:1], 0x0
	s_load_b32 s28, s[0:1], 0x10
	s_load_b32 s30, s[0:1], 0x70
	s_load_b64 s[26:27], s[0:1], 0x60
	s_load_b256 s[4:11], s[0:1], 0x18
	s_load_b128 s[16:19], s[0:1], 0x40
	v_dual_lshlrev_b32 v28, 4, v0 :: v_dual_mov_b32 v2, 0
	v_mul_u32_u24_e32 v3, 0xc0, v0
	s_delay_alu instid0(VALU_DEP_2) | instskip(NEXT) | instid1(VALU_DEP_3)
	v_or_b32_e32 v34, 0x900, v28
	v_mov_b32_e32 v29, v2
	s_wait_kmcnt 0x0
	s_ashr_i32 s25, s24, 31
	s_ashr_i32 s37, s22, 31
	s_cmp_lg_u32 s12, 0x7a
	s_mov_b32 s36, s22
	s_cselect_b32 s33, -1, 0
	s_cmp_eq_u32 s13, 0x71
	s_cselect_b32 s0, -1, 0
	s_bfe_u32 s1, ttmp6, 0x4000c
	s_min_i32 s29, s28, 12
	s_add_co_i32 s1, s1, 1
	s_and_b32 s34, ttmp6, 15
	s_mul_i32 s1, ttmp9, s1
	s_add_co_i32 s35, s30, -1
	s_add_co_i32 s30, s29, -1
	s_add_co_i32 s34, s34, s1
	s_cmp_eq_u32 s31, 0
	s_mul_i32 s39, s29, 0xc0
	s_cselect_b32 s34, ttmp9, s34
	v_add3_u32 v35, s39, v28, 0x840
	s_mul_i32 s1, s34, -12
	s_mul_i32 s38, s29, 0xd0
	s_add_co_i32 s15, s15, s1
	s_cmp_ge_u32 s34, s35
	v_cmp_gt_i32_e64 s1, s29, v0
	s_cselect_b32 s15, s15, 12
	s_ashr_i32 s35, s34, 31
	s_cmp_eq_u32 s14, 0x84
	v_cmp_gt_i32_e32 vcc_lo, s15, v0
	s_cselect_b32 s22, -1, 0
	s_cmp_gt_i32 s28, 0
	s_cselect_b32 s14, -1, 0
	s_cmp_lg_u32 s13, 0x6f
	s_cselect_b32 s13, -1, 0
	s_cmp_lg_u32 s12, 0x79
	s_cselect_b32 s12, -1, 0
	s_or_b32 s31, s33, s13
	s_or_b32 s33, s12, s13
	s_cmp_gt_i32 s28, 3
	v_cndmask_b32_e64 v36, 0, 1, s12
	s_mul_u64 s[12:13], s[34:35], 0xc0
	s_cselect_b32 s34, -1, 0
	s_and_b32 s35, vcc_lo, s14
	s_lshl_b64 s[14:15], s[20:21], 4
	s_lshl_b64 s[10:11], s[10:11], 4
	s_add_nc_u64 s[12:13], s[12:13], s[14:15]
	s_add_nc_u64 s[8:9], s[8:9], s[10:11]
	;; [unrolled: 1-line block ×3, first 2 shown]
	v_add_nc_u64_e32 v[4:5], s[8:9], v[28:29]
	v_add_nc_u64_e32 v[0:1], s[10:11], v[28:29]
	v_add_nc_u32_e32 v29, v28, v3
	v_mov_b32_e32 v3, 0x3ff00000
	s_lshl_b32 s21, s29, 4
	s_lshl_b64 s[8:9], s[16:17], 4
	s_lshl_b64 s[10:11], s[24:25], 4
	v_add_nc_u64_e32 v[30:31], 8, v[4:5]
	v_add_nc_u64_e32 v[32:33], 8, v[0:1]
	s_lshl_b64 s[12:13], s[26:27], 4
	s_lshl_b64 s[14:15], s[36:37], 4
	s_add_co_i32 s18, s38, 0xffffff00
	s_add_co_i32 s19, s39, 0xffffff40
	;; [unrolled: 1-line block ×3, first 2 shown]
	s_add_co_i32 s21, s21, -16
	s_branch .LBB213_3
.LBB213_2:                              ;   in Loop: Header=BB213_3 Depth=1
	s_or_b32 exec_lo, exec_lo, s24
	s_add_co_i32 s2, s2, 0x10000
	s_delay_alu instid0(SALU_CYCLE_1)
	s_cmp_lt_u32 s2, s23
	s_cbranch_scc0 .LBB213_146
.LBB213_3:                              ; =>This Loop Header: Depth=1
                                        ;     Child Loop BB213_5 Depth 2
                                        ;     Child Loop BB213_10 Depth 2
	;; [unrolled: 1-line block ×3, first 2 shown]
                                        ;       Child Loop BB213_17 Depth 3
                                        ;     Child Loop BB213_39 Depth 2
                                        ;       Child Loop BB213_40 Depth 3
                                        ;     Child Loop BB213_48 Depth 2
	;; [unrolled: 2-line block ×8, first 2 shown]
	s_and_saveexec_b32 s16, s1
	s_cbranch_execz .LBB213_8
; %bb.4:                                ;   in Loop: Header=BB213_3 Depth=1
	v_mad_nc_u64_u32 v[4:5], s8, s2, v[30:31]
	v_mov_b32_e32 v6, v28
	s_mov_b32 s17, s29
	s_delay_alu instid0(VALU_DEP_2)
	v_mad_u32 v5, s9, s2, v5
.LBB213_5:                              ;   Parent Loop BB213_3 Depth=1
                                        ; =>  This Inner Loop Header: Depth=2
	global_load_b128 v[8:11], v[4:5], off offset:-8
	s_wait_xcnt 0x0
	v_add_nc_u64_e32 v[4:5], s[10:11], v[4:5]
	s_add_co_i32 s17, s17, -1
	s_delay_alu instid0(SALU_CYCLE_1) | instskip(SKIP_2) | instid1(VALU_DEP_1)
	s_cmp_eq_u32 s17, 0
	s_wait_loadcnt 0x0
	v_xor_b32_e32 v7, 0x80000000, v11
	v_cndmask_b32_e64 v11, v11, v7, s0
	ds_store_b128 v6, v[8:11]
	v_add_nc_u32_e32 v6, 0xc0, v6
	s_cbranch_scc0 .LBB213_5
; %bb.6:                                ;   in Loop: Header=BB213_3 Depth=1
	s_and_b32 vcc_lo, exec_lo, s22
	s_cbranch_vccz .LBB213_8
; %bb.7:                                ;   in Loop: Header=BB213_3 Depth=1
	v_dual_mov_b32 v4, v2 :: v_dual_mov_b32 v5, v2
	ds_store_b128 v29, v[2:5]
.LBB213_8:                              ;   in Loop: Header=BB213_3 Depth=1
	s_or_b32 exec_lo, exec_lo, s16
	s_mul_u64 s[16:17], s[12:13], s[2:3]
	s_and_saveexec_b32 s24, s35
	s_cbranch_execz .LBB213_11
; %bb.9:                                ;   in Loop: Header=BB213_3 Depth=1
	v_add_nc_u64_e32 v[4:5], s[16:17], v[32:33]
	v_mov_b32_e32 v6, v34
	s_mov_b32 s25, s28
.LBB213_10:                             ;   Parent Loop BB213_3 Depth=1
                                        ; =>  This Inner Loop Header: Depth=2
	global_load_b128 v[8:11], v[4:5], off offset:-8
	s_wait_xcnt 0x0
	v_add_nc_u64_e32 v[4:5], s[14:15], v[4:5]
	s_add_co_i32 s25, s25, -1
	s_delay_alu instid0(SALU_CYCLE_1) | instskip(SKIP_3) | instid1(VALU_DEP_2)
	s_cmp_lg_u32 s25, 0
	s_wait_loadcnt 0x0
	v_mul_f64_e32 v[14:15], s[6:7], v[10:11]
	v_mul_f64_e32 v[12:13], s[4:5], v[10:11]
	v_fma_f64 v[10:11], s[4:5], v[8:9], -v[14:15]
	s_delay_alu instid0(VALU_DEP_2)
	v_fmac_f64_e32 v[12:13], s[6:7], v[8:9]
	ds_store_b128 v6, v[10:13]
	v_add_nc_u32_e32 v6, 0xc0, v6
	s_cbranch_scc1 .LBB213_10
.LBB213_11:                             ;   in Loop: Header=BB213_3 Depth=1
	s_or_b32 exec_lo, exec_lo, s24
	s_delay_alu instid0(SALU_CYCLE_1)
	s_and_b32 vcc_lo, exec_lo, s33
	s_mov_b32 s24, -1
	s_wait_dscnt 0x0
	; wave barrier
	s_cbranch_vccz .LBB213_111
; %bb.12:                               ;   in Loop: Header=BB213_3 Depth=1
	s_and_b32 vcc_lo, exec_lo, s31
	s_cbranch_vccz .LBB213_79
; %bb.13:                               ;   in Loop: Header=BB213_3 Depth=1
	v_cmp_ne_u32_e32 vcc_lo, 1, v36
	s_cbranch_vccnz .LBB213_46
; %bb.14:                               ;   in Loop: Header=BB213_3 Depth=1
	s_and_not1_b32 vcc_lo, exec_lo, s34
	s_mov_b32 s26, 0
	s_cbranch_vccnz .LBB213_36
; %bb.15:                               ;   in Loop: Header=BB213_3 Depth=1
	s_mov_b32 s24, 0
	s_mov_b32 s25, 0
.LBB213_16:                             ;   Parent Loop BB213_3 Depth=1
                                        ; =>  This Loop Header: Depth=2
                                        ;       Child Loop BB213_17 Depth 3
	s_delay_alu instid0(SALU_CYCLE_1) | instskip(SKIP_3) | instid1(SALU_CYCLE_1)
	v_mad_u32 v38, 0xc0, s25, v34
	s_or_b32 s26, s25, 3
	s_cmp_eq_u32 s25, 0
	s_mulk_i32 s26, 0xc0
	v_dual_mov_b32 v12, v34 :: v_dual_add_nc_u32 v37, s26, v34
	s_mov_b32 s26, s24
	s_mov_b32 s27, s25
	ds_load_b128 v[20:23], v38
	ds_load_b128 v[16:19], v38 offset:192
	ds_load_b128 v[8:11], v38 offset:384
	ds_load_b128 v[4:7], v37
	s_cbranch_scc1 .LBB213_18
.LBB213_17:                             ;   Parent Loop BB213_3 Depth=1
                                        ;     Parent Loop BB213_16 Depth=2
                                        ; =>    This Inner Loop Header: Depth=3
	v_mov_b32_e32 v13, s26
	s_add_co_i32 s27, s27, -1
	s_addk_co_i32 s26, 0xc0
	s_cmp_eq_u32 s27, 0
	ds_load_b128 v[24:27], v12
	ds_load_b128 v[40:43], v13
	ds_load_b128 v[44:47], v13 offset:16
	ds_load_b128 v[48:51], v13 offset:32
	;; [unrolled: 1-line block ×3, first 2 shown]
	v_add_nc_u32_e32 v12, 0xc0, v12
	s_wait_dscnt 0x3
	v_mul_f64_e32 v[14:15], v[26:27], v[42:43]
	v_mul_f64_e32 v[42:43], v[24:25], v[42:43]
	s_wait_dscnt 0x2
	v_mul_f64_e32 v[56:57], v[26:27], v[46:47]
	v_mul_f64_e32 v[46:47], v[24:25], v[46:47]
	;; [unrolled: 3-line block ×4, first 2 shown]
	v_fma_f64 v[14:15], v[24:25], v[40:41], -v[14:15]
	v_fmac_f64_e32 v[42:43], v[26:27], v[40:41]
	v_fma_f64 v[40:41], v[24:25], v[44:45], -v[56:57]
	v_fmac_f64_e32 v[46:47], v[26:27], v[44:45]
	;; [unrolled: 2-line block ×4, first 2 shown]
	v_add_f64_e64 v[20:21], v[20:21], -v[14:15]
	v_add_f64_e64 v[22:23], v[22:23], -v[42:43]
	v_add_f64_e64 v[16:17], v[16:17], -v[40:41]
	v_add_f64_e64 v[18:19], v[18:19], -v[46:47]
	v_add_f64_e64 v[8:9], v[8:9], -v[44:45]
	v_add_f64_e64 v[10:11], v[10:11], -v[50:51]
	v_add_f64_e64 v[4:5], v[4:5], -v[24:25]
	v_add_f64_e64 v[6:7], v[6:7], -v[54:55]
	s_cbranch_scc0 .LBB213_17
.LBB213_18:                             ;   in Loop: Header=BB213_16 Depth=2
	s_lshl_b32 s26, s25, 4
	s_mul_i32 s27, s25, 0xc0
	s_delay_alu instid0(SALU_CYCLE_1) | instskip(NEXT) | instid1(SALU_CYCLE_1)
	s_add_co_i32 s27, s26, s27
	v_mov_b32_e32 v12, s27
	ds_load_b128 v[24:27], v12
                                        ; implicit-def: $vgpr14_vgpr15
	s_wait_dscnt 0x0
	v_cmp_ngt_f64_e64 s36, |v[24:25]|, |v[26:27]|
	s_and_b32 vcc_lo, exec_lo, s36
	s_mov_b32 s36, -1
	s_cbranch_vccz .LBB213_20
; %bb.19:                               ;   in Loop: Header=BB213_16 Depth=2
	v_div_scale_f64 v[12:13], null, v[26:27], v[26:27], v[24:25]
	v_div_scale_f64 v[42:43], vcc_lo, v[24:25], v[26:27], v[24:25]
	s_mov_b32 s36, 0
	v_rcp_f64_e32 v[14:15], v[12:13]
	v_nop
	s_delay_alu instid0(TRANS32_DEP_1) | instskip(NEXT) | instid1(VALU_DEP_1)
	v_fma_f64 v[40:41], -v[12:13], v[14:15], 1.0
	v_fmac_f64_e32 v[14:15], v[14:15], v[40:41]
	s_delay_alu instid0(VALU_DEP_1) | instskip(NEXT) | instid1(VALU_DEP_1)
	v_fma_f64 v[40:41], -v[12:13], v[14:15], 1.0
	v_fmac_f64_e32 v[14:15], v[14:15], v[40:41]
	s_delay_alu instid0(VALU_DEP_1) | instskip(NEXT) | instid1(VALU_DEP_1)
	v_mul_f64_e32 v[40:41], v[42:43], v[14:15]
	v_fma_f64 v[12:13], -v[12:13], v[40:41], v[42:43]
	s_delay_alu instid0(VALU_DEP_1) | instskip(NEXT) | instid1(VALU_DEP_1)
	v_div_fmas_f64 v[12:13], v[12:13], v[14:15], v[40:41]
	v_div_fixup_f64 v[12:13], v[12:13], v[26:27], v[24:25]
	s_delay_alu instid0(VALU_DEP_1) | instskip(NEXT) | instid1(VALU_DEP_1)
	v_fma_f64 v[14:15], v[24:25], v[12:13], v[26:27]
	v_div_scale_f64 v[40:41], null, v[14:15], v[14:15], 1.0
	v_div_scale_f64 v[46:47], vcc_lo, 1.0, v[14:15], 1.0
	s_delay_alu instid0(VALU_DEP_2) | instskip(SKIP_1) | instid1(TRANS32_DEP_1)
	v_rcp_f64_e32 v[42:43], v[40:41]
	v_nop
	v_fma_f64 v[44:45], -v[40:41], v[42:43], 1.0
	s_delay_alu instid0(VALU_DEP_1) | instskip(NEXT) | instid1(VALU_DEP_1)
	v_fmac_f64_e32 v[42:43], v[42:43], v[44:45]
	v_fma_f64 v[44:45], -v[40:41], v[42:43], 1.0
	s_delay_alu instid0(VALU_DEP_1) | instskip(NEXT) | instid1(VALU_DEP_1)
	v_fmac_f64_e32 v[42:43], v[42:43], v[44:45]
	v_mul_f64_e32 v[44:45], v[46:47], v[42:43]
	s_delay_alu instid0(VALU_DEP_1) | instskip(NEXT) | instid1(VALU_DEP_1)
	v_fma_f64 v[40:41], -v[40:41], v[44:45], v[46:47]
	v_div_fmas_f64 v[40:41], v[40:41], v[42:43], v[44:45]
	v_fma_f64 v[42:43], v[20:21], v[12:13], v[22:23]
	s_delay_alu instid0(VALU_DEP_2) | instskip(SKIP_1) | instid1(VALU_DEP_2)
	v_div_fixup_f64 v[14:15], v[40:41], v[14:15], 1.0
	v_fma_f64 v[40:41], v[22:23], v[12:13], -v[20:21]
	v_mul_f64_e32 v[12:13], v[42:43], v[14:15]
	s_delay_alu instid0(VALU_DEP_2)
	v_mul_f64_e32 v[14:15], v[40:41], v[14:15]
.LBB213_20:                             ;   in Loop: Header=BB213_16 Depth=2
	s_and_not1_b32 vcc_lo, exec_lo, s36
	s_cbranch_vccnz .LBB213_22
; %bb.21:                               ;   in Loop: Header=BB213_16 Depth=2
	v_div_scale_f64 v[12:13], null, v[24:25], v[24:25], v[26:27]
	v_div_scale_f64 v[42:43], vcc_lo, v[26:27], v[24:25], v[26:27]
	s_delay_alu instid0(VALU_DEP_2) | instskip(SKIP_1) | instid1(TRANS32_DEP_1)
	v_rcp_f64_e32 v[14:15], v[12:13]
	v_nop
	v_fma_f64 v[40:41], -v[12:13], v[14:15], 1.0
	s_delay_alu instid0(VALU_DEP_1) | instskip(NEXT) | instid1(VALU_DEP_1)
	v_fmac_f64_e32 v[14:15], v[14:15], v[40:41]
	v_fma_f64 v[40:41], -v[12:13], v[14:15], 1.0
	s_delay_alu instid0(VALU_DEP_1) | instskip(NEXT) | instid1(VALU_DEP_1)
	v_fmac_f64_e32 v[14:15], v[14:15], v[40:41]
	v_mul_f64_e32 v[40:41], v[42:43], v[14:15]
	s_delay_alu instid0(VALU_DEP_1) | instskip(NEXT) | instid1(VALU_DEP_1)
	v_fma_f64 v[12:13], -v[12:13], v[40:41], v[42:43]
	v_div_fmas_f64 v[12:13], v[12:13], v[14:15], v[40:41]
	s_delay_alu instid0(VALU_DEP_1) | instskip(NEXT) | instid1(VALU_DEP_1)
	v_div_fixup_f64 v[12:13], v[12:13], v[24:25], v[26:27]
	v_fmac_f64_e32 v[24:25], v[26:27], v[12:13]
	s_delay_alu instid0(VALU_DEP_1) | instskip(SKIP_1) | instid1(VALU_DEP_2)
	v_div_scale_f64 v[14:15], null, v[24:25], v[24:25], 1.0
	v_div_scale_f64 v[42:43], vcc_lo, 1.0, v[24:25], 1.0
	v_rcp_f64_e32 v[26:27], v[14:15]
	v_nop
	s_delay_alu instid0(TRANS32_DEP_1) | instskip(NEXT) | instid1(VALU_DEP_1)
	v_fma_f64 v[40:41], -v[14:15], v[26:27], 1.0
	v_fmac_f64_e32 v[26:27], v[26:27], v[40:41]
	s_delay_alu instid0(VALU_DEP_1) | instskip(NEXT) | instid1(VALU_DEP_1)
	v_fma_f64 v[40:41], -v[14:15], v[26:27], 1.0
	v_fmac_f64_e32 v[26:27], v[26:27], v[40:41]
	s_delay_alu instid0(VALU_DEP_1) | instskip(NEXT) | instid1(VALU_DEP_1)
	v_mul_f64_e32 v[40:41], v[42:43], v[26:27]
	v_fma_f64 v[14:15], -v[14:15], v[40:41], v[42:43]
	s_delay_alu instid0(VALU_DEP_1) | instskip(SKIP_2) | instid1(VALU_DEP_3)
	v_div_fmas_f64 v[14:15], v[14:15], v[26:27], v[40:41]
	v_fma_f64 v[26:27], v[22:23], v[12:13], v[20:21]
	v_fma_f64 v[20:21], -v[20:21], v[12:13], v[22:23]
	v_div_fixup_f64 v[14:15], v[14:15], v[24:25], 1.0
	s_delay_alu instid0(VALU_DEP_1) | instskip(NEXT) | instid1(VALU_DEP_3)
	v_mul_f64_e32 v[12:13], v[26:27], v[14:15]
	v_mul_f64_e32 v[14:15], v[20:21], v[14:15]
.LBB213_22:                             ;   in Loop: Header=BB213_16 Depth=2
	v_mov_b32_e32 v20, s27
	ds_load_b128 v[24:27], v20 offset:16
	ds_load_b128 v[20:23], v20 offset:208
	ds_store_b128 v38, v[12:15]
	s_wait_dscnt 0x2
	v_mul_f64_e32 v[40:41], v[14:15], v[26:27]
	v_mul_f64_e32 v[26:27], v[12:13], v[26:27]
	s_wait_dscnt 0x1
	v_cmp_ngt_f64_e64 s36, |v[20:21]|, |v[22:23]|
	s_delay_alu instid0(VALU_DEP_3) | instskip(NEXT) | instid1(VALU_DEP_3)
	v_fma_f64 v[40:41], v[12:13], v[24:25], -v[40:41]
	v_fmac_f64_e32 v[26:27], v[14:15], v[24:25]
	s_and_b32 vcc_lo, exec_lo, s36
	s_mov_b32 s36, -1
	s_delay_alu instid0(VALU_DEP_2) | instskip(NEXT) | instid1(VALU_DEP_2)
	v_add_f64_e64 v[24:25], v[16:17], -v[40:41]
	v_add_f64_e64 v[26:27], v[18:19], -v[26:27]
                                        ; implicit-def: $vgpr18_vgpr19
	s_cbranch_vccz .LBB213_24
; %bb.23:                               ;   in Loop: Header=BB213_16 Depth=2
	v_div_scale_f64 v[16:17], null, v[22:23], v[22:23], v[20:21]
	v_div_scale_f64 v[42:43], vcc_lo, v[20:21], v[22:23], v[20:21]
	s_mov_b32 s36, 0
	v_rcp_f64_e32 v[18:19], v[16:17]
	v_nop
	s_delay_alu instid0(TRANS32_DEP_1) | instskip(NEXT) | instid1(VALU_DEP_1)
	v_fma_f64 v[40:41], -v[16:17], v[18:19], 1.0
	v_fmac_f64_e32 v[18:19], v[18:19], v[40:41]
	s_delay_alu instid0(VALU_DEP_1) | instskip(NEXT) | instid1(VALU_DEP_1)
	v_fma_f64 v[40:41], -v[16:17], v[18:19], 1.0
	v_fmac_f64_e32 v[18:19], v[18:19], v[40:41]
	s_delay_alu instid0(VALU_DEP_1) | instskip(NEXT) | instid1(VALU_DEP_1)
	v_mul_f64_e32 v[40:41], v[42:43], v[18:19]
	v_fma_f64 v[16:17], -v[16:17], v[40:41], v[42:43]
	s_delay_alu instid0(VALU_DEP_1) | instskip(NEXT) | instid1(VALU_DEP_1)
	v_div_fmas_f64 v[16:17], v[16:17], v[18:19], v[40:41]
	v_div_fixup_f64 v[16:17], v[16:17], v[22:23], v[20:21]
	s_delay_alu instid0(VALU_DEP_1) | instskip(NEXT) | instid1(VALU_DEP_1)
	v_fma_f64 v[18:19], v[20:21], v[16:17], v[22:23]
	v_div_scale_f64 v[40:41], null, v[18:19], v[18:19], 1.0
	v_div_scale_f64 v[46:47], vcc_lo, 1.0, v[18:19], 1.0
	s_delay_alu instid0(VALU_DEP_2) | instskip(SKIP_1) | instid1(TRANS32_DEP_1)
	v_rcp_f64_e32 v[42:43], v[40:41]
	v_nop
	v_fma_f64 v[44:45], -v[40:41], v[42:43], 1.0
	s_delay_alu instid0(VALU_DEP_1) | instskip(NEXT) | instid1(VALU_DEP_1)
	v_fmac_f64_e32 v[42:43], v[42:43], v[44:45]
	v_fma_f64 v[44:45], -v[40:41], v[42:43], 1.0
	s_delay_alu instid0(VALU_DEP_1) | instskip(NEXT) | instid1(VALU_DEP_1)
	v_fmac_f64_e32 v[42:43], v[42:43], v[44:45]
	v_mul_f64_e32 v[44:45], v[46:47], v[42:43]
	s_delay_alu instid0(VALU_DEP_1) | instskip(NEXT) | instid1(VALU_DEP_1)
	v_fma_f64 v[40:41], -v[40:41], v[44:45], v[46:47]
	v_div_fmas_f64 v[40:41], v[40:41], v[42:43], v[44:45]
	v_fma_f64 v[42:43], v[16:17], v[24:25], v[26:27]
	s_delay_alu instid0(VALU_DEP_2) | instskip(SKIP_1) | instid1(VALU_DEP_2)
	v_div_fixup_f64 v[18:19], v[40:41], v[18:19], 1.0
	v_fma_f64 v[40:41], v[16:17], v[26:27], -v[24:25]
	v_mul_f64_e32 v[16:17], v[42:43], v[18:19]
	s_delay_alu instid0(VALU_DEP_2)
	v_mul_f64_e32 v[18:19], v[40:41], v[18:19]
.LBB213_24:                             ;   in Loop: Header=BB213_16 Depth=2
	s_and_not1_b32 vcc_lo, exec_lo, s36
	s_cbranch_vccnz .LBB213_26
; %bb.25:                               ;   in Loop: Header=BB213_16 Depth=2
	v_div_scale_f64 v[16:17], null, v[20:21], v[20:21], v[22:23]
	v_div_scale_f64 v[42:43], vcc_lo, v[22:23], v[20:21], v[22:23]
	s_delay_alu instid0(VALU_DEP_2) | instskip(SKIP_1) | instid1(TRANS32_DEP_1)
	v_rcp_f64_e32 v[18:19], v[16:17]
	v_nop
	v_fma_f64 v[40:41], -v[16:17], v[18:19], 1.0
	s_delay_alu instid0(VALU_DEP_1) | instskip(NEXT) | instid1(VALU_DEP_1)
	v_fmac_f64_e32 v[18:19], v[18:19], v[40:41]
	v_fma_f64 v[40:41], -v[16:17], v[18:19], 1.0
	s_delay_alu instid0(VALU_DEP_1) | instskip(NEXT) | instid1(VALU_DEP_1)
	v_fmac_f64_e32 v[18:19], v[18:19], v[40:41]
	v_mul_f64_e32 v[40:41], v[42:43], v[18:19]
	s_delay_alu instid0(VALU_DEP_1) | instskip(NEXT) | instid1(VALU_DEP_1)
	v_fma_f64 v[16:17], -v[16:17], v[40:41], v[42:43]
	v_div_fmas_f64 v[16:17], v[16:17], v[18:19], v[40:41]
	s_delay_alu instid0(VALU_DEP_1) | instskip(NEXT) | instid1(VALU_DEP_1)
	v_div_fixup_f64 v[16:17], v[16:17], v[20:21], v[22:23]
	v_fmac_f64_e32 v[20:21], v[22:23], v[16:17]
	s_delay_alu instid0(VALU_DEP_1) | instskip(SKIP_1) | instid1(VALU_DEP_2)
	v_div_scale_f64 v[18:19], null, v[20:21], v[20:21], 1.0
	v_div_scale_f64 v[42:43], vcc_lo, 1.0, v[20:21], 1.0
	v_rcp_f64_e32 v[22:23], v[18:19]
	v_nop
	s_delay_alu instid0(TRANS32_DEP_1) | instskip(NEXT) | instid1(VALU_DEP_1)
	v_fma_f64 v[40:41], -v[18:19], v[22:23], 1.0
	v_fmac_f64_e32 v[22:23], v[22:23], v[40:41]
	s_delay_alu instid0(VALU_DEP_1) | instskip(NEXT) | instid1(VALU_DEP_1)
	v_fma_f64 v[40:41], -v[18:19], v[22:23], 1.0
	v_fmac_f64_e32 v[22:23], v[22:23], v[40:41]
	s_delay_alu instid0(VALU_DEP_1) | instskip(NEXT) | instid1(VALU_DEP_1)
	v_mul_f64_e32 v[40:41], v[42:43], v[22:23]
	v_fma_f64 v[18:19], -v[18:19], v[40:41], v[42:43]
	s_delay_alu instid0(VALU_DEP_1) | instskip(SKIP_1) | instid1(VALU_DEP_2)
	v_div_fmas_f64 v[18:19], v[18:19], v[22:23], v[40:41]
	v_fma_f64 v[22:23], v[16:17], v[26:27], v[24:25]
	v_div_fixup_f64 v[18:19], v[18:19], v[20:21], 1.0
	v_fma_f64 v[20:21], -v[16:17], v[24:25], v[26:27]
	s_delay_alu instid0(VALU_DEP_2) | instskip(NEXT) | instid1(VALU_DEP_2)
	v_mul_f64_e32 v[16:17], v[22:23], v[18:19]
	v_mul_f64_e32 v[18:19], v[20:21], v[18:19]
.LBB213_26:                             ;   in Loop: Header=BB213_16 Depth=2
	v_mov_b32_e32 v20, s27
	s_add_co_i32 s36, s27, 0xd0
	s_or_b32 s37, s26, 16
	ds_store_b128 v38, v[16:19] offset:192
	s_sub_co_i32 s37, s36, s37
	ds_load_b128 v[24:27], v20 offset:32
	s_add_co_i32 s37, s37, s26
	s_delay_alu instid0(SALU_CYCLE_1)
	v_mov_b32_e32 v39, s37
	ds_load_b128 v[40:43], v39 offset:32
	s_wait_dscnt 0x1
	v_mul_f64_e32 v[44:45], v[14:15], v[26:27]
	v_mul_f64_e32 v[26:27], v[12:13], v[26:27]
	ds_load_b128 v[20:23], v20 offset:416
	s_wait_dscnt 0x1
	v_mul_f64_e32 v[46:47], v[18:19], v[42:43]
	v_mul_f64_e32 v[42:43], v[16:17], v[42:43]
	s_wait_dscnt 0x0
	v_cmp_ngt_f64_e64 s38, |v[20:21]|, |v[22:23]|
	v_fma_f64 v[44:45], v[12:13], v[24:25], -v[44:45]
	v_fmac_f64_e32 v[26:27], v[14:15], v[24:25]
	v_fma_f64 v[24:25], v[16:17], v[40:41], -v[46:47]
	v_fmac_f64_e32 v[42:43], v[18:19], v[40:41]
	s_and_b32 vcc_lo, exec_lo, s38
	s_mov_b32 s38, -1
	s_delay_alu instid0(VALU_DEP_4) | instskip(NEXT) | instid1(VALU_DEP_4)
	v_add_f64_e64 v[8:9], v[8:9], -v[44:45]
	v_add_f64_e64 v[10:11], v[10:11], -v[26:27]
	s_delay_alu instid0(VALU_DEP_2) | instskip(NEXT) | instid1(VALU_DEP_2)
	v_add_f64_e64 v[8:9], v[8:9], -v[24:25]
	v_add_f64_e64 v[10:11], v[10:11], -v[42:43]
                                        ; implicit-def: $vgpr26_vgpr27
	s_cbranch_vccz .LBB213_28
; %bb.27:                               ;   in Loop: Header=BB213_16 Depth=2
	v_div_scale_f64 v[24:25], null, v[22:23], v[22:23], v[20:21]
	v_div_scale_f64 v[42:43], vcc_lo, v[20:21], v[22:23], v[20:21]
	s_mov_b32 s38, 0
	v_rcp_f64_e32 v[26:27], v[24:25]
	v_nop
	s_delay_alu instid0(TRANS32_DEP_1) | instskip(NEXT) | instid1(VALU_DEP_1)
	v_fma_f64 v[40:41], -v[24:25], v[26:27], 1.0
	v_fmac_f64_e32 v[26:27], v[26:27], v[40:41]
	s_delay_alu instid0(VALU_DEP_1) | instskip(NEXT) | instid1(VALU_DEP_1)
	v_fma_f64 v[40:41], -v[24:25], v[26:27], 1.0
	v_fmac_f64_e32 v[26:27], v[26:27], v[40:41]
	s_delay_alu instid0(VALU_DEP_1) | instskip(NEXT) | instid1(VALU_DEP_1)
	v_mul_f64_e32 v[40:41], v[42:43], v[26:27]
	v_fma_f64 v[24:25], -v[24:25], v[40:41], v[42:43]
	s_delay_alu instid0(VALU_DEP_1) | instskip(NEXT) | instid1(VALU_DEP_1)
	v_div_fmas_f64 v[24:25], v[24:25], v[26:27], v[40:41]
	v_div_fixup_f64 v[24:25], v[24:25], v[22:23], v[20:21]
	s_delay_alu instid0(VALU_DEP_1) | instskip(NEXT) | instid1(VALU_DEP_1)
	v_fma_f64 v[26:27], v[20:21], v[24:25], v[22:23]
	v_div_scale_f64 v[40:41], null, v[26:27], v[26:27], 1.0
	v_div_scale_f64 v[46:47], vcc_lo, 1.0, v[26:27], 1.0
	s_delay_alu instid0(VALU_DEP_2) | instskip(SKIP_1) | instid1(TRANS32_DEP_1)
	v_rcp_f64_e32 v[42:43], v[40:41]
	v_nop
	v_fma_f64 v[44:45], -v[40:41], v[42:43], 1.0
	s_delay_alu instid0(VALU_DEP_1) | instskip(NEXT) | instid1(VALU_DEP_1)
	v_fmac_f64_e32 v[42:43], v[42:43], v[44:45]
	v_fma_f64 v[44:45], -v[40:41], v[42:43], 1.0
	s_delay_alu instid0(VALU_DEP_1) | instskip(NEXT) | instid1(VALU_DEP_1)
	v_fmac_f64_e32 v[42:43], v[42:43], v[44:45]
	v_mul_f64_e32 v[44:45], v[46:47], v[42:43]
	s_delay_alu instid0(VALU_DEP_1) | instskip(NEXT) | instid1(VALU_DEP_1)
	v_fma_f64 v[40:41], -v[40:41], v[44:45], v[46:47]
	v_div_fmas_f64 v[40:41], v[40:41], v[42:43], v[44:45]
	v_fma_f64 v[42:43], v[24:25], v[8:9], v[10:11]
	s_delay_alu instid0(VALU_DEP_2) | instskip(SKIP_1) | instid1(VALU_DEP_2)
	v_div_fixup_f64 v[26:27], v[40:41], v[26:27], 1.0
	v_fma_f64 v[40:41], v[24:25], v[10:11], -v[8:9]
	v_mul_f64_e32 v[24:25], v[42:43], v[26:27]
	s_delay_alu instid0(VALU_DEP_2)
	v_mul_f64_e32 v[26:27], v[40:41], v[26:27]
.LBB213_28:                             ;   in Loop: Header=BB213_16 Depth=2
	s_and_not1_b32 vcc_lo, exec_lo, s38
	s_cbranch_vccnz .LBB213_30
; %bb.29:                               ;   in Loop: Header=BB213_16 Depth=2
	v_div_scale_f64 v[24:25], null, v[20:21], v[20:21], v[22:23]
	v_div_scale_f64 v[42:43], vcc_lo, v[22:23], v[20:21], v[22:23]
	s_delay_alu instid0(VALU_DEP_2) | instskip(SKIP_1) | instid1(TRANS32_DEP_1)
	v_rcp_f64_e32 v[26:27], v[24:25]
	v_nop
	v_fma_f64 v[40:41], -v[24:25], v[26:27], 1.0
	s_delay_alu instid0(VALU_DEP_1) | instskip(NEXT) | instid1(VALU_DEP_1)
	v_fmac_f64_e32 v[26:27], v[26:27], v[40:41]
	v_fma_f64 v[40:41], -v[24:25], v[26:27], 1.0
	s_delay_alu instid0(VALU_DEP_1) | instskip(NEXT) | instid1(VALU_DEP_1)
	v_fmac_f64_e32 v[26:27], v[26:27], v[40:41]
	v_mul_f64_e32 v[40:41], v[42:43], v[26:27]
	s_delay_alu instid0(VALU_DEP_1) | instskip(NEXT) | instid1(VALU_DEP_1)
	v_fma_f64 v[24:25], -v[24:25], v[40:41], v[42:43]
	v_div_fmas_f64 v[24:25], v[24:25], v[26:27], v[40:41]
	s_delay_alu instid0(VALU_DEP_1) | instskip(NEXT) | instid1(VALU_DEP_1)
	v_div_fixup_f64 v[24:25], v[24:25], v[20:21], v[22:23]
	v_fmac_f64_e32 v[20:21], v[22:23], v[24:25]
	s_delay_alu instid0(VALU_DEP_1) | instskip(SKIP_1) | instid1(VALU_DEP_2)
	v_div_scale_f64 v[22:23], null, v[20:21], v[20:21], 1.0
	v_div_scale_f64 v[42:43], vcc_lo, 1.0, v[20:21], 1.0
	v_rcp_f64_e32 v[26:27], v[22:23]
	v_nop
	s_delay_alu instid0(TRANS32_DEP_1) | instskip(NEXT) | instid1(VALU_DEP_1)
	v_fma_f64 v[40:41], -v[22:23], v[26:27], 1.0
	v_fmac_f64_e32 v[26:27], v[26:27], v[40:41]
	s_delay_alu instid0(VALU_DEP_1) | instskip(NEXT) | instid1(VALU_DEP_1)
	v_fma_f64 v[40:41], -v[22:23], v[26:27], 1.0
	v_fmac_f64_e32 v[26:27], v[26:27], v[40:41]
	s_delay_alu instid0(VALU_DEP_1) | instskip(NEXT) | instid1(VALU_DEP_1)
	v_mul_f64_e32 v[40:41], v[42:43], v[26:27]
	v_fma_f64 v[22:23], -v[22:23], v[40:41], v[42:43]
	s_delay_alu instid0(VALU_DEP_1) | instskip(SKIP_2) | instid1(VALU_DEP_3)
	v_div_fmas_f64 v[22:23], v[22:23], v[26:27], v[40:41]
	v_fma_f64 v[26:27], v[24:25], v[10:11], v[8:9]
	v_fma_f64 v[8:9], -v[24:25], v[8:9], v[10:11]
	v_div_fixup_f64 v[20:21], v[22:23], v[20:21], 1.0
	s_delay_alu instid0(VALU_DEP_1) | instskip(NEXT) | instid1(VALU_DEP_3)
	v_mul_f64_e32 v[24:25], v[26:27], v[20:21]
	v_mul_f64_e32 v[26:27], v[8:9], v[20:21]
.LBB213_30:                             ;   in Loop: Header=BB213_16 Depth=2
	v_mov_b32_e32 v8, s27
	s_or_b32 s27, s26, 32
	ds_load_b128 v[20:23], v8 offset:48
	ds_load_b128 v[8:11], v8 offset:624
	s_sub_co_i32 s27, s36, s27
	ds_store_b128 v38, v[24:27] offset:384
	s_add_co_i32 s26, s27, s26
	v_mov_b32_e32 v39, s37
	ds_load_b128 v[40:43], v39 offset:48
	s_wait_dscnt 0x3
	v_dual_mul_f64 v[48:49], v[14:15], v[22:23] :: v_dual_mov_b32 v39, s26
	v_mul_f64_e32 v[22:23], v[12:13], v[22:23]
	s_wait_dscnt 0x2
	v_cmp_ngt_f64_e64 s26, |v[8:9]|, |v[10:11]|
	s_wait_dscnt 0x0
	v_mul_f64_e32 v[50:51], v[18:19], v[42:43]
	v_mul_f64_e32 v[42:43], v[16:17], v[42:43]
	ds_load_b128 v[44:47], v39 offset:256
	v_fma_f64 v[12:13], v[12:13], v[20:21], -v[48:49]
	v_fmac_f64_e32 v[22:23], v[14:15], v[20:21]
	s_and_b32 vcc_lo, exec_lo, s26
	s_mov_b32 s26, -1
	s_wait_dscnt 0x0
	v_mul_f64_e32 v[14:15], v[26:27], v[46:47]
	v_mul_f64_e32 v[20:21], v[24:25], v[46:47]
	v_fma_f64 v[16:17], v[16:17], v[40:41], -v[50:51]
	v_fmac_f64_e32 v[42:43], v[18:19], v[40:41]
	v_add_f64_e64 v[4:5], v[4:5], -v[12:13]
	v_add_f64_e64 v[6:7], v[6:7], -v[22:23]
	v_fma_f64 v[12:13], v[24:25], v[44:45], -v[14:15]
	v_fmac_f64_e32 v[20:21], v[26:27], v[44:45]
	s_delay_alu instid0(VALU_DEP_4) | instskip(NEXT) | instid1(VALU_DEP_4)
	v_add_f64_e64 v[4:5], v[4:5], -v[16:17]
	v_add_f64_e64 v[6:7], v[6:7], -v[42:43]
	s_delay_alu instid0(VALU_DEP_2) | instskip(NEXT) | instid1(VALU_DEP_2)
	v_add_f64_e64 v[12:13], v[4:5], -v[12:13]
	v_add_f64_e64 v[14:15], v[6:7], -v[20:21]
                                        ; implicit-def: $vgpr6_vgpr7
	s_cbranch_vccz .LBB213_32
; %bb.31:                               ;   in Loop: Header=BB213_16 Depth=2
	v_div_scale_f64 v[4:5], null, v[10:11], v[10:11], v[8:9]
	v_div_scale_f64 v[18:19], vcc_lo, v[8:9], v[10:11], v[8:9]
	s_mov_b32 s26, 0
	v_rcp_f64_e32 v[6:7], v[4:5]
	v_nop
	s_delay_alu instid0(TRANS32_DEP_1) | instskip(NEXT) | instid1(VALU_DEP_1)
	v_fma_f64 v[16:17], -v[4:5], v[6:7], 1.0
	v_fmac_f64_e32 v[6:7], v[6:7], v[16:17]
	s_delay_alu instid0(VALU_DEP_1) | instskip(NEXT) | instid1(VALU_DEP_1)
	v_fma_f64 v[16:17], -v[4:5], v[6:7], 1.0
	v_fmac_f64_e32 v[6:7], v[6:7], v[16:17]
	s_delay_alu instid0(VALU_DEP_1) | instskip(NEXT) | instid1(VALU_DEP_1)
	v_mul_f64_e32 v[16:17], v[18:19], v[6:7]
	v_fma_f64 v[4:5], -v[4:5], v[16:17], v[18:19]
	s_delay_alu instid0(VALU_DEP_1) | instskip(NEXT) | instid1(VALU_DEP_1)
	v_div_fmas_f64 v[4:5], v[4:5], v[6:7], v[16:17]
	v_div_fixup_f64 v[4:5], v[4:5], v[10:11], v[8:9]
	s_delay_alu instid0(VALU_DEP_1) | instskip(NEXT) | instid1(VALU_DEP_1)
	v_fma_f64 v[6:7], v[8:9], v[4:5], v[10:11]
	v_div_scale_f64 v[16:17], null, v[6:7], v[6:7], 1.0
	v_div_scale_f64 v[22:23], vcc_lo, 1.0, v[6:7], 1.0
	s_delay_alu instid0(VALU_DEP_2) | instskip(SKIP_1) | instid1(TRANS32_DEP_1)
	v_rcp_f64_e32 v[18:19], v[16:17]
	v_nop
	v_fma_f64 v[20:21], -v[16:17], v[18:19], 1.0
	s_delay_alu instid0(VALU_DEP_1) | instskip(NEXT) | instid1(VALU_DEP_1)
	v_fmac_f64_e32 v[18:19], v[18:19], v[20:21]
	v_fma_f64 v[20:21], -v[16:17], v[18:19], 1.0
	s_delay_alu instid0(VALU_DEP_1) | instskip(NEXT) | instid1(VALU_DEP_1)
	v_fmac_f64_e32 v[18:19], v[18:19], v[20:21]
	v_mul_f64_e32 v[20:21], v[22:23], v[18:19]
	s_delay_alu instid0(VALU_DEP_1) | instskip(NEXT) | instid1(VALU_DEP_1)
	v_fma_f64 v[16:17], -v[16:17], v[20:21], v[22:23]
	v_div_fmas_f64 v[16:17], v[16:17], v[18:19], v[20:21]
	v_fma_f64 v[18:19], v[4:5], v[12:13], v[14:15]
	s_delay_alu instid0(VALU_DEP_2) | instskip(SKIP_1) | instid1(VALU_DEP_2)
	v_div_fixup_f64 v[6:7], v[16:17], v[6:7], 1.0
	v_fma_f64 v[16:17], v[4:5], v[14:15], -v[12:13]
	v_mul_f64_e32 v[4:5], v[18:19], v[6:7]
	s_delay_alu instid0(VALU_DEP_2)
	v_mul_f64_e32 v[6:7], v[16:17], v[6:7]
.LBB213_32:                             ;   in Loop: Header=BB213_16 Depth=2
	s_and_not1_b32 vcc_lo, exec_lo, s26
	s_cbranch_vccnz .LBB213_34
; %bb.33:                               ;   in Loop: Header=BB213_16 Depth=2
	v_div_scale_f64 v[4:5], null, v[8:9], v[8:9], v[10:11]
	v_div_scale_f64 v[18:19], vcc_lo, v[10:11], v[8:9], v[10:11]
	s_delay_alu instid0(VALU_DEP_2) | instskip(SKIP_1) | instid1(TRANS32_DEP_1)
	v_rcp_f64_e32 v[6:7], v[4:5]
	v_nop
	v_fma_f64 v[16:17], -v[4:5], v[6:7], 1.0
	s_delay_alu instid0(VALU_DEP_1) | instskip(NEXT) | instid1(VALU_DEP_1)
	v_fmac_f64_e32 v[6:7], v[6:7], v[16:17]
	v_fma_f64 v[16:17], -v[4:5], v[6:7], 1.0
	s_delay_alu instid0(VALU_DEP_1) | instskip(NEXT) | instid1(VALU_DEP_1)
	v_fmac_f64_e32 v[6:7], v[6:7], v[16:17]
	v_mul_f64_e32 v[16:17], v[18:19], v[6:7]
	s_delay_alu instid0(VALU_DEP_1) | instskip(NEXT) | instid1(VALU_DEP_1)
	v_fma_f64 v[4:5], -v[4:5], v[16:17], v[18:19]
	v_div_fmas_f64 v[4:5], v[4:5], v[6:7], v[16:17]
	s_delay_alu instid0(VALU_DEP_1) | instskip(NEXT) | instid1(VALU_DEP_1)
	v_div_fixup_f64 v[4:5], v[4:5], v[8:9], v[10:11]
	v_fmac_f64_e32 v[8:9], v[10:11], v[4:5]
	s_delay_alu instid0(VALU_DEP_1) | instskip(SKIP_1) | instid1(VALU_DEP_2)
	v_div_scale_f64 v[6:7], null, v[8:9], v[8:9], 1.0
	v_div_scale_f64 v[18:19], vcc_lo, 1.0, v[8:9], 1.0
	v_rcp_f64_e32 v[10:11], v[6:7]
	v_nop
	s_delay_alu instid0(TRANS32_DEP_1) | instskip(NEXT) | instid1(VALU_DEP_1)
	v_fma_f64 v[16:17], -v[6:7], v[10:11], 1.0
	v_fmac_f64_e32 v[10:11], v[10:11], v[16:17]
	s_delay_alu instid0(VALU_DEP_1) | instskip(NEXT) | instid1(VALU_DEP_1)
	v_fma_f64 v[16:17], -v[6:7], v[10:11], 1.0
	v_fmac_f64_e32 v[10:11], v[10:11], v[16:17]
	s_delay_alu instid0(VALU_DEP_1) | instskip(NEXT) | instid1(VALU_DEP_1)
	v_mul_f64_e32 v[16:17], v[18:19], v[10:11]
	v_fma_f64 v[6:7], -v[6:7], v[16:17], v[18:19]
	s_delay_alu instid0(VALU_DEP_1) | instskip(SKIP_1) | instid1(VALU_DEP_2)
	v_div_fmas_f64 v[6:7], v[6:7], v[10:11], v[16:17]
	v_fma_f64 v[10:11], v[4:5], v[14:15], v[12:13]
	v_div_fixup_f64 v[6:7], v[6:7], v[8:9], 1.0
	v_fma_f64 v[8:9], -v[4:5], v[12:13], v[14:15]
	s_delay_alu instid0(VALU_DEP_2) | instskip(NEXT) | instid1(VALU_DEP_2)
	v_mul_f64_e32 v[4:5], v[10:11], v[6:7]
	v_mul_f64_e32 v[6:7], v[8:9], v[6:7]
.LBB213_34:                             ;   in Loop: Header=BB213_16 Depth=2
	s_add_co_i32 s26, s25, 4
	s_add_co_i32 s25, s25, 7
	;; [unrolled: 1-line block ×3, first 2 shown]
	s_cmp_ge_i32 s25, s29
	ds_store_b128 v37, v[4:7]
	s_cbranch_scc1 .LBB213_36
; %bb.35:                               ;   in Loop: Header=BB213_16 Depth=2
	s_mov_b32 s25, s26
	s_branch .LBB213_16
.LBB213_36:                             ;   in Loop: Header=BB213_3 Depth=1
	s_cmp_ge_i32 s26, s29
	s_cbranch_scc1 .LBB213_45
; %bb.37:                               ;   in Loop: Header=BB213_3 Depth=1
	s_lshl_b32 s24, s26, 4
	s_branch .LBB213_39
.LBB213_38:                             ;   in Loop: Header=BB213_39 Depth=2
	s_add_co_i32 s26, s26, 1
	s_add_co_i32 s24, s24, 16
	s_cmp_ge_i32 s26, s29
	ds_store_b128 v16, v[12:15]
	s_cbranch_scc1 .LBB213_45
.LBB213_39:                             ;   Parent Loop BB213_3 Depth=1
                                        ; =>  This Loop Header: Depth=2
                                        ;       Child Loop BB213_40 Depth 3
	s_mul_i32 s25, s26, 0xc0
	s_cmp_eq_u32 s26, 0
	v_dual_add_nc_u32 v16, s25, v34 :: v_dual_mov_b32 v8, v34
	s_mov_b32 s27, s24
	s_mov_b32 s36, s26
	ds_load_b128 v[4:7], v16
	s_cbranch_scc1 .LBB213_41
.LBB213_40:                             ;   Parent Loop BB213_3 Depth=1
                                        ;     Parent Loop BB213_39 Depth=2
                                        ; =>    This Inner Loop Header: Depth=3
	v_mov_b32_e32 v9, s27
	s_add_co_i32 s36, s36, -1
	s_addk_co_i32 s27, 0xc0
	s_cmp_eq_u32 s36, 0
	ds_load_b128 v[10:13], v8
	ds_load_b128 v[18:21], v9
	v_add_nc_u32_e32 v8, 0xc0, v8
	s_wait_dscnt 0x0
	v_mul_f64_e32 v[14:15], v[20:21], v[12:13]
	v_mul_f64_e32 v[12:13], v[18:19], v[12:13]
	s_delay_alu instid0(VALU_DEP_2) | instskip(NEXT) | instid1(VALU_DEP_2)
	v_fma_f64 v[14:15], v[18:19], v[10:11], -v[14:15]
	v_fmac_f64_e32 v[12:13], v[20:21], v[10:11]
	s_delay_alu instid0(VALU_DEP_2) | instskip(NEXT) | instid1(VALU_DEP_2)
	v_add_f64_e64 v[4:5], v[4:5], -v[14:15]
	v_add_f64_e64 v[6:7], v[6:7], -v[12:13]
	s_cbranch_scc0 .LBB213_40
.LBB213_41:                             ;   in Loop: Header=BB213_39 Depth=2
	s_lshl_b32 s27, s26, 4
                                        ; implicit-def: $vgpr12_vgpr13
	s_delay_alu instid0(SALU_CYCLE_1) | instskip(NEXT) | instid1(SALU_CYCLE_1)
	s_add_co_i32 s25, s27, s25
	v_mov_b32_e32 v8, s25
	ds_load_b128 v[8:11], v8
	s_wait_dscnt 0x0
	v_cmp_ngt_f64_e64 s25, |v[8:9]|, |v[10:11]|
	s_and_b32 vcc_lo, exec_lo, s25
	s_mov_b32 s25, -1
	s_cbranch_vccz .LBB213_43
; %bb.42:                               ;   in Loop: Header=BB213_39 Depth=2
	v_div_scale_f64 v[12:13], null, v[10:11], v[10:11], v[8:9]
	v_div_scale_f64 v[20:21], vcc_lo, v[8:9], v[10:11], v[8:9]
	s_mov_b32 s25, 0
	v_rcp_f64_e32 v[14:15], v[12:13]
	v_nop
	s_delay_alu instid0(TRANS32_DEP_1) | instskip(NEXT) | instid1(VALU_DEP_1)
	v_fma_f64 v[18:19], -v[12:13], v[14:15], 1.0
	v_fmac_f64_e32 v[14:15], v[14:15], v[18:19]
	s_delay_alu instid0(VALU_DEP_1) | instskip(NEXT) | instid1(VALU_DEP_1)
	v_fma_f64 v[18:19], -v[12:13], v[14:15], 1.0
	v_fmac_f64_e32 v[14:15], v[14:15], v[18:19]
	s_delay_alu instid0(VALU_DEP_1) | instskip(NEXT) | instid1(VALU_DEP_1)
	v_mul_f64_e32 v[18:19], v[20:21], v[14:15]
	v_fma_f64 v[12:13], -v[12:13], v[18:19], v[20:21]
	s_delay_alu instid0(VALU_DEP_1) | instskip(NEXT) | instid1(VALU_DEP_1)
	v_div_fmas_f64 v[12:13], v[12:13], v[14:15], v[18:19]
	v_div_fixup_f64 v[12:13], v[12:13], v[10:11], v[8:9]
	s_delay_alu instid0(VALU_DEP_1) | instskip(NEXT) | instid1(VALU_DEP_1)
	v_fma_f64 v[14:15], v[8:9], v[12:13], v[10:11]
	v_div_scale_f64 v[18:19], null, v[14:15], v[14:15], 1.0
	v_div_scale_f64 v[24:25], vcc_lo, 1.0, v[14:15], 1.0
	s_delay_alu instid0(VALU_DEP_2) | instskip(SKIP_1) | instid1(TRANS32_DEP_1)
	v_rcp_f64_e32 v[20:21], v[18:19]
	v_nop
	v_fma_f64 v[22:23], -v[18:19], v[20:21], 1.0
	s_delay_alu instid0(VALU_DEP_1) | instskip(NEXT) | instid1(VALU_DEP_1)
	v_fmac_f64_e32 v[20:21], v[20:21], v[22:23]
	v_fma_f64 v[22:23], -v[18:19], v[20:21], 1.0
	s_delay_alu instid0(VALU_DEP_1) | instskip(NEXT) | instid1(VALU_DEP_1)
	v_fmac_f64_e32 v[20:21], v[20:21], v[22:23]
	v_mul_f64_e32 v[22:23], v[24:25], v[20:21]
	s_delay_alu instid0(VALU_DEP_1) | instskip(NEXT) | instid1(VALU_DEP_1)
	v_fma_f64 v[18:19], -v[18:19], v[22:23], v[24:25]
	v_div_fmas_f64 v[18:19], v[18:19], v[20:21], v[22:23]
	v_fma_f64 v[20:21], v[4:5], v[12:13], v[6:7]
	s_delay_alu instid0(VALU_DEP_2) | instskip(SKIP_1) | instid1(VALU_DEP_2)
	v_div_fixup_f64 v[14:15], v[18:19], v[14:15], 1.0
	v_fma_f64 v[18:19], v[6:7], v[12:13], -v[4:5]
	v_mul_f64_e32 v[12:13], v[20:21], v[14:15]
	s_delay_alu instid0(VALU_DEP_2)
	v_mul_f64_e32 v[14:15], v[18:19], v[14:15]
.LBB213_43:                             ;   in Loop: Header=BB213_39 Depth=2
	s_and_not1_b32 vcc_lo, exec_lo, s25
	s_cbranch_vccnz .LBB213_38
; %bb.44:                               ;   in Loop: Header=BB213_39 Depth=2
	v_div_scale_f64 v[12:13], null, v[8:9], v[8:9], v[10:11]
	v_div_scale_f64 v[20:21], vcc_lo, v[10:11], v[8:9], v[10:11]
	s_delay_alu instid0(VALU_DEP_2) | instskip(SKIP_1) | instid1(TRANS32_DEP_1)
	v_rcp_f64_e32 v[14:15], v[12:13]
	v_nop
	v_fma_f64 v[18:19], -v[12:13], v[14:15], 1.0
	s_delay_alu instid0(VALU_DEP_1) | instskip(NEXT) | instid1(VALU_DEP_1)
	v_fmac_f64_e32 v[14:15], v[14:15], v[18:19]
	v_fma_f64 v[18:19], -v[12:13], v[14:15], 1.0
	s_delay_alu instid0(VALU_DEP_1) | instskip(NEXT) | instid1(VALU_DEP_1)
	v_fmac_f64_e32 v[14:15], v[14:15], v[18:19]
	v_mul_f64_e32 v[18:19], v[20:21], v[14:15]
	s_delay_alu instid0(VALU_DEP_1) | instskip(NEXT) | instid1(VALU_DEP_1)
	v_fma_f64 v[12:13], -v[12:13], v[18:19], v[20:21]
	v_div_fmas_f64 v[12:13], v[12:13], v[14:15], v[18:19]
	s_delay_alu instid0(VALU_DEP_1) | instskip(NEXT) | instid1(VALU_DEP_1)
	v_div_fixup_f64 v[12:13], v[12:13], v[8:9], v[10:11]
	v_fmac_f64_e32 v[8:9], v[10:11], v[12:13]
	s_delay_alu instid0(VALU_DEP_1) | instskip(SKIP_1) | instid1(VALU_DEP_2)
	v_div_scale_f64 v[10:11], null, v[8:9], v[8:9], 1.0
	v_div_scale_f64 v[20:21], vcc_lo, 1.0, v[8:9], 1.0
	v_rcp_f64_e32 v[14:15], v[10:11]
	v_nop
	s_delay_alu instid0(TRANS32_DEP_1) | instskip(NEXT) | instid1(VALU_DEP_1)
	v_fma_f64 v[18:19], -v[10:11], v[14:15], 1.0
	v_fmac_f64_e32 v[14:15], v[14:15], v[18:19]
	s_delay_alu instid0(VALU_DEP_1) | instskip(NEXT) | instid1(VALU_DEP_1)
	v_fma_f64 v[18:19], -v[10:11], v[14:15], 1.0
	v_fmac_f64_e32 v[14:15], v[14:15], v[18:19]
	s_delay_alu instid0(VALU_DEP_1) | instskip(NEXT) | instid1(VALU_DEP_1)
	v_mul_f64_e32 v[18:19], v[20:21], v[14:15]
	v_fma_f64 v[10:11], -v[10:11], v[18:19], v[20:21]
	s_delay_alu instid0(VALU_DEP_1) | instskip(SKIP_2) | instid1(VALU_DEP_3)
	v_div_fmas_f64 v[10:11], v[10:11], v[14:15], v[18:19]
	v_fma_f64 v[14:15], v[6:7], v[12:13], v[4:5]
	v_fma_f64 v[4:5], -v[4:5], v[12:13], v[6:7]
	v_div_fixup_f64 v[8:9], v[10:11], v[8:9], 1.0
	s_delay_alu instid0(VALU_DEP_1) | instskip(NEXT) | instid1(VALU_DEP_3)
	v_mul_f64_e32 v[12:13], v[14:15], v[8:9]
	v_mul_f64_e32 v[14:15], v[4:5], v[8:9]
	s_branch .LBB213_38
.LBB213_45:                             ;   in Loop: Header=BB213_3 Depth=1
	s_mov_b32 s24, 0
.LBB213_46:                             ;   in Loop: Header=BB213_3 Depth=1
	s_delay_alu instid0(SALU_CYCLE_1)
	s_and_b32 vcc_lo, exec_lo, s24
	s_cbranch_vccz .LBB213_78
; %bb.47:                               ;   in Loop: Header=BB213_3 Depth=1
	s_mov_b32 s26, s30
	s_and_not1_b32 vcc_lo, exec_lo, s34
	s_mov_b32 s24, s18
	s_mov_b32 s25, s30
	s_cbranch_vccnz .LBB213_69
.LBB213_48:                             ;   Parent Loop BB213_3 Depth=1
                                        ; =>  This Loop Header: Depth=2
                                        ;       Child Loop BB213_49 Depth 3
	s_mul_i32 s27, s25, 0xc0
	s_mov_b32 s36, s30
	s_add_co_i32 s26, s27, 0xfffffdc0
	s_delay_alu instid0(SALU_CYCLE_1) | instskip(SKIP_2) | instid1(VALU_DEP_1)
	v_dual_add_nc_u32 v40, s27, v34 :: v_dual_add_nc_u32 v37, s26, v34
	s_cmp_le_i32 s30, s25
	s_mov_b32 s26, s24
	v_dual_mov_b32 v12, v35 :: v_dual_add_nc_u32 v39, 0xffffff40, v40
	v_add_nc_u32_e32 v38, 0xfffffe80, v40
	ds_load_b128 v[20:23], v40
	ds_load_b128 v[16:19], v39
	;; [unrolled: 1-line block ×4, first 2 shown]
	s_cbranch_scc1 .LBB213_50
.LBB213_49:                             ;   Parent Loop BB213_3 Depth=1
                                        ;     Parent Loop BB213_48 Depth=2
                                        ; =>    This Inner Loop Header: Depth=3
	ds_load_b128 v[24:27], v12
	v_dual_mov_b32 v13, s26 :: v_dual_add_nc_u32 v12, 0xffffff40, v12
	s_add_co_i32 s36, s36, -1
	s_addk_co_i32 s26, 0xff40
	ds_load_b128 v[42:45], v13
	ds_load_b128 v[46:49], v13 offset:16
	ds_load_b128 v[50:53], v13 offset:32
	;; [unrolled: 1-line block ×3, first 2 shown]
	s_cmp_le_i32 s36, s25
	s_wait_dscnt 0x0
	v_mul_f64_e32 v[14:15], v[26:27], v[56:57]
	v_mul_f64_e32 v[56:57], v[24:25], v[56:57]
	s_delay_alu instid0(VALU_DEP_2) | instskip(NEXT) | instid1(VALU_DEP_2)
	v_fma_f64 v[14:15], v[24:25], v[54:55], -v[14:15]
	v_fmac_f64_e32 v[56:57], v[26:27], v[54:55]
	s_delay_alu instid0(VALU_DEP_2) | instskip(SKIP_2) | instid1(VALU_DEP_4)
	v_add_f64_e64 v[20:21], v[20:21], -v[14:15]
	v_mul_f64_e32 v[14:15], v[26:27], v[52:53]
	v_mul_f64_e32 v[52:53], v[24:25], v[52:53]
	v_add_f64_e64 v[22:23], v[22:23], -v[56:57]
	s_delay_alu instid0(VALU_DEP_3) | instskip(NEXT) | instid1(VALU_DEP_3)
	v_fma_f64 v[14:15], v[24:25], v[50:51], -v[14:15]
	v_fmac_f64_e32 v[52:53], v[26:27], v[50:51]
	s_delay_alu instid0(VALU_DEP_2) | instskip(SKIP_2) | instid1(VALU_DEP_4)
	v_add_f64_e64 v[16:17], v[16:17], -v[14:15]
	v_mul_f64_e32 v[14:15], v[26:27], v[48:49]
	v_mul_f64_e32 v[48:49], v[24:25], v[48:49]
	v_add_f64_e64 v[18:19], v[18:19], -v[52:53]
	s_delay_alu instid0(VALU_DEP_3) | instskip(NEXT) | instid1(VALU_DEP_3)
	v_fma_f64 v[14:15], v[24:25], v[46:47], -v[14:15]
	v_fmac_f64_e32 v[48:49], v[26:27], v[46:47]
	s_delay_alu instid0(VALU_DEP_2) | instskip(SKIP_1) | instid1(VALU_DEP_3)
	v_add_f64_e64 v[8:9], v[8:9], -v[14:15]
	v_mul_f64_e32 v[14:15], v[26:27], v[44:45]
	v_add_f64_e64 v[10:11], v[10:11], -v[48:49]
	s_delay_alu instid0(VALU_DEP_2) | instskip(SKIP_1) | instid1(VALU_DEP_2)
	v_fma_f64 v[14:15], v[24:25], v[42:43], -v[14:15]
	v_mul_f64_e32 v[24:25], v[24:25], v[44:45]
	v_add_f64_e64 v[4:5], v[4:5], -v[14:15]
	s_delay_alu instid0(VALU_DEP_2) | instskip(NEXT) | instid1(VALU_DEP_1)
	v_fmac_f64_e32 v[24:25], v[26:27], v[42:43]
	v_add_f64_e64 v[6:7], v[6:7], -v[24:25]
	s_cbranch_scc0 .LBB213_49
.LBB213_50:                             ;   in Loop: Header=BB213_48 Depth=2
	s_add_co_i32 s26, s25, -3
; %bb.51:                               ;   in Loop: Header=BB213_48 Depth=2
	s_lshl_b32 s36, s25, 4
	s_delay_alu instid0(SALU_CYCLE_1) | instskip(NEXT) | instid1(SALU_CYCLE_1)
	s_add_co_i32 s27, s36, s27
	v_mov_b32_e32 v12, s27
	ds_load_b128 v[24:27], v12
                                        ; implicit-def: $vgpr14_vgpr15
	s_wait_dscnt 0x0
	v_cmp_ngt_f64_e64 s36, |v[24:25]|, |v[26:27]|
	s_and_b32 vcc_lo, exec_lo, s36
	s_mov_b32 s36, -1
	s_cbranch_vccz .LBB213_53
; %bb.52:                               ;   in Loop: Header=BB213_48 Depth=2
	v_div_scale_f64 v[12:13], null, v[26:27], v[26:27], v[24:25]
	v_div_scale_f64 v[44:45], vcc_lo, v[24:25], v[26:27], v[24:25]
	s_mov_b32 s36, 0
	v_rcp_f64_e32 v[14:15], v[12:13]
	v_nop
	s_delay_alu instid0(TRANS32_DEP_1) | instskip(NEXT) | instid1(VALU_DEP_1)
	v_fma_f64 v[42:43], -v[12:13], v[14:15], 1.0
	v_fmac_f64_e32 v[14:15], v[14:15], v[42:43]
	s_delay_alu instid0(VALU_DEP_1) | instskip(NEXT) | instid1(VALU_DEP_1)
	v_fma_f64 v[42:43], -v[12:13], v[14:15], 1.0
	v_fmac_f64_e32 v[14:15], v[14:15], v[42:43]
	s_delay_alu instid0(VALU_DEP_1) | instskip(NEXT) | instid1(VALU_DEP_1)
	v_mul_f64_e32 v[42:43], v[44:45], v[14:15]
	v_fma_f64 v[12:13], -v[12:13], v[42:43], v[44:45]
	s_delay_alu instid0(VALU_DEP_1) | instskip(NEXT) | instid1(VALU_DEP_1)
	v_div_fmas_f64 v[12:13], v[12:13], v[14:15], v[42:43]
	v_div_fixup_f64 v[12:13], v[12:13], v[26:27], v[24:25]
	s_delay_alu instid0(VALU_DEP_1) | instskip(NEXT) | instid1(VALU_DEP_1)
	v_fma_f64 v[14:15], v[24:25], v[12:13], v[26:27]
	v_div_scale_f64 v[42:43], null, v[14:15], v[14:15], 1.0
	v_div_scale_f64 v[48:49], vcc_lo, 1.0, v[14:15], 1.0
	s_delay_alu instid0(VALU_DEP_2) | instskip(SKIP_1) | instid1(TRANS32_DEP_1)
	v_rcp_f64_e32 v[44:45], v[42:43]
	v_nop
	v_fma_f64 v[46:47], -v[42:43], v[44:45], 1.0
	s_delay_alu instid0(VALU_DEP_1) | instskip(NEXT) | instid1(VALU_DEP_1)
	v_fmac_f64_e32 v[44:45], v[44:45], v[46:47]
	v_fma_f64 v[46:47], -v[42:43], v[44:45], 1.0
	s_delay_alu instid0(VALU_DEP_1) | instskip(NEXT) | instid1(VALU_DEP_1)
	v_fmac_f64_e32 v[44:45], v[44:45], v[46:47]
	v_mul_f64_e32 v[46:47], v[48:49], v[44:45]
	s_delay_alu instid0(VALU_DEP_1) | instskip(NEXT) | instid1(VALU_DEP_1)
	v_fma_f64 v[42:43], -v[42:43], v[46:47], v[48:49]
	v_div_fmas_f64 v[42:43], v[42:43], v[44:45], v[46:47]
	v_fma_f64 v[44:45], v[20:21], v[12:13], v[22:23]
	s_delay_alu instid0(VALU_DEP_2) | instskip(SKIP_1) | instid1(VALU_DEP_2)
	v_div_fixup_f64 v[14:15], v[42:43], v[14:15], 1.0
	v_fma_f64 v[42:43], v[22:23], v[12:13], -v[20:21]
	v_mul_f64_e32 v[12:13], v[44:45], v[14:15]
	s_delay_alu instid0(VALU_DEP_2)
	v_mul_f64_e32 v[14:15], v[42:43], v[14:15]
.LBB213_53:                             ;   in Loop: Header=BB213_48 Depth=2
	s_and_not1_b32 vcc_lo, exec_lo, s36
	s_cbranch_vccnz .LBB213_55
; %bb.54:                               ;   in Loop: Header=BB213_48 Depth=2
	v_div_scale_f64 v[12:13], null, v[24:25], v[24:25], v[26:27]
	v_div_scale_f64 v[44:45], vcc_lo, v[26:27], v[24:25], v[26:27]
	s_delay_alu instid0(VALU_DEP_2) | instskip(SKIP_1) | instid1(TRANS32_DEP_1)
	v_rcp_f64_e32 v[14:15], v[12:13]
	v_nop
	v_fma_f64 v[42:43], -v[12:13], v[14:15], 1.0
	s_delay_alu instid0(VALU_DEP_1) | instskip(NEXT) | instid1(VALU_DEP_1)
	v_fmac_f64_e32 v[14:15], v[14:15], v[42:43]
	v_fma_f64 v[42:43], -v[12:13], v[14:15], 1.0
	s_delay_alu instid0(VALU_DEP_1) | instskip(NEXT) | instid1(VALU_DEP_1)
	v_fmac_f64_e32 v[14:15], v[14:15], v[42:43]
	v_mul_f64_e32 v[42:43], v[44:45], v[14:15]
	s_delay_alu instid0(VALU_DEP_1) | instskip(NEXT) | instid1(VALU_DEP_1)
	v_fma_f64 v[12:13], -v[12:13], v[42:43], v[44:45]
	v_div_fmas_f64 v[12:13], v[12:13], v[14:15], v[42:43]
	s_delay_alu instid0(VALU_DEP_1) | instskip(NEXT) | instid1(VALU_DEP_1)
	v_div_fixup_f64 v[12:13], v[12:13], v[24:25], v[26:27]
	v_fmac_f64_e32 v[24:25], v[26:27], v[12:13]
	s_delay_alu instid0(VALU_DEP_1) | instskip(SKIP_1) | instid1(VALU_DEP_2)
	v_div_scale_f64 v[14:15], null, v[24:25], v[24:25], 1.0
	v_div_scale_f64 v[44:45], vcc_lo, 1.0, v[24:25], 1.0
	v_rcp_f64_e32 v[26:27], v[14:15]
	v_nop
	s_delay_alu instid0(TRANS32_DEP_1) | instskip(NEXT) | instid1(VALU_DEP_1)
	v_fma_f64 v[42:43], -v[14:15], v[26:27], 1.0
	v_fmac_f64_e32 v[26:27], v[26:27], v[42:43]
	s_delay_alu instid0(VALU_DEP_1) | instskip(NEXT) | instid1(VALU_DEP_1)
	v_fma_f64 v[42:43], -v[14:15], v[26:27], 1.0
	v_fmac_f64_e32 v[26:27], v[26:27], v[42:43]
	s_delay_alu instid0(VALU_DEP_1) | instskip(NEXT) | instid1(VALU_DEP_1)
	v_mul_f64_e32 v[42:43], v[44:45], v[26:27]
	v_fma_f64 v[14:15], -v[14:15], v[42:43], v[44:45]
	s_delay_alu instid0(VALU_DEP_1) | instskip(SKIP_2) | instid1(VALU_DEP_3)
	v_div_fmas_f64 v[14:15], v[14:15], v[26:27], v[42:43]
	v_fma_f64 v[26:27], v[22:23], v[12:13], v[20:21]
	v_fma_f64 v[20:21], -v[20:21], v[12:13], v[22:23]
	v_div_fixup_f64 v[14:15], v[14:15], v[24:25], 1.0
	s_delay_alu instid0(VALU_DEP_1) | instskip(NEXT) | instid1(VALU_DEP_3)
	v_mul_f64_e32 v[12:13], v[26:27], v[14:15]
	v_mul_f64_e32 v[14:15], v[20:21], v[14:15]
.LBB213_55:                             ;   in Loop: Header=BB213_48 Depth=2
	s_add_co_i32 s36, s27, -16
	s_add_co_i32 s37, s27, 0xffffff30
	v_mov_b32_e32 v20, s36
	ds_store_b128 v40, v[12:15]
	ds_load_b128 v[24:27], v20
	s_wait_dscnt 0x0
	v_dual_mul_f64 v[42:43], v[14:15], v[26:27] :: v_dual_mov_b32 v20, s37
	v_mul_f64_e32 v[26:27], v[12:13], v[26:27]
	ds_load_b128 v[20:23], v20
	s_wait_dscnt 0x0
	v_cmp_ngt_f64_e64 s36, |v[20:21]|, |v[22:23]|
	v_fma_f64 v[42:43], v[12:13], v[24:25], -v[42:43]
	v_fmac_f64_e32 v[26:27], v[14:15], v[24:25]
	s_and_b32 vcc_lo, exec_lo, s36
	s_mov_b32 s36, -1
	s_delay_alu instid0(VALU_DEP_2) | instskip(NEXT) | instid1(VALU_DEP_2)
	v_add_f64_e64 v[24:25], v[16:17], -v[42:43]
	v_add_f64_e64 v[26:27], v[18:19], -v[26:27]
                                        ; implicit-def: $vgpr18_vgpr19
	s_cbranch_vccz .LBB213_57
; %bb.56:                               ;   in Loop: Header=BB213_48 Depth=2
	v_div_scale_f64 v[16:17], null, v[22:23], v[22:23], v[20:21]
	v_div_scale_f64 v[42:43], vcc_lo, v[20:21], v[22:23], v[20:21]
	s_mov_b32 s36, 0
	v_rcp_f64_e32 v[18:19], v[16:17]
	v_nop
	s_delay_alu instid0(TRANS32_DEP_1) | instskip(NEXT) | instid1(VALU_DEP_1)
	v_fma_f64 v[40:41], -v[16:17], v[18:19], 1.0
	v_fmac_f64_e32 v[18:19], v[18:19], v[40:41]
	s_delay_alu instid0(VALU_DEP_1) | instskip(NEXT) | instid1(VALU_DEP_1)
	v_fma_f64 v[40:41], -v[16:17], v[18:19], 1.0
	v_fmac_f64_e32 v[18:19], v[18:19], v[40:41]
	s_delay_alu instid0(VALU_DEP_1) | instskip(NEXT) | instid1(VALU_DEP_1)
	v_mul_f64_e32 v[40:41], v[42:43], v[18:19]
	v_fma_f64 v[16:17], -v[16:17], v[40:41], v[42:43]
	s_delay_alu instid0(VALU_DEP_1) | instskip(NEXT) | instid1(VALU_DEP_1)
	v_div_fmas_f64 v[16:17], v[16:17], v[18:19], v[40:41]
	v_div_fixup_f64 v[16:17], v[16:17], v[22:23], v[20:21]
	s_delay_alu instid0(VALU_DEP_1) | instskip(NEXT) | instid1(VALU_DEP_1)
	v_fma_f64 v[18:19], v[20:21], v[16:17], v[22:23]
	v_div_scale_f64 v[40:41], null, v[18:19], v[18:19], 1.0
	v_div_scale_f64 v[46:47], vcc_lo, 1.0, v[18:19], 1.0
	s_delay_alu instid0(VALU_DEP_2) | instskip(SKIP_1) | instid1(TRANS32_DEP_1)
	v_rcp_f64_e32 v[42:43], v[40:41]
	v_nop
	v_fma_f64 v[44:45], -v[40:41], v[42:43], 1.0
	s_delay_alu instid0(VALU_DEP_1) | instskip(NEXT) | instid1(VALU_DEP_1)
	v_fmac_f64_e32 v[42:43], v[42:43], v[44:45]
	v_fma_f64 v[44:45], -v[40:41], v[42:43], 1.0
	s_delay_alu instid0(VALU_DEP_1) | instskip(NEXT) | instid1(VALU_DEP_1)
	v_fmac_f64_e32 v[42:43], v[42:43], v[44:45]
	v_mul_f64_e32 v[44:45], v[46:47], v[42:43]
	s_delay_alu instid0(VALU_DEP_1) | instskip(NEXT) | instid1(VALU_DEP_1)
	v_fma_f64 v[40:41], -v[40:41], v[44:45], v[46:47]
	v_div_fmas_f64 v[40:41], v[40:41], v[42:43], v[44:45]
	v_fma_f64 v[42:43], v[16:17], v[24:25], v[26:27]
	s_delay_alu instid0(VALU_DEP_2) | instskip(SKIP_1) | instid1(VALU_DEP_2)
	v_div_fixup_f64 v[18:19], v[40:41], v[18:19], 1.0
	v_fma_f64 v[40:41], v[16:17], v[26:27], -v[24:25]
	v_mul_f64_e32 v[16:17], v[42:43], v[18:19]
	s_delay_alu instid0(VALU_DEP_2)
	v_mul_f64_e32 v[18:19], v[40:41], v[18:19]
.LBB213_57:                             ;   in Loop: Header=BB213_48 Depth=2
	s_and_not1_b32 vcc_lo, exec_lo, s36
	s_cbranch_vccnz .LBB213_59
; %bb.58:                               ;   in Loop: Header=BB213_48 Depth=2
	v_div_scale_f64 v[16:17], null, v[20:21], v[20:21], v[22:23]
	v_div_scale_f64 v[42:43], vcc_lo, v[22:23], v[20:21], v[22:23]
	s_delay_alu instid0(VALU_DEP_2) | instskip(SKIP_1) | instid1(TRANS32_DEP_1)
	v_rcp_f64_e32 v[18:19], v[16:17]
	v_nop
	v_fma_f64 v[40:41], -v[16:17], v[18:19], 1.0
	s_delay_alu instid0(VALU_DEP_1) | instskip(NEXT) | instid1(VALU_DEP_1)
	v_fmac_f64_e32 v[18:19], v[18:19], v[40:41]
	v_fma_f64 v[40:41], -v[16:17], v[18:19], 1.0
	s_delay_alu instid0(VALU_DEP_1) | instskip(NEXT) | instid1(VALU_DEP_1)
	v_fmac_f64_e32 v[18:19], v[18:19], v[40:41]
	v_mul_f64_e32 v[40:41], v[42:43], v[18:19]
	s_delay_alu instid0(VALU_DEP_1) | instskip(NEXT) | instid1(VALU_DEP_1)
	v_fma_f64 v[16:17], -v[16:17], v[40:41], v[42:43]
	v_div_fmas_f64 v[16:17], v[16:17], v[18:19], v[40:41]
	s_delay_alu instid0(VALU_DEP_1) | instskip(NEXT) | instid1(VALU_DEP_1)
	v_div_fixup_f64 v[16:17], v[16:17], v[20:21], v[22:23]
	v_fmac_f64_e32 v[20:21], v[22:23], v[16:17]
	s_delay_alu instid0(VALU_DEP_1) | instskip(SKIP_1) | instid1(VALU_DEP_2)
	v_div_scale_f64 v[18:19], null, v[20:21], v[20:21], 1.0
	v_div_scale_f64 v[42:43], vcc_lo, 1.0, v[20:21], 1.0
	v_rcp_f64_e32 v[22:23], v[18:19]
	v_nop
	s_delay_alu instid0(TRANS32_DEP_1) | instskip(NEXT) | instid1(VALU_DEP_1)
	v_fma_f64 v[40:41], -v[18:19], v[22:23], 1.0
	v_fmac_f64_e32 v[22:23], v[22:23], v[40:41]
	s_delay_alu instid0(VALU_DEP_1) | instskip(NEXT) | instid1(VALU_DEP_1)
	v_fma_f64 v[40:41], -v[18:19], v[22:23], 1.0
	v_fmac_f64_e32 v[22:23], v[22:23], v[40:41]
	s_delay_alu instid0(VALU_DEP_1) | instskip(NEXT) | instid1(VALU_DEP_1)
	v_mul_f64_e32 v[40:41], v[42:43], v[22:23]
	v_fma_f64 v[18:19], -v[18:19], v[40:41], v[42:43]
	s_delay_alu instid0(VALU_DEP_1) | instskip(SKIP_1) | instid1(VALU_DEP_2)
	v_div_fmas_f64 v[18:19], v[18:19], v[22:23], v[40:41]
	v_fma_f64 v[22:23], v[16:17], v[26:27], v[24:25]
	v_div_fixup_f64 v[18:19], v[18:19], v[20:21], 1.0
	v_fma_f64 v[20:21], -v[16:17], v[24:25], v[26:27]
	s_delay_alu instid0(VALU_DEP_2) | instskip(NEXT) | instid1(VALU_DEP_2)
	v_mul_f64_e32 v[16:17], v[22:23], v[18:19]
	v_mul_f64_e32 v[18:19], v[20:21], v[18:19]
.LBB213_59:                             ;   in Loop: Header=BB213_48 Depth=2
	s_sub_co_i32 s36, s27, 32
	s_add_co_i32 s38, s25, -2
	v_mov_b32_e32 v20, s36
	s_add_co_i32 s36, s25, -1
	ds_store_b128 v39, v[16:19]
	s_lshl_b32 s39, s36, 4
	s_lshl_b32 s36, s38, 4
	s_sub_co_i32 s38, s37, s39
	s_delay_alu instid0(SALU_CYCLE_1) | instskip(NEXT) | instid1(SALU_CYCLE_1)
	s_add_co_i32 s37, s38, s36
	v_mov_b32_e32 v24, s37
	ds_load_b128 v[20:23], v20
	s_add_co_i32 s37, s27, 0xfffffe60
	ds_load_b128 v[24:27], v24
	s_wait_dscnt 0x1
	v_mul_f64_e32 v[40:41], v[14:15], v[22:23]
	v_mul_f64_e32 v[22:23], v[12:13], v[22:23]
	s_wait_dscnt 0x0
	v_mul_f64_e32 v[42:43], v[18:19], v[26:27]
	v_mul_f64_e32 v[26:27], v[16:17], v[26:27]
	s_delay_alu instid0(VALU_DEP_4) | instskip(NEXT) | instid1(VALU_DEP_4)
	v_fma_f64 v[40:41], v[12:13], v[20:21], -v[40:41]
	v_fmac_f64_e32 v[22:23], v[14:15], v[20:21]
	s_delay_alu instid0(VALU_DEP_4) | instskip(NEXT) | instid1(VALU_DEP_4)
	v_fma_f64 v[20:21], v[16:17], v[24:25], -v[42:43]
	v_fmac_f64_e32 v[26:27], v[18:19], v[24:25]
	s_delay_alu instid0(VALU_DEP_4) | instskip(NEXT) | instid1(VALU_DEP_4)
	v_add_f64_e64 v[24:25], v[8:9], -v[40:41]
	v_dual_add_f64 v[22:23], v[10:11], -v[22:23] :: v_dual_mov_b32 v8, s37
	ds_load_b128 v[8:11], v8
	s_wait_dscnt 0x0
	v_cmp_ngt_f64_e64 s39, |v[8:9]|, |v[10:11]|
	v_add_f64_e64 v[24:25], v[24:25], -v[20:21]
	v_add_f64_e64 v[26:27], v[22:23], -v[26:27]
                                        ; implicit-def: $vgpr22_vgpr23
	s_and_b32 vcc_lo, exec_lo, s39
	s_mov_b32 s39, -1
	s_cbranch_vccz .LBB213_61
; %bb.60:                               ;   in Loop: Header=BB213_48 Depth=2
	v_div_scale_f64 v[20:21], null, v[10:11], v[10:11], v[8:9]
	v_div_scale_f64 v[42:43], vcc_lo, v[8:9], v[10:11], v[8:9]
	s_mov_b32 s39, 0
	v_rcp_f64_e32 v[22:23], v[20:21]
	v_nop
	s_delay_alu instid0(TRANS32_DEP_1) | instskip(NEXT) | instid1(VALU_DEP_1)
	v_fma_f64 v[40:41], -v[20:21], v[22:23], 1.0
	v_fmac_f64_e32 v[22:23], v[22:23], v[40:41]
	s_delay_alu instid0(VALU_DEP_1) | instskip(NEXT) | instid1(VALU_DEP_1)
	v_fma_f64 v[40:41], -v[20:21], v[22:23], 1.0
	v_fmac_f64_e32 v[22:23], v[22:23], v[40:41]
	s_delay_alu instid0(VALU_DEP_1) | instskip(NEXT) | instid1(VALU_DEP_1)
	v_mul_f64_e32 v[40:41], v[42:43], v[22:23]
	v_fma_f64 v[20:21], -v[20:21], v[40:41], v[42:43]
	s_delay_alu instid0(VALU_DEP_1) | instskip(NEXT) | instid1(VALU_DEP_1)
	v_div_fmas_f64 v[20:21], v[20:21], v[22:23], v[40:41]
	v_div_fixup_f64 v[20:21], v[20:21], v[10:11], v[8:9]
	s_delay_alu instid0(VALU_DEP_1) | instskip(NEXT) | instid1(VALU_DEP_1)
	v_fma_f64 v[22:23], v[8:9], v[20:21], v[10:11]
	v_div_scale_f64 v[40:41], null, v[22:23], v[22:23], 1.0
	v_div_scale_f64 v[46:47], vcc_lo, 1.0, v[22:23], 1.0
	s_delay_alu instid0(VALU_DEP_2) | instskip(SKIP_1) | instid1(TRANS32_DEP_1)
	v_rcp_f64_e32 v[42:43], v[40:41]
	v_nop
	v_fma_f64 v[44:45], -v[40:41], v[42:43], 1.0
	s_delay_alu instid0(VALU_DEP_1) | instskip(NEXT) | instid1(VALU_DEP_1)
	v_fmac_f64_e32 v[42:43], v[42:43], v[44:45]
	v_fma_f64 v[44:45], -v[40:41], v[42:43], 1.0
	s_delay_alu instid0(VALU_DEP_1) | instskip(NEXT) | instid1(VALU_DEP_1)
	v_fmac_f64_e32 v[42:43], v[42:43], v[44:45]
	v_mul_f64_e32 v[44:45], v[46:47], v[42:43]
	s_delay_alu instid0(VALU_DEP_1) | instskip(NEXT) | instid1(VALU_DEP_1)
	v_fma_f64 v[40:41], -v[40:41], v[44:45], v[46:47]
	v_div_fmas_f64 v[40:41], v[40:41], v[42:43], v[44:45]
	v_fma_f64 v[42:43], v[20:21], v[24:25], v[26:27]
	s_delay_alu instid0(VALU_DEP_2) | instskip(SKIP_1) | instid1(VALU_DEP_2)
	v_div_fixup_f64 v[22:23], v[40:41], v[22:23], 1.0
	v_fma_f64 v[40:41], v[20:21], v[26:27], -v[24:25]
	v_mul_f64_e32 v[20:21], v[42:43], v[22:23]
	s_delay_alu instid0(VALU_DEP_2)
	v_mul_f64_e32 v[22:23], v[40:41], v[22:23]
.LBB213_61:                             ;   in Loop: Header=BB213_48 Depth=2
	s_and_not1_b32 vcc_lo, exec_lo, s39
	s_cbranch_vccnz .LBB213_63
; %bb.62:                               ;   in Loop: Header=BB213_48 Depth=2
	v_div_scale_f64 v[20:21], null, v[8:9], v[8:9], v[10:11]
	v_div_scale_f64 v[42:43], vcc_lo, v[10:11], v[8:9], v[10:11]
	s_delay_alu instid0(VALU_DEP_2) | instskip(SKIP_1) | instid1(TRANS32_DEP_1)
	v_rcp_f64_e32 v[22:23], v[20:21]
	v_nop
	v_fma_f64 v[40:41], -v[20:21], v[22:23], 1.0
	s_delay_alu instid0(VALU_DEP_1) | instskip(NEXT) | instid1(VALU_DEP_1)
	v_fmac_f64_e32 v[22:23], v[22:23], v[40:41]
	v_fma_f64 v[40:41], -v[20:21], v[22:23], 1.0
	s_delay_alu instid0(VALU_DEP_1) | instskip(NEXT) | instid1(VALU_DEP_1)
	v_fmac_f64_e32 v[22:23], v[22:23], v[40:41]
	v_mul_f64_e32 v[40:41], v[42:43], v[22:23]
	s_delay_alu instid0(VALU_DEP_1) | instskip(NEXT) | instid1(VALU_DEP_1)
	v_fma_f64 v[20:21], -v[20:21], v[40:41], v[42:43]
	v_div_fmas_f64 v[20:21], v[20:21], v[22:23], v[40:41]
	s_delay_alu instid0(VALU_DEP_1) | instskip(NEXT) | instid1(VALU_DEP_1)
	v_div_fixup_f64 v[20:21], v[20:21], v[8:9], v[10:11]
	v_fmac_f64_e32 v[8:9], v[10:11], v[20:21]
	s_delay_alu instid0(VALU_DEP_1) | instskip(SKIP_1) | instid1(VALU_DEP_2)
	v_div_scale_f64 v[10:11], null, v[8:9], v[8:9], 1.0
	v_div_scale_f64 v[42:43], vcc_lo, 1.0, v[8:9], 1.0
	v_rcp_f64_e32 v[22:23], v[10:11]
	v_nop
	s_delay_alu instid0(TRANS32_DEP_1) | instskip(NEXT) | instid1(VALU_DEP_1)
	v_fma_f64 v[40:41], -v[10:11], v[22:23], 1.0
	v_fmac_f64_e32 v[22:23], v[22:23], v[40:41]
	s_delay_alu instid0(VALU_DEP_1) | instskip(NEXT) | instid1(VALU_DEP_1)
	v_fma_f64 v[40:41], -v[10:11], v[22:23], 1.0
	v_fmac_f64_e32 v[22:23], v[22:23], v[40:41]
	s_delay_alu instid0(VALU_DEP_1) | instskip(NEXT) | instid1(VALU_DEP_1)
	v_mul_f64_e32 v[40:41], v[42:43], v[22:23]
	v_fma_f64 v[10:11], -v[10:11], v[40:41], v[42:43]
	s_delay_alu instid0(VALU_DEP_1) | instskip(SKIP_1) | instid1(VALU_DEP_2)
	v_div_fmas_f64 v[10:11], v[10:11], v[22:23], v[40:41]
	v_fma_f64 v[22:23], v[20:21], v[26:27], v[24:25]
	v_div_fixup_f64 v[8:9], v[10:11], v[8:9], 1.0
	v_fma_f64 v[10:11], -v[20:21], v[24:25], v[26:27]
	s_delay_alu instid0(VALU_DEP_2) | instskip(NEXT) | instid1(VALU_DEP_2)
	v_mul_f64_e32 v[20:21], v[22:23], v[8:9]
	v_mul_f64_e32 v[22:23], v[10:11], v[8:9]
.LBB213_63:                             ;   in Loop: Header=BB213_48 Depth=2
	s_sub_co_i32 s27, s27, 48
	s_lshl_b32 s26, s26, 4
	v_mov_b32_e32 v8, s27
	s_add_co_i32 s27, s38, s26
	ds_store_b128 v38, v[20:23]
	v_mov_b32_e32 v24, s27
	s_sub_co_i32 s27, s37, s36
	ds_load_b128 v[8:11], v8
	s_add_co_i32 s26, s27, s26
	ds_load_b128 v[24:27], v24
	s_wait_dscnt 0x1
	v_mul_f64_e32 v[40:41], v[14:15], v[10:11]
	v_mul_f64_e32 v[42:43], v[12:13], v[10:11]
	s_wait_dscnt 0x0
	v_mul_f64_e32 v[44:45], v[18:19], v[26:27]
	v_mul_f64_e32 v[26:27], v[16:17], v[26:27]
	s_delay_alu instid0(VALU_DEP_4) | instskip(NEXT) | instid1(VALU_DEP_4)
	v_fma_f64 v[40:41], v[12:13], v[8:9], -v[40:41]
	v_fmac_f64_e32 v[42:43], v[14:15], v[8:9]
	s_delay_alu instid0(VALU_DEP_4) | instskip(NEXT) | instid1(VALU_DEP_4)
	v_dual_fma_f64 v[16:17], v[16:17], v[24:25], -v[44:45] :: v_dual_mov_b32 v8, s26
	v_fmac_f64_e32 v[26:27], v[18:19], v[24:25]
	s_add_co_i32 s26, s37, 0xffffff30
	ds_load_b128 v[12:15], v8
	v_mov_b32_e32 v8, s26
	ds_load_b128 v[8:11], v8
	s_wait_dscnt 0x1
	v_mul_f64_e32 v[46:47], v[22:23], v[14:15]
	v_mul_f64_e32 v[14:15], v[20:21], v[14:15]
	v_add_f64_e64 v[4:5], v[4:5], -v[40:41]
	v_add_f64_e64 v[6:7], v[6:7], -v[42:43]
	s_wait_dscnt 0x0
	v_cmp_ngt_f64_e64 s26, |v[8:9]|, |v[10:11]|
	v_fma_f64 v[18:19], v[20:21], v[12:13], -v[46:47]
	v_fmac_f64_e32 v[14:15], v[22:23], v[12:13]
	v_add_f64_e64 v[4:5], v[4:5], -v[16:17]
	v_add_f64_e64 v[6:7], v[6:7], -v[26:27]
	s_and_b32 vcc_lo, exec_lo, s26
	s_mov_b32 s26, -1
	s_delay_alu instid0(VALU_DEP_2) | instskip(NEXT) | instid1(VALU_DEP_2)
	v_add_f64_e64 v[12:13], v[4:5], -v[18:19]
	v_add_f64_e64 v[14:15], v[6:7], -v[14:15]
                                        ; implicit-def: $vgpr6_vgpr7
	s_cbranch_vccz .LBB213_65
; %bb.64:                               ;   in Loop: Header=BB213_48 Depth=2
	v_div_scale_f64 v[4:5], null, v[10:11], v[10:11], v[8:9]
	v_div_scale_f64 v[18:19], vcc_lo, v[8:9], v[10:11], v[8:9]
	s_mov_b32 s26, 0
	v_rcp_f64_e32 v[6:7], v[4:5]
	v_nop
	s_delay_alu instid0(TRANS32_DEP_1) | instskip(NEXT) | instid1(VALU_DEP_1)
	v_fma_f64 v[16:17], -v[4:5], v[6:7], 1.0
	v_fmac_f64_e32 v[6:7], v[6:7], v[16:17]
	s_delay_alu instid0(VALU_DEP_1) | instskip(NEXT) | instid1(VALU_DEP_1)
	v_fma_f64 v[16:17], -v[4:5], v[6:7], 1.0
	v_fmac_f64_e32 v[6:7], v[6:7], v[16:17]
	s_delay_alu instid0(VALU_DEP_1) | instskip(NEXT) | instid1(VALU_DEP_1)
	v_mul_f64_e32 v[16:17], v[18:19], v[6:7]
	v_fma_f64 v[4:5], -v[4:5], v[16:17], v[18:19]
	s_delay_alu instid0(VALU_DEP_1) | instskip(NEXT) | instid1(VALU_DEP_1)
	v_div_fmas_f64 v[4:5], v[4:5], v[6:7], v[16:17]
	v_div_fixup_f64 v[4:5], v[4:5], v[10:11], v[8:9]
	s_delay_alu instid0(VALU_DEP_1) | instskip(NEXT) | instid1(VALU_DEP_1)
	v_fma_f64 v[6:7], v[8:9], v[4:5], v[10:11]
	v_div_scale_f64 v[16:17], null, v[6:7], v[6:7], 1.0
	v_div_scale_f64 v[22:23], vcc_lo, 1.0, v[6:7], 1.0
	s_delay_alu instid0(VALU_DEP_2) | instskip(SKIP_1) | instid1(TRANS32_DEP_1)
	v_rcp_f64_e32 v[18:19], v[16:17]
	v_nop
	v_fma_f64 v[20:21], -v[16:17], v[18:19], 1.0
	s_delay_alu instid0(VALU_DEP_1) | instskip(NEXT) | instid1(VALU_DEP_1)
	v_fmac_f64_e32 v[18:19], v[18:19], v[20:21]
	v_fma_f64 v[20:21], -v[16:17], v[18:19], 1.0
	s_delay_alu instid0(VALU_DEP_1) | instskip(NEXT) | instid1(VALU_DEP_1)
	v_fmac_f64_e32 v[18:19], v[18:19], v[20:21]
	v_mul_f64_e32 v[20:21], v[22:23], v[18:19]
	s_delay_alu instid0(VALU_DEP_1) | instskip(NEXT) | instid1(VALU_DEP_1)
	v_fma_f64 v[16:17], -v[16:17], v[20:21], v[22:23]
	v_div_fmas_f64 v[16:17], v[16:17], v[18:19], v[20:21]
	v_fma_f64 v[18:19], v[4:5], v[12:13], v[14:15]
	s_delay_alu instid0(VALU_DEP_2) | instskip(SKIP_1) | instid1(VALU_DEP_2)
	v_div_fixup_f64 v[6:7], v[16:17], v[6:7], 1.0
	v_fma_f64 v[16:17], v[4:5], v[14:15], -v[12:13]
	v_mul_f64_e32 v[4:5], v[18:19], v[6:7]
	s_delay_alu instid0(VALU_DEP_2)
	v_mul_f64_e32 v[6:7], v[16:17], v[6:7]
.LBB213_65:                             ;   in Loop: Header=BB213_48 Depth=2
	s_and_not1_b32 vcc_lo, exec_lo, s26
	s_cbranch_vccnz .LBB213_67
; %bb.66:                               ;   in Loop: Header=BB213_48 Depth=2
	v_div_scale_f64 v[4:5], null, v[8:9], v[8:9], v[10:11]
	v_div_scale_f64 v[18:19], vcc_lo, v[10:11], v[8:9], v[10:11]
	s_delay_alu instid0(VALU_DEP_2) | instskip(SKIP_1) | instid1(TRANS32_DEP_1)
	v_rcp_f64_e32 v[6:7], v[4:5]
	v_nop
	v_fma_f64 v[16:17], -v[4:5], v[6:7], 1.0
	s_delay_alu instid0(VALU_DEP_1) | instskip(NEXT) | instid1(VALU_DEP_1)
	v_fmac_f64_e32 v[6:7], v[6:7], v[16:17]
	v_fma_f64 v[16:17], -v[4:5], v[6:7], 1.0
	s_delay_alu instid0(VALU_DEP_1) | instskip(NEXT) | instid1(VALU_DEP_1)
	v_fmac_f64_e32 v[6:7], v[6:7], v[16:17]
	v_mul_f64_e32 v[16:17], v[18:19], v[6:7]
	s_delay_alu instid0(VALU_DEP_1) | instskip(NEXT) | instid1(VALU_DEP_1)
	v_fma_f64 v[4:5], -v[4:5], v[16:17], v[18:19]
	v_div_fmas_f64 v[4:5], v[4:5], v[6:7], v[16:17]
	s_delay_alu instid0(VALU_DEP_1) | instskip(NEXT) | instid1(VALU_DEP_1)
	v_div_fixup_f64 v[4:5], v[4:5], v[8:9], v[10:11]
	v_fmac_f64_e32 v[8:9], v[10:11], v[4:5]
	s_delay_alu instid0(VALU_DEP_1) | instskip(SKIP_1) | instid1(VALU_DEP_2)
	v_div_scale_f64 v[6:7], null, v[8:9], v[8:9], 1.0
	v_div_scale_f64 v[18:19], vcc_lo, 1.0, v[8:9], 1.0
	v_rcp_f64_e32 v[10:11], v[6:7]
	v_nop
	s_delay_alu instid0(TRANS32_DEP_1) | instskip(NEXT) | instid1(VALU_DEP_1)
	v_fma_f64 v[16:17], -v[6:7], v[10:11], 1.0
	v_fmac_f64_e32 v[10:11], v[10:11], v[16:17]
	s_delay_alu instid0(VALU_DEP_1) | instskip(NEXT) | instid1(VALU_DEP_1)
	v_fma_f64 v[16:17], -v[6:7], v[10:11], 1.0
	v_fmac_f64_e32 v[10:11], v[10:11], v[16:17]
	s_delay_alu instid0(VALU_DEP_1) | instskip(NEXT) | instid1(VALU_DEP_1)
	v_mul_f64_e32 v[16:17], v[18:19], v[10:11]
	v_fma_f64 v[6:7], -v[6:7], v[16:17], v[18:19]
	s_delay_alu instid0(VALU_DEP_1) | instskip(SKIP_1) | instid1(VALU_DEP_2)
	v_div_fmas_f64 v[6:7], v[6:7], v[10:11], v[16:17]
	v_fma_f64 v[10:11], v[4:5], v[14:15], v[12:13]
	v_div_fixup_f64 v[6:7], v[6:7], v[8:9], 1.0
	v_fma_f64 v[8:9], -v[4:5], v[12:13], v[14:15]
	s_delay_alu instid0(VALU_DEP_2) | instskip(NEXT) | instid1(VALU_DEP_2)
	v_mul_f64_e32 v[4:5], v[10:11], v[6:7]
	v_mul_f64_e32 v[6:7], v[8:9], v[6:7]
.LBB213_67:                             ;   in Loop: Header=BB213_48 Depth=2
	s_add_co_i32 s26, s25, -4
	s_sub_co_i32 s24, s24, 64
	s_cmp_lt_i32 s25, 7
	ds_store_b128 v37, v[4:7]
	s_cbranch_scc1 .LBB213_69
; %bb.68:                               ;   in Loop: Header=BB213_48 Depth=2
	s_mov_b32 s25, s26
	s_branch .LBB213_48
.LBB213_69:                             ;   in Loop: Header=BB213_3 Depth=1
	s_cmp_lt_i32 s26, 0
	s_cbranch_scc1 .LBB213_78
; %bb.70:                               ;   in Loop: Header=BB213_3 Depth=1
	s_lshl_b32 s24, s26, 4
	s_delay_alu instid0(SALU_CYCLE_1)
	s_add_co_i32 s24, s19, s24
	s_branch .LBB213_72
.LBB213_71:                             ;   in Loop: Header=BB213_72 Depth=2
	s_add_co_i32 s25, s26, -1
	s_add_co_i32 s24, s24, -16
	s_cmp_lt_i32 s26, 1
	s_mov_b32 s26, s25
	ds_store_b128 v16, v[12:15]
	s_cbranch_scc1 .LBB213_78
.LBB213_72:                             ;   Parent Loop BB213_3 Depth=1
                                        ; =>  This Loop Header: Depth=2
                                        ;       Child Loop BB213_73 Depth 3
	s_mul_i32 s25, s26, 0xc0
	s_cmp_le_i32 s30, s26
	v_dual_add_nc_u32 v16, s25, v34 :: v_dual_mov_b32 v8, v35
	s_mov_b32 s27, s24
	s_mov_b32 s36, s30
	ds_load_b128 v[4:7], v16
	s_cbranch_scc1 .LBB213_74
.LBB213_73:                             ;   Parent Loop BB213_3 Depth=1
                                        ;     Parent Loop BB213_72 Depth=2
                                        ; =>    This Inner Loop Header: Depth=3
	v_mov_b32_e32 v9, s27
	s_add_co_i32 s36, s36, -1
	s_addk_co_i32 s27, 0xff40
	s_cmp_le_i32 s36, s26
	ds_load_b128 v[10:13], v8
	ds_load_b128 v[18:21], v9
	v_add_nc_u32_e32 v8, 0xffffff40, v8
	s_wait_dscnt 0x0
	v_mul_f64_e32 v[14:15], v[20:21], v[12:13]
	v_mul_f64_e32 v[12:13], v[18:19], v[12:13]
	s_delay_alu instid0(VALU_DEP_2) | instskip(NEXT) | instid1(VALU_DEP_2)
	v_fma_f64 v[14:15], v[18:19], v[10:11], -v[14:15]
	v_fmac_f64_e32 v[12:13], v[20:21], v[10:11]
	s_delay_alu instid0(VALU_DEP_2) | instskip(NEXT) | instid1(VALU_DEP_2)
	v_add_f64_e64 v[4:5], v[4:5], -v[14:15]
	v_add_f64_e64 v[6:7], v[6:7], -v[12:13]
	s_cbranch_scc0 .LBB213_73
.LBB213_74:                             ;   in Loop: Header=BB213_72 Depth=2
	s_lshl_b32 s27, s26, 4
                                        ; implicit-def: $vgpr12_vgpr13
	s_delay_alu instid0(SALU_CYCLE_1) | instskip(NEXT) | instid1(SALU_CYCLE_1)
	s_add_co_i32 s25, s27, s25
	v_mov_b32_e32 v8, s25
	ds_load_b128 v[8:11], v8
	s_wait_dscnt 0x0
	v_cmp_ngt_f64_e64 s25, |v[8:9]|, |v[10:11]|
	s_and_b32 vcc_lo, exec_lo, s25
	s_mov_b32 s25, -1
	s_cbranch_vccz .LBB213_76
; %bb.75:                               ;   in Loop: Header=BB213_72 Depth=2
	v_div_scale_f64 v[12:13], null, v[10:11], v[10:11], v[8:9]
	v_div_scale_f64 v[20:21], vcc_lo, v[8:9], v[10:11], v[8:9]
	s_mov_b32 s25, 0
	v_rcp_f64_e32 v[14:15], v[12:13]
	v_nop
	s_delay_alu instid0(TRANS32_DEP_1) | instskip(NEXT) | instid1(VALU_DEP_1)
	v_fma_f64 v[18:19], -v[12:13], v[14:15], 1.0
	v_fmac_f64_e32 v[14:15], v[14:15], v[18:19]
	s_delay_alu instid0(VALU_DEP_1) | instskip(NEXT) | instid1(VALU_DEP_1)
	v_fma_f64 v[18:19], -v[12:13], v[14:15], 1.0
	v_fmac_f64_e32 v[14:15], v[14:15], v[18:19]
	s_delay_alu instid0(VALU_DEP_1) | instskip(NEXT) | instid1(VALU_DEP_1)
	v_mul_f64_e32 v[18:19], v[20:21], v[14:15]
	v_fma_f64 v[12:13], -v[12:13], v[18:19], v[20:21]
	s_delay_alu instid0(VALU_DEP_1) | instskip(NEXT) | instid1(VALU_DEP_1)
	v_div_fmas_f64 v[12:13], v[12:13], v[14:15], v[18:19]
	v_div_fixup_f64 v[12:13], v[12:13], v[10:11], v[8:9]
	s_delay_alu instid0(VALU_DEP_1) | instskip(NEXT) | instid1(VALU_DEP_1)
	v_fma_f64 v[14:15], v[8:9], v[12:13], v[10:11]
	v_div_scale_f64 v[18:19], null, v[14:15], v[14:15], 1.0
	v_div_scale_f64 v[24:25], vcc_lo, 1.0, v[14:15], 1.0
	s_delay_alu instid0(VALU_DEP_2) | instskip(SKIP_1) | instid1(TRANS32_DEP_1)
	v_rcp_f64_e32 v[20:21], v[18:19]
	v_nop
	v_fma_f64 v[22:23], -v[18:19], v[20:21], 1.0
	s_delay_alu instid0(VALU_DEP_1) | instskip(NEXT) | instid1(VALU_DEP_1)
	v_fmac_f64_e32 v[20:21], v[20:21], v[22:23]
	v_fma_f64 v[22:23], -v[18:19], v[20:21], 1.0
	s_delay_alu instid0(VALU_DEP_1) | instskip(NEXT) | instid1(VALU_DEP_1)
	v_fmac_f64_e32 v[20:21], v[20:21], v[22:23]
	v_mul_f64_e32 v[22:23], v[24:25], v[20:21]
	s_delay_alu instid0(VALU_DEP_1) | instskip(NEXT) | instid1(VALU_DEP_1)
	v_fma_f64 v[18:19], -v[18:19], v[22:23], v[24:25]
	v_div_fmas_f64 v[18:19], v[18:19], v[20:21], v[22:23]
	v_fma_f64 v[20:21], v[4:5], v[12:13], v[6:7]
	s_delay_alu instid0(VALU_DEP_2) | instskip(SKIP_1) | instid1(VALU_DEP_2)
	v_div_fixup_f64 v[14:15], v[18:19], v[14:15], 1.0
	v_fma_f64 v[18:19], v[6:7], v[12:13], -v[4:5]
	v_mul_f64_e32 v[12:13], v[20:21], v[14:15]
	s_delay_alu instid0(VALU_DEP_2)
	v_mul_f64_e32 v[14:15], v[18:19], v[14:15]
.LBB213_76:                             ;   in Loop: Header=BB213_72 Depth=2
	s_and_not1_b32 vcc_lo, exec_lo, s25
	s_cbranch_vccnz .LBB213_71
; %bb.77:                               ;   in Loop: Header=BB213_72 Depth=2
	v_div_scale_f64 v[12:13], null, v[8:9], v[8:9], v[10:11]
	v_div_scale_f64 v[20:21], vcc_lo, v[10:11], v[8:9], v[10:11]
	s_delay_alu instid0(VALU_DEP_2) | instskip(SKIP_1) | instid1(TRANS32_DEP_1)
	v_rcp_f64_e32 v[14:15], v[12:13]
	v_nop
	v_fma_f64 v[18:19], -v[12:13], v[14:15], 1.0
	s_delay_alu instid0(VALU_DEP_1) | instskip(NEXT) | instid1(VALU_DEP_1)
	v_fmac_f64_e32 v[14:15], v[14:15], v[18:19]
	v_fma_f64 v[18:19], -v[12:13], v[14:15], 1.0
	s_delay_alu instid0(VALU_DEP_1) | instskip(NEXT) | instid1(VALU_DEP_1)
	v_fmac_f64_e32 v[14:15], v[14:15], v[18:19]
	v_mul_f64_e32 v[18:19], v[20:21], v[14:15]
	s_delay_alu instid0(VALU_DEP_1) | instskip(NEXT) | instid1(VALU_DEP_1)
	v_fma_f64 v[12:13], -v[12:13], v[18:19], v[20:21]
	v_div_fmas_f64 v[12:13], v[12:13], v[14:15], v[18:19]
	s_delay_alu instid0(VALU_DEP_1) | instskip(NEXT) | instid1(VALU_DEP_1)
	v_div_fixup_f64 v[12:13], v[12:13], v[8:9], v[10:11]
	v_fmac_f64_e32 v[8:9], v[10:11], v[12:13]
	s_delay_alu instid0(VALU_DEP_1) | instskip(SKIP_1) | instid1(VALU_DEP_2)
	v_div_scale_f64 v[10:11], null, v[8:9], v[8:9], 1.0
	v_div_scale_f64 v[20:21], vcc_lo, 1.0, v[8:9], 1.0
	v_rcp_f64_e32 v[14:15], v[10:11]
	v_nop
	s_delay_alu instid0(TRANS32_DEP_1) | instskip(NEXT) | instid1(VALU_DEP_1)
	v_fma_f64 v[18:19], -v[10:11], v[14:15], 1.0
	v_fmac_f64_e32 v[14:15], v[14:15], v[18:19]
	s_delay_alu instid0(VALU_DEP_1) | instskip(NEXT) | instid1(VALU_DEP_1)
	v_fma_f64 v[18:19], -v[10:11], v[14:15], 1.0
	v_fmac_f64_e32 v[14:15], v[14:15], v[18:19]
	s_delay_alu instid0(VALU_DEP_1) | instskip(NEXT) | instid1(VALU_DEP_1)
	v_mul_f64_e32 v[18:19], v[20:21], v[14:15]
	v_fma_f64 v[10:11], -v[10:11], v[18:19], v[20:21]
	s_delay_alu instid0(VALU_DEP_1) | instskip(SKIP_2) | instid1(VALU_DEP_3)
	v_div_fmas_f64 v[10:11], v[10:11], v[14:15], v[18:19]
	v_fma_f64 v[14:15], v[6:7], v[12:13], v[4:5]
	v_fma_f64 v[4:5], -v[4:5], v[12:13], v[6:7]
	v_div_fixup_f64 v[8:9], v[10:11], v[8:9], 1.0
	s_delay_alu instid0(VALU_DEP_1) | instskip(NEXT) | instid1(VALU_DEP_3)
	v_mul_f64_e32 v[12:13], v[14:15], v[8:9]
	v_mul_f64_e32 v[14:15], v[4:5], v[8:9]
	s_branch .LBB213_71
.LBB213_78:                             ;   in Loop: Header=BB213_3 Depth=1
	s_mov_b32 s24, 0
.LBB213_79:                             ;   in Loop: Header=BB213_3 Depth=1
	s_delay_alu instid0(SALU_CYCLE_1)
	s_and_not1_b32 vcc_lo, exec_lo, s24
	s_cbranch_vccnz .LBB213_110
; %bb.80:                               ;   in Loop: Header=BB213_3 Depth=1
	s_mov_b32 s26, s30
	s_and_not1_b32 vcc_lo, exec_lo, s34
	s_mov_b32 s24, s20
	s_mov_b32 s25, s30
	s_cbranch_vccnz .LBB213_101
.LBB213_81:                             ;   Parent Loop BB213_3 Depth=1
                                        ; =>  This Loop Header: Depth=2
                                        ;       Child Loop BB213_82 Depth 3
	s_mul_i32 s26, s25, 12
	s_cmp_le_i32 s30, s25
	v_lshl_add_u32 v40, s26, 4, v34
	s_mov_b32 s27, s24
	s_mov_b32 s36, s30
	s_delay_alu instid0(VALU_DEP_1)
	v_dual_mov_b32 v12, v35 :: v_dual_add_nc_u32 v39, 0xffffff40, v40
	v_add_nc_u32_e32 v38, 0xfffffe80, v40
	v_add_nc_u32_e32 v37, 0xfffffdc0, v40
	ds_load_b128 v[20:23], v40
	ds_load_b128 v[16:19], v39
	;; [unrolled: 1-line block ×4, first 2 shown]
	s_cbranch_scc1 .LBB213_83
.LBB213_82:                             ;   Parent Loop BB213_3 Depth=1
                                        ;     Parent Loop BB213_81 Depth=2
                                        ; =>    This Inner Loop Header: Depth=3
	ds_load_b128 v[24:27], v12
	v_dual_mov_b32 v13, s27 :: v_dual_add_nc_u32 v12, 0xffffff40, v12
	s_add_co_i32 s36, s36, -1
	s_add_co_i32 s27, s27, -16
	s_cmp_le_i32 s36, s25
	ds_load_b128 v[42:45], v13 offset:576
	s_wait_dscnt 0x0
	v_mul_f64_e32 v[14:15], v[26:27], v[44:45]
	v_mul_f64_e32 v[44:45], v[24:25], v[44:45]
	s_delay_alu instid0(VALU_DEP_2) | instskip(NEXT) | instid1(VALU_DEP_2)
	v_fma_f64 v[14:15], v[24:25], v[42:43], -v[14:15]
	v_fmac_f64_e32 v[44:45], v[26:27], v[42:43]
	s_delay_alu instid0(VALU_DEP_2) | instskip(NEXT) | instid1(VALU_DEP_2)
	v_add_f64_e64 v[20:21], v[20:21], -v[14:15]
	v_add_f64_e64 v[22:23], v[22:23], -v[44:45]
	ds_load_b128 v[42:45], v13 offset:384
	s_wait_dscnt 0x0
	v_mul_f64_e32 v[14:15], v[26:27], v[44:45]
	v_mul_f64_e32 v[44:45], v[24:25], v[44:45]
	s_delay_alu instid0(VALU_DEP_2) | instskip(NEXT) | instid1(VALU_DEP_2)
	v_fma_f64 v[14:15], v[24:25], v[42:43], -v[14:15]
	v_fmac_f64_e32 v[44:45], v[26:27], v[42:43]
	s_delay_alu instid0(VALU_DEP_2) | instskip(NEXT) | instid1(VALU_DEP_2)
	v_add_f64_e64 v[16:17], v[16:17], -v[14:15]
	v_add_f64_e64 v[18:19], v[18:19], -v[44:45]
	;; [unrolled: 10-line block ×3, first 2 shown]
	ds_load_b128 v[42:45], v13
	s_wait_dscnt 0x0
	v_mul_f64_e32 v[14:15], v[26:27], v[44:45]
	s_delay_alu instid0(VALU_DEP_1) | instskip(SKIP_1) | instid1(VALU_DEP_2)
	v_fma_f64 v[14:15], v[24:25], v[42:43], -v[14:15]
	v_mul_f64_e32 v[24:25], v[24:25], v[44:45]
	v_add_f64_e64 v[4:5], v[4:5], -v[14:15]
	s_delay_alu instid0(VALU_DEP_2) | instskip(NEXT) | instid1(VALU_DEP_1)
	v_fmac_f64_e32 v[24:25], v[26:27], v[42:43]
	v_add_f64_e64 v[6:7], v[6:7], -v[24:25]
	s_cbranch_scc0 .LBB213_82
.LBB213_83:                             ;   in Loop: Header=BB213_81 Depth=2
	s_mul_i32 s27, s25, 0xd0
	s_delay_alu instid0(SALU_CYCLE_1)
	v_mov_b32_e32 v12, s27
	ds_load_b128 v[24:27], v12
                                        ; implicit-def: $vgpr14_vgpr15
	s_wait_dscnt 0x0
	v_cmp_ngt_f64_e64 s27, |v[24:25]|, |v[26:27]|
	s_and_b32 vcc_lo, exec_lo, s27
	s_mov_b32 s27, -1
	s_cbranch_vccz .LBB213_85
; %bb.84:                               ;   in Loop: Header=BB213_81 Depth=2
	v_div_scale_f64 v[12:13], null, v[26:27], v[26:27], v[24:25]
	v_div_scale_f64 v[44:45], vcc_lo, v[24:25], v[26:27], v[24:25]
	s_mov_b32 s27, 0
	v_rcp_f64_e32 v[14:15], v[12:13]
	v_nop
	s_delay_alu instid0(TRANS32_DEP_1) | instskip(NEXT) | instid1(VALU_DEP_1)
	v_fma_f64 v[42:43], -v[12:13], v[14:15], 1.0
	v_fmac_f64_e32 v[14:15], v[14:15], v[42:43]
	s_delay_alu instid0(VALU_DEP_1) | instskip(NEXT) | instid1(VALU_DEP_1)
	v_fma_f64 v[42:43], -v[12:13], v[14:15], 1.0
	v_fmac_f64_e32 v[14:15], v[14:15], v[42:43]
	s_delay_alu instid0(VALU_DEP_1) | instskip(NEXT) | instid1(VALU_DEP_1)
	v_mul_f64_e32 v[42:43], v[44:45], v[14:15]
	v_fma_f64 v[12:13], -v[12:13], v[42:43], v[44:45]
	s_delay_alu instid0(VALU_DEP_1) | instskip(NEXT) | instid1(VALU_DEP_1)
	v_div_fmas_f64 v[12:13], v[12:13], v[14:15], v[42:43]
	v_div_fixup_f64 v[12:13], v[12:13], v[26:27], v[24:25]
	s_delay_alu instid0(VALU_DEP_1) | instskip(NEXT) | instid1(VALU_DEP_1)
	v_fma_f64 v[14:15], v[24:25], v[12:13], v[26:27]
	v_div_scale_f64 v[42:43], null, v[14:15], v[14:15], 1.0
	v_div_scale_f64 v[48:49], vcc_lo, 1.0, v[14:15], 1.0
	s_delay_alu instid0(VALU_DEP_2) | instskip(SKIP_1) | instid1(TRANS32_DEP_1)
	v_rcp_f64_e32 v[44:45], v[42:43]
	v_nop
	v_fma_f64 v[46:47], -v[42:43], v[44:45], 1.0
	s_delay_alu instid0(VALU_DEP_1) | instskip(NEXT) | instid1(VALU_DEP_1)
	v_fmac_f64_e32 v[44:45], v[44:45], v[46:47]
	v_fma_f64 v[46:47], -v[42:43], v[44:45], 1.0
	s_delay_alu instid0(VALU_DEP_1) | instskip(NEXT) | instid1(VALU_DEP_1)
	v_fmac_f64_e32 v[44:45], v[44:45], v[46:47]
	v_mul_f64_e32 v[46:47], v[48:49], v[44:45]
	s_delay_alu instid0(VALU_DEP_1) | instskip(NEXT) | instid1(VALU_DEP_1)
	v_fma_f64 v[42:43], -v[42:43], v[46:47], v[48:49]
	v_div_fmas_f64 v[42:43], v[42:43], v[44:45], v[46:47]
	v_fma_f64 v[44:45], v[20:21], v[12:13], v[22:23]
	s_delay_alu instid0(VALU_DEP_2) | instskip(SKIP_1) | instid1(VALU_DEP_2)
	v_div_fixup_f64 v[14:15], v[42:43], v[14:15], 1.0
	v_fma_f64 v[42:43], v[22:23], v[12:13], -v[20:21]
	v_mul_f64_e32 v[12:13], v[44:45], v[14:15]
	s_delay_alu instid0(VALU_DEP_2)
	v_mul_f64_e32 v[14:15], v[42:43], v[14:15]
.LBB213_85:                             ;   in Loop: Header=BB213_81 Depth=2
	s_and_not1_b32 vcc_lo, exec_lo, s27
	s_cbranch_vccnz .LBB213_87
; %bb.86:                               ;   in Loop: Header=BB213_81 Depth=2
	v_div_scale_f64 v[12:13], null, v[24:25], v[24:25], v[26:27]
	v_div_scale_f64 v[44:45], vcc_lo, v[26:27], v[24:25], v[26:27]
	s_delay_alu instid0(VALU_DEP_2) | instskip(SKIP_1) | instid1(TRANS32_DEP_1)
	v_rcp_f64_e32 v[14:15], v[12:13]
	v_nop
	v_fma_f64 v[42:43], -v[12:13], v[14:15], 1.0
	s_delay_alu instid0(VALU_DEP_1) | instskip(NEXT) | instid1(VALU_DEP_1)
	v_fmac_f64_e32 v[14:15], v[14:15], v[42:43]
	v_fma_f64 v[42:43], -v[12:13], v[14:15], 1.0
	s_delay_alu instid0(VALU_DEP_1) | instskip(NEXT) | instid1(VALU_DEP_1)
	v_fmac_f64_e32 v[14:15], v[14:15], v[42:43]
	v_mul_f64_e32 v[42:43], v[44:45], v[14:15]
	s_delay_alu instid0(VALU_DEP_1) | instskip(NEXT) | instid1(VALU_DEP_1)
	v_fma_f64 v[12:13], -v[12:13], v[42:43], v[44:45]
	v_div_fmas_f64 v[12:13], v[12:13], v[14:15], v[42:43]
	s_delay_alu instid0(VALU_DEP_1) | instskip(NEXT) | instid1(VALU_DEP_1)
	v_div_fixup_f64 v[12:13], v[12:13], v[24:25], v[26:27]
	v_fmac_f64_e32 v[24:25], v[26:27], v[12:13]
	s_delay_alu instid0(VALU_DEP_1) | instskip(SKIP_1) | instid1(VALU_DEP_2)
	v_div_scale_f64 v[14:15], null, v[24:25], v[24:25], 1.0
	v_div_scale_f64 v[44:45], vcc_lo, 1.0, v[24:25], 1.0
	v_rcp_f64_e32 v[26:27], v[14:15]
	v_nop
	s_delay_alu instid0(TRANS32_DEP_1) | instskip(NEXT) | instid1(VALU_DEP_1)
	v_fma_f64 v[42:43], -v[14:15], v[26:27], 1.0
	v_fmac_f64_e32 v[26:27], v[26:27], v[42:43]
	s_delay_alu instid0(VALU_DEP_1) | instskip(NEXT) | instid1(VALU_DEP_1)
	v_fma_f64 v[42:43], -v[14:15], v[26:27], 1.0
	v_fmac_f64_e32 v[26:27], v[26:27], v[42:43]
	s_delay_alu instid0(VALU_DEP_1) | instskip(NEXT) | instid1(VALU_DEP_1)
	v_mul_f64_e32 v[42:43], v[44:45], v[26:27]
	v_fma_f64 v[14:15], -v[14:15], v[42:43], v[44:45]
	s_delay_alu instid0(VALU_DEP_1) | instskip(SKIP_2) | instid1(VALU_DEP_3)
	v_div_fmas_f64 v[14:15], v[14:15], v[26:27], v[42:43]
	v_fma_f64 v[26:27], v[22:23], v[12:13], v[20:21]
	v_fma_f64 v[20:21], -v[20:21], v[12:13], v[22:23]
	v_div_fixup_f64 v[14:15], v[14:15], v[24:25], 1.0
	s_delay_alu instid0(VALU_DEP_1) | instskip(NEXT) | instid1(VALU_DEP_3)
	v_mul_f64_e32 v[12:13], v[26:27], v[14:15]
	v_mul_f64_e32 v[14:15], v[20:21], v[14:15]
.LBB213_87:                             ;   in Loop: Header=BB213_81 Depth=2
	s_lshl_b32 s27, s26, 4
	s_lshl_b32 s26, s25, 4
	s_addk_co_i32 s27, 0xff40
	ds_store_b128 v40, v[12:15]
	s_add_co_i32 s36, s27, s26
	s_delay_alu instid0(SALU_CYCLE_1)
	v_mov_b32_e32 v20, s36
	s_add_co_i32 s36, s36, -16
	ds_load_b128 v[24:27], v20
	s_wait_dscnt 0x0
	v_dual_mul_f64 v[42:43], v[14:15], v[26:27] :: v_dual_mov_b32 v20, s36
	v_mul_f64_e32 v[26:27], v[12:13], v[26:27]
	ds_load_b128 v[20:23], v20
	s_wait_dscnt 0x0
	v_cmp_ngt_f64_e64 s36, |v[20:21]|, |v[22:23]|
	v_fma_f64 v[42:43], v[12:13], v[24:25], -v[42:43]
	v_fmac_f64_e32 v[26:27], v[14:15], v[24:25]
	s_and_b32 vcc_lo, exec_lo, s36
	s_mov_b32 s36, -1
	s_delay_alu instid0(VALU_DEP_2) | instskip(NEXT) | instid1(VALU_DEP_2)
	v_add_f64_e64 v[24:25], v[16:17], -v[42:43]
	v_add_f64_e64 v[26:27], v[18:19], -v[26:27]
                                        ; implicit-def: $vgpr18_vgpr19
	s_cbranch_vccz .LBB213_89
; %bb.88:                               ;   in Loop: Header=BB213_81 Depth=2
	v_div_scale_f64 v[16:17], null, v[22:23], v[22:23], v[20:21]
	v_div_scale_f64 v[42:43], vcc_lo, v[20:21], v[22:23], v[20:21]
	s_mov_b32 s36, 0
	v_rcp_f64_e32 v[18:19], v[16:17]
	v_nop
	s_delay_alu instid0(TRANS32_DEP_1) | instskip(NEXT) | instid1(VALU_DEP_1)
	v_fma_f64 v[40:41], -v[16:17], v[18:19], 1.0
	v_fmac_f64_e32 v[18:19], v[18:19], v[40:41]
	s_delay_alu instid0(VALU_DEP_1) | instskip(NEXT) | instid1(VALU_DEP_1)
	v_fma_f64 v[40:41], -v[16:17], v[18:19], 1.0
	v_fmac_f64_e32 v[18:19], v[18:19], v[40:41]
	s_delay_alu instid0(VALU_DEP_1) | instskip(NEXT) | instid1(VALU_DEP_1)
	v_mul_f64_e32 v[40:41], v[42:43], v[18:19]
	v_fma_f64 v[16:17], -v[16:17], v[40:41], v[42:43]
	s_delay_alu instid0(VALU_DEP_1) | instskip(NEXT) | instid1(VALU_DEP_1)
	v_div_fmas_f64 v[16:17], v[16:17], v[18:19], v[40:41]
	v_div_fixup_f64 v[16:17], v[16:17], v[22:23], v[20:21]
	s_delay_alu instid0(VALU_DEP_1) | instskip(NEXT) | instid1(VALU_DEP_1)
	v_fma_f64 v[18:19], v[20:21], v[16:17], v[22:23]
	v_div_scale_f64 v[40:41], null, v[18:19], v[18:19], 1.0
	v_div_scale_f64 v[46:47], vcc_lo, 1.0, v[18:19], 1.0
	s_delay_alu instid0(VALU_DEP_2) | instskip(SKIP_1) | instid1(TRANS32_DEP_1)
	v_rcp_f64_e32 v[42:43], v[40:41]
	v_nop
	v_fma_f64 v[44:45], -v[40:41], v[42:43], 1.0
	s_delay_alu instid0(VALU_DEP_1) | instskip(NEXT) | instid1(VALU_DEP_1)
	v_fmac_f64_e32 v[42:43], v[42:43], v[44:45]
	v_fma_f64 v[44:45], -v[40:41], v[42:43], 1.0
	s_delay_alu instid0(VALU_DEP_1) | instskip(NEXT) | instid1(VALU_DEP_1)
	v_fmac_f64_e32 v[42:43], v[42:43], v[44:45]
	v_mul_f64_e32 v[44:45], v[46:47], v[42:43]
	s_delay_alu instid0(VALU_DEP_1) | instskip(NEXT) | instid1(VALU_DEP_1)
	v_fma_f64 v[40:41], -v[40:41], v[44:45], v[46:47]
	v_div_fmas_f64 v[40:41], v[40:41], v[42:43], v[44:45]
	v_fma_f64 v[42:43], v[16:17], v[24:25], v[26:27]
	s_delay_alu instid0(VALU_DEP_2) | instskip(SKIP_1) | instid1(VALU_DEP_2)
	v_div_fixup_f64 v[18:19], v[40:41], v[18:19], 1.0
	v_fma_f64 v[40:41], v[16:17], v[26:27], -v[24:25]
	v_mul_f64_e32 v[16:17], v[42:43], v[18:19]
	s_delay_alu instid0(VALU_DEP_2)
	v_mul_f64_e32 v[18:19], v[40:41], v[18:19]
.LBB213_89:                             ;   in Loop: Header=BB213_81 Depth=2
	s_and_not1_b32 vcc_lo, exec_lo, s36
	s_cbranch_vccnz .LBB213_91
; %bb.90:                               ;   in Loop: Header=BB213_81 Depth=2
	v_div_scale_f64 v[16:17], null, v[20:21], v[20:21], v[22:23]
	v_div_scale_f64 v[42:43], vcc_lo, v[22:23], v[20:21], v[22:23]
	s_delay_alu instid0(VALU_DEP_2) | instskip(SKIP_1) | instid1(TRANS32_DEP_1)
	v_rcp_f64_e32 v[18:19], v[16:17]
	v_nop
	v_fma_f64 v[40:41], -v[16:17], v[18:19], 1.0
	s_delay_alu instid0(VALU_DEP_1) | instskip(NEXT) | instid1(VALU_DEP_1)
	v_fmac_f64_e32 v[18:19], v[18:19], v[40:41]
	v_fma_f64 v[40:41], -v[16:17], v[18:19], 1.0
	s_delay_alu instid0(VALU_DEP_1) | instskip(NEXT) | instid1(VALU_DEP_1)
	v_fmac_f64_e32 v[18:19], v[18:19], v[40:41]
	v_mul_f64_e32 v[40:41], v[42:43], v[18:19]
	s_delay_alu instid0(VALU_DEP_1) | instskip(NEXT) | instid1(VALU_DEP_1)
	v_fma_f64 v[16:17], -v[16:17], v[40:41], v[42:43]
	v_div_fmas_f64 v[16:17], v[16:17], v[18:19], v[40:41]
	s_delay_alu instid0(VALU_DEP_1) | instskip(NEXT) | instid1(VALU_DEP_1)
	v_div_fixup_f64 v[16:17], v[16:17], v[20:21], v[22:23]
	v_fmac_f64_e32 v[20:21], v[22:23], v[16:17]
	s_delay_alu instid0(VALU_DEP_1) | instskip(SKIP_1) | instid1(VALU_DEP_2)
	v_div_scale_f64 v[18:19], null, v[20:21], v[20:21], 1.0
	v_div_scale_f64 v[42:43], vcc_lo, 1.0, v[20:21], 1.0
	v_rcp_f64_e32 v[22:23], v[18:19]
	v_nop
	s_delay_alu instid0(TRANS32_DEP_1) | instskip(NEXT) | instid1(VALU_DEP_1)
	v_fma_f64 v[40:41], -v[18:19], v[22:23], 1.0
	v_fmac_f64_e32 v[22:23], v[22:23], v[40:41]
	s_delay_alu instid0(VALU_DEP_1) | instskip(NEXT) | instid1(VALU_DEP_1)
	v_fma_f64 v[40:41], -v[18:19], v[22:23], 1.0
	v_fmac_f64_e32 v[22:23], v[22:23], v[40:41]
	s_delay_alu instid0(VALU_DEP_1) | instskip(NEXT) | instid1(VALU_DEP_1)
	v_mul_f64_e32 v[40:41], v[42:43], v[22:23]
	v_fma_f64 v[18:19], -v[18:19], v[40:41], v[42:43]
	s_delay_alu instid0(VALU_DEP_1) | instskip(SKIP_1) | instid1(VALU_DEP_2)
	v_div_fmas_f64 v[18:19], v[18:19], v[22:23], v[40:41]
	v_fma_f64 v[22:23], v[16:17], v[26:27], v[24:25]
	v_div_fixup_f64 v[18:19], v[18:19], v[20:21], 1.0
	v_fma_f64 v[20:21], -v[16:17], v[24:25], v[26:27]
	s_delay_alu instid0(VALU_DEP_2) | instskip(NEXT) | instid1(VALU_DEP_2)
	v_mul_f64_e32 v[16:17], v[22:23], v[18:19]
	v_mul_f64_e32 v[18:19], v[20:21], v[18:19]
.LBB213_91:                             ;   in Loop: Header=BB213_81 Depth=2
	s_addk_co_i32 s27, 0xff40
	ds_store_b128 v39, v[16:19]
	s_add_co_i32 s26, s27, s26
	s_delay_alu instid0(SALU_CYCLE_1) | instskip(NEXT) | instid1(SALU_CYCLE_1)
	s_add_co_i32 s27, s26, -16
	v_dual_mov_b32 v20, s26 :: v_dual_mov_b32 v24, s27
	s_sub_co_i32 s27, s26, 32
	ds_load_b128 v[20:23], v20
	ds_load_b128 v[24:27], v24
	s_wait_dscnt 0x1
	v_mul_f64_e32 v[40:41], v[14:15], v[22:23]
	v_mul_f64_e32 v[22:23], v[12:13], v[22:23]
	s_wait_dscnt 0x0
	v_mul_f64_e32 v[42:43], v[18:19], v[26:27]
	v_mul_f64_e32 v[26:27], v[16:17], v[26:27]
	s_delay_alu instid0(VALU_DEP_4) | instskip(NEXT) | instid1(VALU_DEP_4)
	v_fma_f64 v[40:41], v[12:13], v[20:21], -v[40:41]
	v_fmac_f64_e32 v[22:23], v[14:15], v[20:21]
	s_delay_alu instid0(VALU_DEP_4) | instskip(NEXT) | instid1(VALU_DEP_4)
	v_fma_f64 v[20:21], v[16:17], v[24:25], -v[42:43]
	v_fmac_f64_e32 v[26:27], v[18:19], v[24:25]
	s_delay_alu instid0(VALU_DEP_4) | instskip(NEXT) | instid1(VALU_DEP_4)
	v_add_f64_e64 v[24:25], v[8:9], -v[40:41]
	v_dual_add_f64 v[22:23], v[10:11], -v[22:23] :: v_dual_mov_b32 v8, s27
	ds_load_b128 v[8:11], v8
	s_wait_dscnt 0x0
	v_cmp_ngt_f64_e64 s27, |v[8:9]|, |v[10:11]|
	v_add_f64_e64 v[24:25], v[24:25], -v[20:21]
	v_add_f64_e64 v[26:27], v[22:23], -v[26:27]
                                        ; implicit-def: $vgpr22_vgpr23
	s_and_b32 vcc_lo, exec_lo, s27
	s_mov_b32 s27, -1
	s_cbranch_vccz .LBB213_93
; %bb.92:                               ;   in Loop: Header=BB213_81 Depth=2
	v_div_scale_f64 v[20:21], null, v[10:11], v[10:11], v[8:9]
	v_div_scale_f64 v[42:43], vcc_lo, v[8:9], v[10:11], v[8:9]
	s_mov_b32 s27, 0
	v_rcp_f64_e32 v[22:23], v[20:21]
	v_nop
	s_delay_alu instid0(TRANS32_DEP_1) | instskip(NEXT) | instid1(VALU_DEP_1)
	v_fma_f64 v[40:41], -v[20:21], v[22:23], 1.0
	v_fmac_f64_e32 v[22:23], v[22:23], v[40:41]
	s_delay_alu instid0(VALU_DEP_1) | instskip(NEXT) | instid1(VALU_DEP_1)
	v_fma_f64 v[40:41], -v[20:21], v[22:23], 1.0
	v_fmac_f64_e32 v[22:23], v[22:23], v[40:41]
	s_delay_alu instid0(VALU_DEP_1) | instskip(NEXT) | instid1(VALU_DEP_1)
	v_mul_f64_e32 v[40:41], v[42:43], v[22:23]
	v_fma_f64 v[20:21], -v[20:21], v[40:41], v[42:43]
	s_delay_alu instid0(VALU_DEP_1) | instskip(NEXT) | instid1(VALU_DEP_1)
	v_div_fmas_f64 v[20:21], v[20:21], v[22:23], v[40:41]
	v_div_fixup_f64 v[20:21], v[20:21], v[10:11], v[8:9]
	s_delay_alu instid0(VALU_DEP_1) | instskip(NEXT) | instid1(VALU_DEP_1)
	v_fma_f64 v[22:23], v[8:9], v[20:21], v[10:11]
	v_div_scale_f64 v[40:41], null, v[22:23], v[22:23], 1.0
	v_div_scale_f64 v[46:47], vcc_lo, 1.0, v[22:23], 1.0
	s_delay_alu instid0(VALU_DEP_2) | instskip(SKIP_1) | instid1(TRANS32_DEP_1)
	v_rcp_f64_e32 v[42:43], v[40:41]
	v_nop
	v_fma_f64 v[44:45], -v[40:41], v[42:43], 1.0
	s_delay_alu instid0(VALU_DEP_1) | instskip(NEXT) | instid1(VALU_DEP_1)
	v_fmac_f64_e32 v[42:43], v[42:43], v[44:45]
	v_fma_f64 v[44:45], -v[40:41], v[42:43], 1.0
	s_delay_alu instid0(VALU_DEP_1) | instskip(NEXT) | instid1(VALU_DEP_1)
	v_fmac_f64_e32 v[42:43], v[42:43], v[44:45]
	v_mul_f64_e32 v[44:45], v[46:47], v[42:43]
	s_delay_alu instid0(VALU_DEP_1) | instskip(NEXT) | instid1(VALU_DEP_1)
	v_fma_f64 v[40:41], -v[40:41], v[44:45], v[46:47]
	v_div_fmas_f64 v[40:41], v[40:41], v[42:43], v[44:45]
	v_fma_f64 v[42:43], v[20:21], v[24:25], v[26:27]
	s_delay_alu instid0(VALU_DEP_2) | instskip(SKIP_1) | instid1(VALU_DEP_2)
	v_div_fixup_f64 v[22:23], v[40:41], v[22:23], 1.0
	v_fma_f64 v[40:41], v[20:21], v[26:27], -v[24:25]
	v_mul_f64_e32 v[20:21], v[42:43], v[22:23]
	s_delay_alu instid0(VALU_DEP_2)
	v_mul_f64_e32 v[22:23], v[40:41], v[22:23]
.LBB213_93:                             ;   in Loop: Header=BB213_81 Depth=2
	s_and_not1_b32 vcc_lo, exec_lo, s27
	s_cbranch_vccnz .LBB213_95
; %bb.94:                               ;   in Loop: Header=BB213_81 Depth=2
	v_div_scale_f64 v[20:21], null, v[8:9], v[8:9], v[10:11]
	v_div_scale_f64 v[42:43], vcc_lo, v[10:11], v[8:9], v[10:11]
	s_delay_alu instid0(VALU_DEP_2) | instskip(SKIP_1) | instid1(TRANS32_DEP_1)
	v_rcp_f64_e32 v[22:23], v[20:21]
	v_nop
	v_fma_f64 v[40:41], -v[20:21], v[22:23], 1.0
	s_delay_alu instid0(VALU_DEP_1) | instskip(NEXT) | instid1(VALU_DEP_1)
	v_fmac_f64_e32 v[22:23], v[22:23], v[40:41]
	v_fma_f64 v[40:41], -v[20:21], v[22:23], 1.0
	s_delay_alu instid0(VALU_DEP_1) | instskip(NEXT) | instid1(VALU_DEP_1)
	v_fmac_f64_e32 v[22:23], v[22:23], v[40:41]
	v_mul_f64_e32 v[40:41], v[42:43], v[22:23]
	s_delay_alu instid0(VALU_DEP_1) | instskip(NEXT) | instid1(VALU_DEP_1)
	v_fma_f64 v[20:21], -v[20:21], v[40:41], v[42:43]
	v_div_fmas_f64 v[20:21], v[20:21], v[22:23], v[40:41]
	s_delay_alu instid0(VALU_DEP_1) | instskip(NEXT) | instid1(VALU_DEP_1)
	v_div_fixup_f64 v[20:21], v[20:21], v[8:9], v[10:11]
	v_fmac_f64_e32 v[8:9], v[10:11], v[20:21]
	s_delay_alu instid0(VALU_DEP_1) | instskip(SKIP_1) | instid1(VALU_DEP_2)
	v_div_scale_f64 v[10:11], null, v[8:9], v[8:9], 1.0
	v_div_scale_f64 v[42:43], vcc_lo, 1.0, v[8:9], 1.0
	v_rcp_f64_e32 v[22:23], v[10:11]
	v_nop
	s_delay_alu instid0(TRANS32_DEP_1) | instskip(NEXT) | instid1(VALU_DEP_1)
	v_fma_f64 v[40:41], -v[10:11], v[22:23], 1.0
	v_fmac_f64_e32 v[22:23], v[22:23], v[40:41]
	s_delay_alu instid0(VALU_DEP_1) | instskip(NEXT) | instid1(VALU_DEP_1)
	v_fma_f64 v[40:41], -v[10:11], v[22:23], 1.0
	v_fmac_f64_e32 v[22:23], v[22:23], v[40:41]
	s_delay_alu instid0(VALU_DEP_1) | instskip(NEXT) | instid1(VALU_DEP_1)
	v_mul_f64_e32 v[40:41], v[42:43], v[22:23]
	v_fma_f64 v[10:11], -v[10:11], v[40:41], v[42:43]
	s_delay_alu instid0(VALU_DEP_1) | instskip(SKIP_1) | instid1(VALU_DEP_2)
	v_div_fmas_f64 v[10:11], v[10:11], v[22:23], v[40:41]
	v_fma_f64 v[22:23], v[20:21], v[26:27], v[24:25]
	v_div_fixup_f64 v[8:9], v[10:11], v[8:9], 1.0
	v_fma_f64 v[10:11], -v[20:21], v[24:25], v[26:27]
	s_delay_alu instid0(VALU_DEP_2) | instskip(NEXT) | instid1(VALU_DEP_2)
	v_mul_f64_e32 v[20:21], v[22:23], v[8:9]
	v_mul_f64_e32 v[22:23], v[10:11], v[8:9]
.LBB213_95:                             ;   in Loop: Header=BB213_81 Depth=2
	s_add_co_i32 s27, s26, 0xffffff40
	ds_store_b128 v38, v[20:23]
	v_mov_b32_e32 v8, s27
	s_add_co_i32 s27, s26, 0xffffff30
	s_delay_alu instid0(SALU_CYCLE_1)
	v_mov_b32_e32 v24, s27
	s_add_co_i32 s27, s26, 0xffffff20
	ds_load_b128 v[8:11], v8
	s_addk_co_i32 s26, 0xff10
	ds_load_b128 v[24:27], v24
	s_wait_dscnt 0x1
	v_mul_f64_e32 v[40:41], v[14:15], v[10:11]
	v_mul_f64_e32 v[42:43], v[12:13], v[10:11]
	s_wait_dscnt 0x0
	v_mul_f64_e32 v[44:45], v[18:19], v[26:27]
	v_mul_f64_e32 v[26:27], v[16:17], v[26:27]
	s_delay_alu instid0(VALU_DEP_4) | instskip(NEXT) | instid1(VALU_DEP_4)
	v_fma_f64 v[40:41], v[12:13], v[8:9], -v[40:41]
	v_fmac_f64_e32 v[42:43], v[14:15], v[8:9]
	s_delay_alu instid0(VALU_DEP_4) | instskip(NEXT) | instid1(VALU_DEP_4)
	v_dual_fma_f64 v[16:17], v[16:17], v[24:25], -v[44:45] :: v_dual_mov_b32 v8, s27
	v_fmac_f64_e32 v[26:27], v[18:19], v[24:25]
	ds_load_b128 v[12:15], v8
	v_mov_b32_e32 v8, s26
	ds_load_b128 v[8:11], v8
	s_wait_dscnt 0x1
	v_mul_f64_e32 v[46:47], v[22:23], v[14:15]
	v_mul_f64_e32 v[14:15], v[20:21], v[14:15]
	v_add_f64_e64 v[4:5], v[4:5], -v[40:41]
	v_add_f64_e64 v[6:7], v[6:7], -v[42:43]
	s_wait_dscnt 0x0
	v_cmp_ngt_f64_e64 s26, |v[8:9]|, |v[10:11]|
	v_fma_f64 v[18:19], v[20:21], v[12:13], -v[46:47]
	v_fmac_f64_e32 v[14:15], v[22:23], v[12:13]
	v_add_f64_e64 v[4:5], v[4:5], -v[16:17]
	v_add_f64_e64 v[6:7], v[6:7], -v[26:27]
	s_and_b32 vcc_lo, exec_lo, s26
	s_mov_b32 s26, -1
	s_delay_alu instid0(VALU_DEP_2) | instskip(NEXT) | instid1(VALU_DEP_2)
	v_add_f64_e64 v[12:13], v[4:5], -v[18:19]
	v_add_f64_e64 v[14:15], v[6:7], -v[14:15]
                                        ; implicit-def: $vgpr6_vgpr7
	s_cbranch_vccz .LBB213_97
; %bb.96:                               ;   in Loop: Header=BB213_81 Depth=2
	v_div_scale_f64 v[4:5], null, v[10:11], v[10:11], v[8:9]
	v_div_scale_f64 v[18:19], vcc_lo, v[8:9], v[10:11], v[8:9]
	s_mov_b32 s26, 0
	v_rcp_f64_e32 v[6:7], v[4:5]
	v_nop
	s_delay_alu instid0(TRANS32_DEP_1) | instskip(NEXT) | instid1(VALU_DEP_1)
	v_fma_f64 v[16:17], -v[4:5], v[6:7], 1.0
	v_fmac_f64_e32 v[6:7], v[6:7], v[16:17]
	s_delay_alu instid0(VALU_DEP_1) | instskip(NEXT) | instid1(VALU_DEP_1)
	v_fma_f64 v[16:17], -v[4:5], v[6:7], 1.0
	v_fmac_f64_e32 v[6:7], v[6:7], v[16:17]
	s_delay_alu instid0(VALU_DEP_1) | instskip(NEXT) | instid1(VALU_DEP_1)
	v_mul_f64_e32 v[16:17], v[18:19], v[6:7]
	v_fma_f64 v[4:5], -v[4:5], v[16:17], v[18:19]
	s_delay_alu instid0(VALU_DEP_1) | instskip(NEXT) | instid1(VALU_DEP_1)
	v_div_fmas_f64 v[4:5], v[4:5], v[6:7], v[16:17]
	v_div_fixup_f64 v[4:5], v[4:5], v[10:11], v[8:9]
	s_delay_alu instid0(VALU_DEP_1) | instskip(NEXT) | instid1(VALU_DEP_1)
	v_fma_f64 v[6:7], v[8:9], v[4:5], v[10:11]
	v_div_scale_f64 v[16:17], null, v[6:7], v[6:7], 1.0
	v_div_scale_f64 v[22:23], vcc_lo, 1.0, v[6:7], 1.0
	s_delay_alu instid0(VALU_DEP_2) | instskip(SKIP_1) | instid1(TRANS32_DEP_1)
	v_rcp_f64_e32 v[18:19], v[16:17]
	v_nop
	v_fma_f64 v[20:21], -v[16:17], v[18:19], 1.0
	s_delay_alu instid0(VALU_DEP_1) | instskip(NEXT) | instid1(VALU_DEP_1)
	v_fmac_f64_e32 v[18:19], v[18:19], v[20:21]
	v_fma_f64 v[20:21], -v[16:17], v[18:19], 1.0
	s_delay_alu instid0(VALU_DEP_1) | instskip(NEXT) | instid1(VALU_DEP_1)
	v_fmac_f64_e32 v[18:19], v[18:19], v[20:21]
	v_mul_f64_e32 v[20:21], v[22:23], v[18:19]
	s_delay_alu instid0(VALU_DEP_1) | instskip(NEXT) | instid1(VALU_DEP_1)
	v_fma_f64 v[16:17], -v[16:17], v[20:21], v[22:23]
	v_div_fmas_f64 v[16:17], v[16:17], v[18:19], v[20:21]
	v_fma_f64 v[18:19], v[4:5], v[12:13], v[14:15]
	s_delay_alu instid0(VALU_DEP_2) | instskip(SKIP_1) | instid1(VALU_DEP_2)
	v_div_fixup_f64 v[6:7], v[16:17], v[6:7], 1.0
	v_fma_f64 v[16:17], v[4:5], v[14:15], -v[12:13]
	v_mul_f64_e32 v[4:5], v[18:19], v[6:7]
	s_delay_alu instid0(VALU_DEP_2)
	v_mul_f64_e32 v[6:7], v[16:17], v[6:7]
.LBB213_97:                             ;   in Loop: Header=BB213_81 Depth=2
	s_and_not1_b32 vcc_lo, exec_lo, s26
	s_cbranch_vccnz .LBB213_99
; %bb.98:                               ;   in Loop: Header=BB213_81 Depth=2
	v_div_scale_f64 v[4:5], null, v[8:9], v[8:9], v[10:11]
	v_div_scale_f64 v[18:19], vcc_lo, v[10:11], v[8:9], v[10:11]
	s_delay_alu instid0(VALU_DEP_2) | instskip(SKIP_1) | instid1(TRANS32_DEP_1)
	v_rcp_f64_e32 v[6:7], v[4:5]
	v_nop
	v_fma_f64 v[16:17], -v[4:5], v[6:7], 1.0
	s_delay_alu instid0(VALU_DEP_1) | instskip(NEXT) | instid1(VALU_DEP_1)
	v_fmac_f64_e32 v[6:7], v[6:7], v[16:17]
	v_fma_f64 v[16:17], -v[4:5], v[6:7], 1.0
	s_delay_alu instid0(VALU_DEP_1) | instskip(NEXT) | instid1(VALU_DEP_1)
	v_fmac_f64_e32 v[6:7], v[6:7], v[16:17]
	v_mul_f64_e32 v[16:17], v[18:19], v[6:7]
	s_delay_alu instid0(VALU_DEP_1) | instskip(NEXT) | instid1(VALU_DEP_1)
	v_fma_f64 v[4:5], -v[4:5], v[16:17], v[18:19]
	v_div_fmas_f64 v[4:5], v[4:5], v[6:7], v[16:17]
	s_delay_alu instid0(VALU_DEP_1) | instskip(NEXT) | instid1(VALU_DEP_1)
	v_div_fixup_f64 v[4:5], v[4:5], v[8:9], v[10:11]
	v_fmac_f64_e32 v[8:9], v[10:11], v[4:5]
	s_delay_alu instid0(VALU_DEP_1) | instskip(SKIP_1) | instid1(VALU_DEP_2)
	v_div_scale_f64 v[6:7], null, v[8:9], v[8:9], 1.0
	v_div_scale_f64 v[18:19], vcc_lo, 1.0, v[8:9], 1.0
	v_rcp_f64_e32 v[10:11], v[6:7]
	v_nop
	s_delay_alu instid0(TRANS32_DEP_1) | instskip(NEXT) | instid1(VALU_DEP_1)
	v_fma_f64 v[16:17], -v[6:7], v[10:11], 1.0
	v_fmac_f64_e32 v[10:11], v[10:11], v[16:17]
	s_delay_alu instid0(VALU_DEP_1) | instskip(NEXT) | instid1(VALU_DEP_1)
	v_fma_f64 v[16:17], -v[6:7], v[10:11], 1.0
	v_fmac_f64_e32 v[10:11], v[10:11], v[16:17]
	s_delay_alu instid0(VALU_DEP_1) | instskip(NEXT) | instid1(VALU_DEP_1)
	v_mul_f64_e32 v[16:17], v[18:19], v[10:11]
	v_fma_f64 v[6:7], -v[6:7], v[16:17], v[18:19]
	s_delay_alu instid0(VALU_DEP_1) | instskip(SKIP_1) | instid1(VALU_DEP_2)
	v_div_fmas_f64 v[6:7], v[6:7], v[10:11], v[16:17]
	v_fma_f64 v[10:11], v[4:5], v[14:15], v[12:13]
	v_div_fixup_f64 v[6:7], v[6:7], v[8:9], 1.0
	v_fma_f64 v[8:9], -v[4:5], v[12:13], v[14:15]
	s_delay_alu instid0(VALU_DEP_2) | instskip(NEXT) | instid1(VALU_DEP_2)
	v_mul_f64_e32 v[4:5], v[10:11], v[6:7]
	v_mul_f64_e32 v[6:7], v[8:9], v[6:7]
.LBB213_99:                             ;   in Loop: Header=BB213_81 Depth=2
	s_add_co_i32 s26, s25, -4
	s_addk_co_i32 s24, 0xfd00
	s_cmp_lt_i32 s25, 7
	ds_store_b128 v37, v[4:7]
	s_cbranch_scc1 .LBB213_101
; %bb.100:                              ;   in Loop: Header=BB213_81 Depth=2
	s_mov_b32 s25, s26
	s_branch .LBB213_81
.LBB213_101:                            ;   in Loop: Header=BB213_3 Depth=1
	s_cmp_lt_i32 s26, 0
	s_cbranch_scc1 .LBB213_110
; %bb.102:                              ;   in Loop: Header=BB213_3 Depth=1
	s_mul_i32 s24, s26, 0xc0
	s_delay_alu instid0(SALU_CYCLE_1)
	s_add_co_i32 s24, s21, s24
	s_branch .LBB213_104
.LBB213_103:                            ;   in Loop: Header=BB213_104 Depth=2
	v_sub_co_u32 v4, s25, s26, 1
	s_and_b32 vcc_lo, exec_lo, s25
	s_addk_co_i32 s24, 0xff40
	ds_store_b128 v16, v[12:15]
	v_readfirstlane_b32 s26, v4
	s_cbranch_vccnz .LBB213_110
.LBB213_104:                            ;   Parent Loop BB213_3 Depth=1
                                        ; =>  This Loop Header: Depth=2
                                        ;       Child Loop BB213_105 Depth 3
	v_mad_u32 v16, 0xc0, s26, v34
	v_mov_b32_e32 v8, v35
	s_cmp_le_i32 s30, s26
	s_mov_b32 s25, s24
	s_mov_b32 s27, s30
	ds_load_b128 v[4:7], v16
	s_cbranch_scc1 .LBB213_106
.LBB213_105:                            ;   Parent Loop BB213_3 Depth=1
                                        ;     Parent Loop BB213_104 Depth=2
                                        ; =>    This Inner Loop Header: Depth=3
	v_mov_b32_e32 v9, s25
	s_add_co_i32 s27, s27, -1
	s_add_co_i32 s25, s25, -16
	s_cmp_le_u32 s27, s26
	ds_load_b128 v[10:13], v8
	ds_load_b128 v[18:21], v9
	v_add_nc_u32_e32 v8, 0xffffff40, v8
	s_wait_dscnt 0x0
	v_mul_f64_e32 v[14:15], v[20:21], v[12:13]
	v_mul_f64_e32 v[12:13], v[18:19], v[12:13]
	s_delay_alu instid0(VALU_DEP_2) | instskip(NEXT) | instid1(VALU_DEP_2)
	v_fma_f64 v[14:15], v[18:19], v[10:11], -v[14:15]
	v_fmac_f64_e32 v[12:13], v[20:21], v[10:11]
	s_delay_alu instid0(VALU_DEP_2) | instskip(NEXT) | instid1(VALU_DEP_2)
	v_add_f64_e64 v[4:5], v[4:5], -v[14:15]
	v_add_f64_e64 v[6:7], v[6:7], -v[12:13]
	s_cbranch_scc0 .LBB213_105
.LBB213_106:                            ;   in Loop: Header=BB213_104 Depth=2
	s_mul_i32 s25, s26, 0xd0
                                        ; implicit-def: $vgpr12_vgpr13
	s_delay_alu instid0(SALU_CYCLE_1)
	v_mov_b32_e32 v8, s25
	ds_load_b128 v[8:11], v8
	s_wait_dscnt 0x0
	v_cmp_ngt_f64_e64 s25, |v[8:9]|, |v[10:11]|
	s_and_b32 vcc_lo, exec_lo, s25
	s_mov_b32 s25, -1
	s_cbranch_vccz .LBB213_108
; %bb.107:                              ;   in Loop: Header=BB213_104 Depth=2
	v_div_scale_f64 v[12:13], null, v[10:11], v[10:11], v[8:9]
	v_div_scale_f64 v[20:21], vcc_lo, v[8:9], v[10:11], v[8:9]
	s_mov_b32 s25, 0
	v_rcp_f64_e32 v[14:15], v[12:13]
	v_nop
	s_delay_alu instid0(TRANS32_DEP_1) | instskip(NEXT) | instid1(VALU_DEP_1)
	v_fma_f64 v[18:19], -v[12:13], v[14:15], 1.0
	v_fmac_f64_e32 v[14:15], v[14:15], v[18:19]
	s_delay_alu instid0(VALU_DEP_1) | instskip(NEXT) | instid1(VALU_DEP_1)
	v_fma_f64 v[18:19], -v[12:13], v[14:15], 1.0
	v_fmac_f64_e32 v[14:15], v[14:15], v[18:19]
	s_delay_alu instid0(VALU_DEP_1) | instskip(NEXT) | instid1(VALU_DEP_1)
	v_mul_f64_e32 v[18:19], v[20:21], v[14:15]
	v_fma_f64 v[12:13], -v[12:13], v[18:19], v[20:21]
	s_delay_alu instid0(VALU_DEP_1) | instskip(NEXT) | instid1(VALU_DEP_1)
	v_div_fmas_f64 v[12:13], v[12:13], v[14:15], v[18:19]
	v_div_fixup_f64 v[12:13], v[12:13], v[10:11], v[8:9]
	s_delay_alu instid0(VALU_DEP_1) | instskip(NEXT) | instid1(VALU_DEP_1)
	v_fma_f64 v[14:15], v[8:9], v[12:13], v[10:11]
	v_div_scale_f64 v[18:19], null, v[14:15], v[14:15], 1.0
	v_div_scale_f64 v[24:25], vcc_lo, 1.0, v[14:15], 1.0
	s_delay_alu instid0(VALU_DEP_2) | instskip(SKIP_1) | instid1(TRANS32_DEP_1)
	v_rcp_f64_e32 v[20:21], v[18:19]
	v_nop
	v_fma_f64 v[22:23], -v[18:19], v[20:21], 1.0
	s_delay_alu instid0(VALU_DEP_1) | instskip(NEXT) | instid1(VALU_DEP_1)
	v_fmac_f64_e32 v[20:21], v[20:21], v[22:23]
	v_fma_f64 v[22:23], -v[18:19], v[20:21], 1.0
	s_delay_alu instid0(VALU_DEP_1) | instskip(NEXT) | instid1(VALU_DEP_1)
	v_fmac_f64_e32 v[20:21], v[20:21], v[22:23]
	v_mul_f64_e32 v[22:23], v[24:25], v[20:21]
	s_delay_alu instid0(VALU_DEP_1) | instskip(NEXT) | instid1(VALU_DEP_1)
	v_fma_f64 v[18:19], -v[18:19], v[22:23], v[24:25]
	v_div_fmas_f64 v[18:19], v[18:19], v[20:21], v[22:23]
	v_fma_f64 v[20:21], v[4:5], v[12:13], v[6:7]
	s_delay_alu instid0(VALU_DEP_2) | instskip(SKIP_1) | instid1(VALU_DEP_2)
	v_div_fixup_f64 v[14:15], v[18:19], v[14:15], 1.0
	v_fma_f64 v[18:19], v[6:7], v[12:13], -v[4:5]
	v_mul_f64_e32 v[12:13], v[20:21], v[14:15]
	s_delay_alu instid0(VALU_DEP_2)
	v_mul_f64_e32 v[14:15], v[18:19], v[14:15]
.LBB213_108:                            ;   in Loop: Header=BB213_104 Depth=2
	s_and_not1_b32 vcc_lo, exec_lo, s25
	s_cbranch_vccnz .LBB213_103
; %bb.109:                              ;   in Loop: Header=BB213_104 Depth=2
	v_div_scale_f64 v[12:13], null, v[8:9], v[8:9], v[10:11]
	v_div_scale_f64 v[20:21], vcc_lo, v[10:11], v[8:9], v[10:11]
	s_delay_alu instid0(VALU_DEP_2) | instskip(SKIP_1) | instid1(TRANS32_DEP_1)
	v_rcp_f64_e32 v[14:15], v[12:13]
	v_nop
	v_fma_f64 v[18:19], -v[12:13], v[14:15], 1.0
	s_delay_alu instid0(VALU_DEP_1) | instskip(NEXT) | instid1(VALU_DEP_1)
	v_fmac_f64_e32 v[14:15], v[14:15], v[18:19]
	v_fma_f64 v[18:19], -v[12:13], v[14:15], 1.0
	s_delay_alu instid0(VALU_DEP_1) | instskip(NEXT) | instid1(VALU_DEP_1)
	v_fmac_f64_e32 v[14:15], v[14:15], v[18:19]
	v_mul_f64_e32 v[18:19], v[20:21], v[14:15]
	s_delay_alu instid0(VALU_DEP_1) | instskip(NEXT) | instid1(VALU_DEP_1)
	v_fma_f64 v[12:13], -v[12:13], v[18:19], v[20:21]
	v_div_fmas_f64 v[12:13], v[12:13], v[14:15], v[18:19]
	s_delay_alu instid0(VALU_DEP_1) | instskip(NEXT) | instid1(VALU_DEP_1)
	v_div_fixup_f64 v[12:13], v[12:13], v[8:9], v[10:11]
	v_fmac_f64_e32 v[8:9], v[10:11], v[12:13]
	s_delay_alu instid0(VALU_DEP_1) | instskip(SKIP_1) | instid1(VALU_DEP_2)
	v_div_scale_f64 v[10:11], null, v[8:9], v[8:9], 1.0
	v_div_scale_f64 v[20:21], vcc_lo, 1.0, v[8:9], 1.0
	v_rcp_f64_e32 v[14:15], v[10:11]
	v_nop
	s_delay_alu instid0(TRANS32_DEP_1) | instskip(NEXT) | instid1(VALU_DEP_1)
	v_fma_f64 v[18:19], -v[10:11], v[14:15], 1.0
	v_fmac_f64_e32 v[14:15], v[14:15], v[18:19]
	s_delay_alu instid0(VALU_DEP_1) | instskip(NEXT) | instid1(VALU_DEP_1)
	v_fma_f64 v[18:19], -v[10:11], v[14:15], 1.0
	v_fmac_f64_e32 v[14:15], v[14:15], v[18:19]
	s_delay_alu instid0(VALU_DEP_1) | instskip(NEXT) | instid1(VALU_DEP_1)
	v_mul_f64_e32 v[18:19], v[20:21], v[14:15]
	v_fma_f64 v[10:11], -v[10:11], v[18:19], v[20:21]
	s_delay_alu instid0(VALU_DEP_1) | instskip(SKIP_2) | instid1(VALU_DEP_3)
	v_div_fmas_f64 v[10:11], v[10:11], v[14:15], v[18:19]
	v_fma_f64 v[14:15], v[6:7], v[12:13], v[4:5]
	v_fma_f64 v[4:5], -v[4:5], v[12:13], v[6:7]
	v_div_fixup_f64 v[8:9], v[10:11], v[8:9], 1.0
	s_delay_alu instid0(VALU_DEP_1) | instskip(NEXT) | instid1(VALU_DEP_3)
	v_mul_f64_e32 v[12:13], v[14:15], v[8:9]
	v_mul_f64_e32 v[14:15], v[4:5], v[8:9]
	s_branch .LBB213_103
.LBB213_110:                            ;   in Loop: Header=BB213_3 Depth=1
	s_mov_b32 s24, 0
.LBB213_111:                            ;   in Loop: Header=BB213_3 Depth=1
	s_delay_alu instid0(SALU_CYCLE_1)
	s_and_not1_b32 vcc_lo, exec_lo, s24
	s_cbranch_vccnz .LBB213_143
; %bb.112:                              ;   in Loop: Header=BB213_3 Depth=1
	s_and_not1_b32 vcc_lo, exec_lo, s34
	s_mov_b32 s26, 0
	s_cbranch_vccnz .LBB213_134
; %bb.113:                              ;   in Loop: Header=BB213_3 Depth=1
	s_mov_b32 s24, 0
	s_mov_b32 s25, 0
.LBB213_114:                            ;   Parent Loop BB213_3 Depth=1
                                        ; =>  This Loop Header: Depth=2
                                        ;       Child Loop BB213_115 Depth 3
	s_delay_alu instid0(SALU_CYCLE_1)
	s_mul_i32 s26, s25, 12
	v_mov_b32_e32 v12, v34
	v_lshl_add_u32 v37, s26, 4, v34
	s_cmp_eq_u32 s25, 0
	s_mov_b32 s27, s24
	s_mov_b32 s36, s25
	ds_load_b128 v[20:23], v37
	ds_load_b128 v[16:19], v37 offset:192
	ds_load_b128 v[8:11], v37 offset:384
	;; [unrolled: 1-line block ×3, first 2 shown]
	s_cbranch_scc1 .LBB213_116
.LBB213_115:                            ;   Parent Loop BB213_3 Depth=1
                                        ;     Parent Loop BB213_114 Depth=2
                                        ; =>    This Inner Loop Header: Depth=3
	v_mov_b32_e32 v13, s27
	s_add_co_i32 s36, s36, -1
	s_add_co_i32 s27, s27, 16
	s_cmp_eq_u32 s36, 0
	ds_load_b128 v[24:27], v12
	ds_load_b128 v[38:41], v13
	ds_load_b128 v[42:45], v13 offset:192
	ds_load_b128 v[46:49], v13 offset:384
	;; [unrolled: 1-line block ×3, first 2 shown]
	v_add_nc_u32_e32 v12, 0xc0, v12
	s_wait_dscnt 0x3
	v_mul_f64_e32 v[14:15], v[26:27], v[40:41]
	v_mul_f64_e32 v[40:41], v[24:25], v[40:41]
	s_wait_dscnt 0x2
	v_mul_f64_e32 v[54:55], v[26:27], v[44:45]
	v_mul_f64_e32 v[44:45], v[24:25], v[44:45]
	s_wait_dscnt 0x1
	v_mul_f64_e32 v[56:57], v[26:27], v[48:49]
	v_mul_f64_e32 v[48:49], v[24:25], v[48:49]
	s_wait_dscnt 0x0
	v_mul_f64_e32 v[58:59], v[26:27], v[52:53]
	v_mul_f64_e32 v[52:53], v[24:25], v[52:53]
	v_fma_f64 v[14:15], v[24:25], v[38:39], -v[14:15]
	v_fmac_f64_e32 v[40:41], v[26:27], v[38:39]
	v_fma_f64 v[38:39], v[24:25], v[42:43], -v[54:55]
	v_fmac_f64_e32 v[44:45], v[26:27], v[42:43]
	;; [unrolled: 2-line block ×4, first 2 shown]
	v_add_f64_e64 v[20:21], v[20:21], -v[14:15]
	v_add_f64_e64 v[22:23], v[22:23], -v[40:41]
	;; [unrolled: 1-line block ×8, first 2 shown]
	s_cbranch_scc0 .LBB213_115
.LBB213_116:                            ;   in Loop: Header=BB213_114 Depth=2
	s_mul_i32 s27, s25, 0xd0
	s_delay_alu instid0(SALU_CYCLE_1)
	v_mov_b32_e32 v12, s27
	ds_load_b128 v[24:27], v12
                                        ; implicit-def: $vgpr14_vgpr15
	s_wait_dscnt 0x0
	v_cmp_ngt_f64_e64 s27, |v[24:25]|, |v[26:27]|
	s_and_b32 vcc_lo, exec_lo, s27
	s_mov_b32 s27, -1
	s_cbranch_vccz .LBB213_118
; %bb.117:                              ;   in Loop: Header=BB213_114 Depth=2
	v_div_scale_f64 v[12:13], null, v[26:27], v[26:27], v[24:25]
	v_div_scale_f64 v[40:41], vcc_lo, v[24:25], v[26:27], v[24:25]
	s_mov_b32 s27, 0
	v_rcp_f64_e32 v[14:15], v[12:13]
	v_nop
	s_delay_alu instid0(TRANS32_DEP_1) | instskip(NEXT) | instid1(VALU_DEP_1)
	v_fma_f64 v[38:39], -v[12:13], v[14:15], 1.0
	v_fmac_f64_e32 v[14:15], v[14:15], v[38:39]
	s_delay_alu instid0(VALU_DEP_1) | instskip(NEXT) | instid1(VALU_DEP_1)
	v_fma_f64 v[38:39], -v[12:13], v[14:15], 1.0
	v_fmac_f64_e32 v[14:15], v[14:15], v[38:39]
	s_delay_alu instid0(VALU_DEP_1) | instskip(NEXT) | instid1(VALU_DEP_1)
	v_mul_f64_e32 v[38:39], v[40:41], v[14:15]
	v_fma_f64 v[12:13], -v[12:13], v[38:39], v[40:41]
	s_delay_alu instid0(VALU_DEP_1) | instskip(NEXT) | instid1(VALU_DEP_1)
	v_div_fmas_f64 v[12:13], v[12:13], v[14:15], v[38:39]
	v_div_fixup_f64 v[12:13], v[12:13], v[26:27], v[24:25]
	s_delay_alu instid0(VALU_DEP_1) | instskip(NEXT) | instid1(VALU_DEP_1)
	v_fma_f64 v[14:15], v[24:25], v[12:13], v[26:27]
	v_div_scale_f64 v[38:39], null, v[14:15], v[14:15], 1.0
	v_div_scale_f64 v[44:45], vcc_lo, 1.0, v[14:15], 1.0
	s_delay_alu instid0(VALU_DEP_2) | instskip(SKIP_1) | instid1(TRANS32_DEP_1)
	v_rcp_f64_e32 v[40:41], v[38:39]
	v_nop
	v_fma_f64 v[42:43], -v[38:39], v[40:41], 1.0
	s_delay_alu instid0(VALU_DEP_1) | instskip(NEXT) | instid1(VALU_DEP_1)
	v_fmac_f64_e32 v[40:41], v[40:41], v[42:43]
	v_fma_f64 v[42:43], -v[38:39], v[40:41], 1.0
	s_delay_alu instid0(VALU_DEP_1) | instskip(NEXT) | instid1(VALU_DEP_1)
	v_fmac_f64_e32 v[40:41], v[40:41], v[42:43]
	v_mul_f64_e32 v[42:43], v[44:45], v[40:41]
	s_delay_alu instid0(VALU_DEP_1) | instskip(NEXT) | instid1(VALU_DEP_1)
	v_fma_f64 v[38:39], -v[38:39], v[42:43], v[44:45]
	v_div_fmas_f64 v[38:39], v[38:39], v[40:41], v[42:43]
	v_fma_f64 v[40:41], v[20:21], v[12:13], v[22:23]
	s_delay_alu instid0(VALU_DEP_2) | instskip(SKIP_1) | instid1(VALU_DEP_2)
	v_div_fixup_f64 v[14:15], v[38:39], v[14:15], 1.0
	v_fma_f64 v[38:39], v[22:23], v[12:13], -v[20:21]
	v_mul_f64_e32 v[12:13], v[40:41], v[14:15]
	s_delay_alu instid0(VALU_DEP_2)
	v_mul_f64_e32 v[14:15], v[38:39], v[14:15]
.LBB213_118:                            ;   in Loop: Header=BB213_114 Depth=2
	s_and_not1_b32 vcc_lo, exec_lo, s27
	s_cbranch_vccnz .LBB213_120
; %bb.119:                              ;   in Loop: Header=BB213_114 Depth=2
	v_div_scale_f64 v[12:13], null, v[24:25], v[24:25], v[26:27]
	v_div_scale_f64 v[40:41], vcc_lo, v[26:27], v[24:25], v[26:27]
	s_delay_alu instid0(VALU_DEP_2) | instskip(SKIP_1) | instid1(TRANS32_DEP_1)
	v_rcp_f64_e32 v[14:15], v[12:13]
	v_nop
	v_fma_f64 v[38:39], -v[12:13], v[14:15], 1.0
	s_delay_alu instid0(VALU_DEP_1) | instskip(NEXT) | instid1(VALU_DEP_1)
	v_fmac_f64_e32 v[14:15], v[14:15], v[38:39]
	v_fma_f64 v[38:39], -v[12:13], v[14:15], 1.0
	s_delay_alu instid0(VALU_DEP_1) | instskip(NEXT) | instid1(VALU_DEP_1)
	v_fmac_f64_e32 v[14:15], v[14:15], v[38:39]
	v_mul_f64_e32 v[38:39], v[40:41], v[14:15]
	s_delay_alu instid0(VALU_DEP_1) | instskip(NEXT) | instid1(VALU_DEP_1)
	v_fma_f64 v[12:13], -v[12:13], v[38:39], v[40:41]
	v_div_fmas_f64 v[12:13], v[12:13], v[14:15], v[38:39]
	s_delay_alu instid0(VALU_DEP_1) | instskip(NEXT) | instid1(VALU_DEP_1)
	v_div_fixup_f64 v[12:13], v[12:13], v[24:25], v[26:27]
	v_fmac_f64_e32 v[24:25], v[26:27], v[12:13]
	s_delay_alu instid0(VALU_DEP_1) | instskip(SKIP_1) | instid1(VALU_DEP_2)
	v_div_scale_f64 v[14:15], null, v[24:25], v[24:25], 1.0
	v_div_scale_f64 v[40:41], vcc_lo, 1.0, v[24:25], 1.0
	v_rcp_f64_e32 v[26:27], v[14:15]
	v_nop
	s_delay_alu instid0(TRANS32_DEP_1) | instskip(NEXT) | instid1(VALU_DEP_1)
	v_fma_f64 v[38:39], -v[14:15], v[26:27], 1.0
	v_fmac_f64_e32 v[26:27], v[26:27], v[38:39]
	s_delay_alu instid0(VALU_DEP_1) | instskip(NEXT) | instid1(VALU_DEP_1)
	v_fma_f64 v[38:39], -v[14:15], v[26:27], 1.0
	v_fmac_f64_e32 v[26:27], v[26:27], v[38:39]
	s_delay_alu instid0(VALU_DEP_1) | instskip(NEXT) | instid1(VALU_DEP_1)
	v_mul_f64_e32 v[38:39], v[40:41], v[26:27]
	v_fma_f64 v[14:15], -v[14:15], v[38:39], v[40:41]
	s_delay_alu instid0(VALU_DEP_1) | instskip(SKIP_2) | instid1(VALU_DEP_3)
	v_div_fmas_f64 v[14:15], v[14:15], v[26:27], v[38:39]
	v_fma_f64 v[26:27], v[22:23], v[12:13], v[20:21]
	v_fma_f64 v[20:21], -v[20:21], v[12:13], v[22:23]
	v_div_fixup_f64 v[14:15], v[14:15], v[24:25], 1.0
	s_delay_alu instid0(VALU_DEP_1) | instskip(NEXT) | instid1(VALU_DEP_3)
	v_mul_f64_e32 v[12:13], v[26:27], v[14:15]
	v_mul_f64_e32 v[14:15], v[20:21], v[14:15]
.LBB213_120:                            ;   in Loop: Header=BB213_114 Depth=2
	s_lshl_b32 s27, s26, 4
	s_lshl_b32 s26, s25, 4
	s_addk_co_i32 s27, 0xc0
	s_delay_alu instid0(SALU_CYCLE_1) | instskip(NEXT) | instid1(SALU_CYCLE_1)
	s_add_co_i32 s36, s27, s26
	v_mov_b32_e32 v20, s36
	ds_load_b128 v[24:27], v20
	ds_load_b128 v[20:23], v20 offset:16
	ds_store_b128 v37, v[12:15]
	s_wait_dscnt 0x2
	v_mul_f64_e32 v[38:39], v[14:15], v[26:27]
	v_mul_f64_e32 v[26:27], v[12:13], v[26:27]
	s_wait_dscnt 0x1
	v_cmp_ngt_f64_e64 s36, |v[20:21]|, |v[22:23]|
	s_delay_alu instid0(VALU_DEP_3) | instskip(NEXT) | instid1(VALU_DEP_3)
	v_fma_f64 v[38:39], v[12:13], v[24:25], -v[38:39]
	v_fmac_f64_e32 v[26:27], v[14:15], v[24:25]
	s_and_b32 vcc_lo, exec_lo, s36
	s_mov_b32 s36, -1
	s_delay_alu instid0(VALU_DEP_2) | instskip(NEXT) | instid1(VALU_DEP_2)
	v_add_f64_e64 v[24:25], v[16:17], -v[38:39]
	v_add_f64_e64 v[26:27], v[18:19], -v[26:27]
                                        ; implicit-def: $vgpr18_vgpr19
	s_cbranch_vccz .LBB213_122
; %bb.121:                              ;   in Loop: Header=BB213_114 Depth=2
	v_div_scale_f64 v[16:17], null, v[22:23], v[22:23], v[20:21]
	v_div_scale_f64 v[40:41], vcc_lo, v[20:21], v[22:23], v[20:21]
	s_mov_b32 s36, 0
	v_rcp_f64_e32 v[18:19], v[16:17]
	v_nop
	s_delay_alu instid0(TRANS32_DEP_1) | instskip(NEXT) | instid1(VALU_DEP_1)
	v_fma_f64 v[38:39], -v[16:17], v[18:19], 1.0
	v_fmac_f64_e32 v[18:19], v[18:19], v[38:39]
	s_delay_alu instid0(VALU_DEP_1) | instskip(NEXT) | instid1(VALU_DEP_1)
	v_fma_f64 v[38:39], -v[16:17], v[18:19], 1.0
	v_fmac_f64_e32 v[18:19], v[18:19], v[38:39]
	s_delay_alu instid0(VALU_DEP_1) | instskip(NEXT) | instid1(VALU_DEP_1)
	v_mul_f64_e32 v[38:39], v[40:41], v[18:19]
	v_fma_f64 v[16:17], -v[16:17], v[38:39], v[40:41]
	s_delay_alu instid0(VALU_DEP_1) | instskip(NEXT) | instid1(VALU_DEP_1)
	v_div_fmas_f64 v[16:17], v[16:17], v[18:19], v[38:39]
	v_div_fixup_f64 v[16:17], v[16:17], v[22:23], v[20:21]
	s_delay_alu instid0(VALU_DEP_1) | instskip(NEXT) | instid1(VALU_DEP_1)
	v_fma_f64 v[18:19], v[20:21], v[16:17], v[22:23]
	v_div_scale_f64 v[38:39], null, v[18:19], v[18:19], 1.0
	v_div_scale_f64 v[44:45], vcc_lo, 1.0, v[18:19], 1.0
	s_delay_alu instid0(VALU_DEP_2) | instskip(SKIP_1) | instid1(TRANS32_DEP_1)
	v_rcp_f64_e32 v[40:41], v[38:39]
	v_nop
	v_fma_f64 v[42:43], -v[38:39], v[40:41], 1.0
	s_delay_alu instid0(VALU_DEP_1) | instskip(NEXT) | instid1(VALU_DEP_1)
	v_fmac_f64_e32 v[40:41], v[40:41], v[42:43]
	v_fma_f64 v[42:43], -v[38:39], v[40:41], 1.0
	s_delay_alu instid0(VALU_DEP_1) | instskip(NEXT) | instid1(VALU_DEP_1)
	v_fmac_f64_e32 v[40:41], v[40:41], v[42:43]
	v_mul_f64_e32 v[42:43], v[44:45], v[40:41]
	s_delay_alu instid0(VALU_DEP_1) | instskip(NEXT) | instid1(VALU_DEP_1)
	v_fma_f64 v[38:39], -v[38:39], v[42:43], v[44:45]
	v_div_fmas_f64 v[38:39], v[38:39], v[40:41], v[42:43]
	v_fma_f64 v[40:41], v[16:17], v[24:25], v[26:27]
	s_delay_alu instid0(VALU_DEP_2) | instskip(SKIP_1) | instid1(VALU_DEP_2)
	v_div_fixup_f64 v[18:19], v[38:39], v[18:19], 1.0
	v_fma_f64 v[38:39], v[16:17], v[26:27], -v[24:25]
	v_mul_f64_e32 v[16:17], v[40:41], v[18:19]
	s_delay_alu instid0(VALU_DEP_2)
	v_mul_f64_e32 v[18:19], v[38:39], v[18:19]
.LBB213_122:                            ;   in Loop: Header=BB213_114 Depth=2
	s_and_not1_b32 vcc_lo, exec_lo, s36
	s_cbranch_vccnz .LBB213_124
; %bb.123:                              ;   in Loop: Header=BB213_114 Depth=2
	v_div_scale_f64 v[16:17], null, v[20:21], v[20:21], v[22:23]
	v_div_scale_f64 v[40:41], vcc_lo, v[22:23], v[20:21], v[22:23]
	s_delay_alu instid0(VALU_DEP_2) | instskip(SKIP_1) | instid1(TRANS32_DEP_1)
	v_rcp_f64_e32 v[18:19], v[16:17]
	v_nop
	v_fma_f64 v[38:39], -v[16:17], v[18:19], 1.0
	s_delay_alu instid0(VALU_DEP_1) | instskip(NEXT) | instid1(VALU_DEP_1)
	v_fmac_f64_e32 v[18:19], v[18:19], v[38:39]
	v_fma_f64 v[38:39], -v[16:17], v[18:19], 1.0
	s_delay_alu instid0(VALU_DEP_1) | instskip(NEXT) | instid1(VALU_DEP_1)
	v_fmac_f64_e32 v[18:19], v[18:19], v[38:39]
	v_mul_f64_e32 v[38:39], v[40:41], v[18:19]
	s_delay_alu instid0(VALU_DEP_1) | instskip(NEXT) | instid1(VALU_DEP_1)
	v_fma_f64 v[16:17], -v[16:17], v[38:39], v[40:41]
	v_div_fmas_f64 v[16:17], v[16:17], v[18:19], v[38:39]
	s_delay_alu instid0(VALU_DEP_1) | instskip(NEXT) | instid1(VALU_DEP_1)
	v_div_fixup_f64 v[16:17], v[16:17], v[20:21], v[22:23]
	v_fmac_f64_e32 v[20:21], v[22:23], v[16:17]
	s_delay_alu instid0(VALU_DEP_1) | instskip(SKIP_1) | instid1(VALU_DEP_2)
	v_div_scale_f64 v[18:19], null, v[20:21], v[20:21], 1.0
	v_div_scale_f64 v[40:41], vcc_lo, 1.0, v[20:21], 1.0
	v_rcp_f64_e32 v[22:23], v[18:19]
	v_nop
	s_delay_alu instid0(TRANS32_DEP_1) | instskip(NEXT) | instid1(VALU_DEP_1)
	v_fma_f64 v[38:39], -v[18:19], v[22:23], 1.0
	v_fmac_f64_e32 v[22:23], v[22:23], v[38:39]
	s_delay_alu instid0(VALU_DEP_1) | instskip(NEXT) | instid1(VALU_DEP_1)
	v_fma_f64 v[38:39], -v[18:19], v[22:23], 1.0
	v_fmac_f64_e32 v[22:23], v[22:23], v[38:39]
	s_delay_alu instid0(VALU_DEP_1) | instskip(NEXT) | instid1(VALU_DEP_1)
	v_mul_f64_e32 v[38:39], v[40:41], v[22:23]
	v_fma_f64 v[18:19], -v[18:19], v[38:39], v[40:41]
	s_delay_alu instid0(VALU_DEP_1) | instskip(SKIP_1) | instid1(VALU_DEP_2)
	v_div_fmas_f64 v[18:19], v[18:19], v[22:23], v[38:39]
	v_fma_f64 v[22:23], v[16:17], v[26:27], v[24:25]
	v_div_fixup_f64 v[18:19], v[18:19], v[20:21], 1.0
	v_fma_f64 v[20:21], -v[16:17], v[24:25], v[26:27]
	s_delay_alu instid0(VALU_DEP_2) | instskip(NEXT) | instid1(VALU_DEP_2)
	v_mul_f64_e32 v[16:17], v[22:23], v[18:19]
	v_mul_f64_e32 v[18:19], v[20:21], v[18:19]
.LBB213_124:                            ;   in Loop: Header=BB213_114 Depth=2
	s_addk_co_i32 s27, 0xc0
	s_delay_alu instid0(SALU_CYCLE_1) | instskip(NEXT) | instid1(SALU_CYCLE_1)
	s_add_co_i32 s26, s27, s26
	v_mov_b32_e32 v42, s26
	ds_load_b128 v[20:23], v42
	ds_load_b128 v[24:27], v42 offset:16
	ds_store_b128 v37, v[16:19] offset:192
	s_wait_dscnt 0x2
	v_mul_f64_e32 v[38:39], v[14:15], v[22:23]
	v_mul_f64_e32 v[22:23], v[12:13], v[22:23]
	s_wait_dscnt 0x1
	v_mul_f64_e32 v[40:41], v[18:19], v[26:27]
	v_mul_f64_e32 v[26:27], v[16:17], v[26:27]
	s_delay_alu instid0(VALU_DEP_4) | instskip(NEXT) | instid1(VALU_DEP_4)
	v_fma_f64 v[38:39], v[12:13], v[20:21], -v[38:39]
	v_fmac_f64_e32 v[22:23], v[14:15], v[20:21]
	s_delay_alu instid0(VALU_DEP_4) | instskip(NEXT) | instid1(VALU_DEP_4)
	v_fma_f64 v[20:21], v[16:17], v[24:25], -v[40:41]
	v_fmac_f64_e32 v[26:27], v[18:19], v[24:25]
	s_delay_alu instid0(VALU_DEP_4) | instskip(NEXT) | instid1(VALU_DEP_4)
	v_add_f64_e64 v[24:25], v[8:9], -v[38:39]
	v_add_f64_e64 v[22:23], v[10:11], -v[22:23]
	ds_load_b128 v[8:11], v42 offset:32
	s_wait_dscnt 0x0
	v_cmp_ngt_f64_e64 s27, |v[8:9]|, |v[10:11]|
	v_add_f64_e64 v[24:25], v[24:25], -v[20:21]
	v_add_f64_e64 v[26:27], v[22:23], -v[26:27]
                                        ; implicit-def: $vgpr22_vgpr23
	s_and_b32 vcc_lo, exec_lo, s27
	s_mov_b32 s27, -1
	s_cbranch_vccz .LBB213_126
; %bb.125:                              ;   in Loop: Header=BB213_114 Depth=2
	v_div_scale_f64 v[20:21], null, v[10:11], v[10:11], v[8:9]
	v_div_scale_f64 v[40:41], vcc_lo, v[8:9], v[10:11], v[8:9]
	s_mov_b32 s27, 0
	v_rcp_f64_e32 v[22:23], v[20:21]
	v_nop
	s_delay_alu instid0(TRANS32_DEP_1) | instskip(NEXT) | instid1(VALU_DEP_1)
	v_fma_f64 v[38:39], -v[20:21], v[22:23], 1.0
	v_fmac_f64_e32 v[22:23], v[22:23], v[38:39]
	s_delay_alu instid0(VALU_DEP_1) | instskip(NEXT) | instid1(VALU_DEP_1)
	v_fma_f64 v[38:39], -v[20:21], v[22:23], 1.0
	v_fmac_f64_e32 v[22:23], v[22:23], v[38:39]
	s_delay_alu instid0(VALU_DEP_1) | instskip(NEXT) | instid1(VALU_DEP_1)
	v_mul_f64_e32 v[38:39], v[40:41], v[22:23]
	v_fma_f64 v[20:21], -v[20:21], v[38:39], v[40:41]
	s_delay_alu instid0(VALU_DEP_1) | instskip(NEXT) | instid1(VALU_DEP_1)
	v_div_fmas_f64 v[20:21], v[20:21], v[22:23], v[38:39]
	v_div_fixup_f64 v[20:21], v[20:21], v[10:11], v[8:9]
	s_delay_alu instid0(VALU_DEP_1) | instskip(NEXT) | instid1(VALU_DEP_1)
	v_fma_f64 v[22:23], v[8:9], v[20:21], v[10:11]
	v_div_scale_f64 v[38:39], null, v[22:23], v[22:23], 1.0
	v_div_scale_f64 v[44:45], vcc_lo, 1.0, v[22:23], 1.0
	s_delay_alu instid0(VALU_DEP_2) | instskip(SKIP_1) | instid1(TRANS32_DEP_1)
	v_rcp_f64_e32 v[40:41], v[38:39]
	v_nop
	v_fma_f64 v[42:43], -v[38:39], v[40:41], 1.0
	s_delay_alu instid0(VALU_DEP_1) | instskip(NEXT) | instid1(VALU_DEP_1)
	v_fmac_f64_e32 v[40:41], v[40:41], v[42:43]
	v_fma_f64 v[42:43], -v[38:39], v[40:41], 1.0
	s_delay_alu instid0(VALU_DEP_1) | instskip(NEXT) | instid1(VALU_DEP_1)
	v_fmac_f64_e32 v[40:41], v[40:41], v[42:43]
	v_mul_f64_e32 v[42:43], v[44:45], v[40:41]
	s_delay_alu instid0(VALU_DEP_1) | instskip(NEXT) | instid1(VALU_DEP_1)
	v_fma_f64 v[38:39], -v[38:39], v[42:43], v[44:45]
	v_div_fmas_f64 v[38:39], v[38:39], v[40:41], v[42:43]
	v_fma_f64 v[40:41], v[20:21], v[24:25], v[26:27]
	s_delay_alu instid0(VALU_DEP_2) | instskip(SKIP_1) | instid1(VALU_DEP_2)
	v_div_fixup_f64 v[22:23], v[38:39], v[22:23], 1.0
	v_fma_f64 v[38:39], v[20:21], v[26:27], -v[24:25]
	v_mul_f64_e32 v[20:21], v[40:41], v[22:23]
	s_delay_alu instid0(VALU_DEP_2)
	v_mul_f64_e32 v[22:23], v[38:39], v[22:23]
.LBB213_126:                            ;   in Loop: Header=BB213_114 Depth=2
	s_and_not1_b32 vcc_lo, exec_lo, s27
	s_cbranch_vccnz .LBB213_128
; %bb.127:                              ;   in Loop: Header=BB213_114 Depth=2
	v_div_scale_f64 v[20:21], null, v[8:9], v[8:9], v[10:11]
	v_div_scale_f64 v[40:41], vcc_lo, v[10:11], v[8:9], v[10:11]
	s_delay_alu instid0(VALU_DEP_2) | instskip(SKIP_1) | instid1(TRANS32_DEP_1)
	v_rcp_f64_e32 v[22:23], v[20:21]
	v_nop
	v_fma_f64 v[38:39], -v[20:21], v[22:23], 1.0
	s_delay_alu instid0(VALU_DEP_1) | instskip(NEXT) | instid1(VALU_DEP_1)
	v_fmac_f64_e32 v[22:23], v[22:23], v[38:39]
	v_fma_f64 v[38:39], -v[20:21], v[22:23], 1.0
	s_delay_alu instid0(VALU_DEP_1) | instskip(NEXT) | instid1(VALU_DEP_1)
	v_fmac_f64_e32 v[22:23], v[22:23], v[38:39]
	v_mul_f64_e32 v[38:39], v[40:41], v[22:23]
	s_delay_alu instid0(VALU_DEP_1) | instskip(NEXT) | instid1(VALU_DEP_1)
	v_fma_f64 v[20:21], -v[20:21], v[38:39], v[40:41]
	v_div_fmas_f64 v[20:21], v[20:21], v[22:23], v[38:39]
	s_delay_alu instid0(VALU_DEP_1) | instskip(NEXT) | instid1(VALU_DEP_1)
	v_div_fixup_f64 v[20:21], v[20:21], v[8:9], v[10:11]
	v_fmac_f64_e32 v[8:9], v[10:11], v[20:21]
	s_delay_alu instid0(VALU_DEP_1) | instskip(SKIP_1) | instid1(VALU_DEP_2)
	v_div_scale_f64 v[10:11], null, v[8:9], v[8:9], 1.0
	v_div_scale_f64 v[40:41], vcc_lo, 1.0, v[8:9], 1.0
	v_rcp_f64_e32 v[22:23], v[10:11]
	v_nop
	s_delay_alu instid0(TRANS32_DEP_1) | instskip(NEXT) | instid1(VALU_DEP_1)
	v_fma_f64 v[38:39], -v[10:11], v[22:23], 1.0
	v_fmac_f64_e32 v[22:23], v[22:23], v[38:39]
	s_delay_alu instid0(VALU_DEP_1) | instskip(NEXT) | instid1(VALU_DEP_1)
	v_fma_f64 v[38:39], -v[10:11], v[22:23], 1.0
	v_fmac_f64_e32 v[22:23], v[22:23], v[38:39]
	s_delay_alu instid0(VALU_DEP_1) | instskip(NEXT) | instid1(VALU_DEP_1)
	v_mul_f64_e32 v[38:39], v[40:41], v[22:23]
	v_fma_f64 v[10:11], -v[10:11], v[38:39], v[40:41]
	s_delay_alu instid0(VALU_DEP_1) | instskip(SKIP_1) | instid1(VALU_DEP_2)
	v_div_fmas_f64 v[10:11], v[10:11], v[22:23], v[38:39]
	v_fma_f64 v[22:23], v[20:21], v[26:27], v[24:25]
	v_div_fixup_f64 v[8:9], v[10:11], v[8:9], 1.0
	v_fma_f64 v[10:11], -v[20:21], v[24:25], v[26:27]
	s_delay_alu instid0(VALU_DEP_2) | instskip(NEXT) | instid1(VALU_DEP_2)
	v_mul_f64_e32 v[20:21], v[22:23], v[8:9]
	v_mul_f64_e32 v[22:23], v[10:11], v[8:9]
.LBB213_128:                            ;   in Loop: Header=BB213_114 Depth=2
	v_mov_b32_e32 v44, s26
	ds_load_b128 v[8:11], v44 offset:192
	ds_load_b128 v[24:27], v44 offset:208
	s_wait_dscnt 0x1
	v_mul_f64_e32 v[38:39], v[14:15], v[10:11]
	v_mul_f64_e32 v[40:41], v[12:13], v[10:11]
	s_wait_dscnt 0x0
	v_mul_f64_e32 v[42:43], v[18:19], v[26:27]
	v_mul_f64_e32 v[26:27], v[16:17], v[26:27]
	s_delay_alu instid0(VALU_DEP_4) | instskip(NEXT) | instid1(VALU_DEP_4)
	v_fma_f64 v[38:39], v[12:13], v[8:9], -v[38:39]
	v_fmac_f64_e32 v[40:41], v[14:15], v[8:9]
	ds_load_b128 v[12:15], v44 offset:224
	ds_load_b128 v[8:11], v44 offset:240
	v_fma_f64 v[16:17], v[16:17], v[24:25], -v[42:43]
	v_fmac_f64_e32 v[26:27], v[18:19], v[24:25]
	ds_store_b128 v37, v[20:23] offset:384
	s_wait_dscnt 0x2
	v_mul_f64_e32 v[44:45], v[22:23], v[14:15]
	v_mul_f64_e32 v[14:15], v[20:21], v[14:15]
	s_wait_dscnt 0x1
	v_cmp_ngt_f64_e64 s26, |v[8:9]|, |v[10:11]|
	v_add_f64_e64 v[4:5], v[4:5], -v[38:39]
	v_add_f64_e64 v[6:7], v[6:7], -v[40:41]
	v_fma_f64 v[18:19], v[20:21], v[12:13], -v[44:45]
	v_fmac_f64_e32 v[14:15], v[22:23], v[12:13]
	s_and_b32 vcc_lo, exec_lo, s26
	s_mov_b32 s26, -1
	s_delay_alu instid0(VALU_DEP_4) | instskip(NEXT) | instid1(VALU_DEP_4)
	v_add_f64_e64 v[4:5], v[4:5], -v[16:17]
	v_add_f64_e64 v[6:7], v[6:7], -v[26:27]
	s_delay_alu instid0(VALU_DEP_2) | instskip(NEXT) | instid1(VALU_DEP_2)
	v_add_f64_e64 v[12:13], v[4:5], -v[18:19]
	v_add_f64_e64 v[14:15], v[6:7], -v[14:15]
                                        ; implicit-def: $vgpr6_vgpr7
	s_cbranch_vccz .LBB213_130
; %bb.129:                              ;   in Loop: Header=BB213_114 Depth=2
	v_div_scale_f64 v[4:5], null, v[10:11], v[10:11], v[8:9]
	v_div_scale_f64 v[18:19], vcc_lo, v[8:9], v[10:11], v[8:9]
	s_mov_b32 s26, 0
	v_rcp_f64_e32 v[6:7], v[4:5]
	v_nop
	s_delay_alu instid0(TRANS32_DEP_1) | instskip(NEXT) | instid1(VALU_DEP_1)
	v_fma_f64 v[16:17], -v[4:5], v[6:7], 1.0
	v_fmac_f64_e32 v[6:7], v[6:7], v[16:17]
	s_delay_alu instid0(VALU_DEP_1) | instskip(NEXT) | instid1(VALU_DEP_1)
	v_fma_f64 v[16:17], -v[4:5], v[6:7], 1.0
	v_fmac_f64_e32 v[6:7], v[6:7], v[16:17]
	s_delay_alu instid0(VALU_DEP_1) | instskip(NEXT) | instid1(VALU_DEP_1)
	v_mul_f64_e32 v[16:17], v[18:19], v[6:7]
	v_fma_f64 v[4:5], -v[4:5], v[16:17], v[18:19]
	s_delay_alu instid0(VALU_DEP_1) | instskip(NEXT) | instid1(VALU_DEP_1)
	v_div_fmas_f64 v[4:5], v[4:5], v[6:7], v[16:17]
	v_div_fixup_f64 v[4:5], v[4:5], v[10:11], v[8:9]
	s_delay_alu instid0(VALU_DEP_1) | instskip(NEXT) | instid1(VALU_DEP_1)
	v_fma_f64 v[6:7], v[8:9], v[4:5], v[10:11]
	v_div_scale_f64 v[16:17], null, v[6:7], v[6:7], 1.0
	v_div_scale_f64 v[22:23], vcc_lo, 1.0, v[6:7], 1.0
	s_delay_alu instid0(VALU_DEP_2) | instskip(SKIP_1) | instid1(TRANS32_DEP_1)
	v_rcp_f64_e32 v[18:19], v[16:17]
	v_nop
	v_fma_f64 v[20:21], -v[16:17], v[18:19], 1.0
	s_delay_alu instid0(VALU_DEP_1) | instskip(NEXT) | instid1(VALU_DEP_1)
	v_fmac_f64_e32 v[18:19], v[18:19], v[20:21]
	v_fma_f64 v[20:21], -v[16:17], v[18:19], 1.0
	s_delay_alu instid0(VALU_DEP_1) | instskip(NEXT) | instid1(VALU_DEP_1)
	v_fmac_f64_e32 v[18:19], v[18:19], v[20:21]
	v_mul_f64_e32 v[20:21], v[22:23], v[18:19]
	s_delay_alu instid0(VALU_DEP_1) | instskip(NEXT) | instid1(VALU_DEP_1)
	v_fma_f64 v[16:17], -v[16:17], v[20:21], v[22:23]
	v_div_fmas_f64 v[16:17], v[16:17], v[18:19], v[20:21]
	v_fma_f64 v[18:19], v[4:5], v[12:13], v[14:15]
	s_delay_alu instid0(VALU_DEP_2) | instskip(SKIP_1) | instid1(VALU_DEP_2)
	v_div_fixup_f64 v[6:7], v[16:17], v[6:7], 1.0
	v_fma_f64 v[16:17], v[4:5], v[14:15], -v[12:13]
	v_mul_f64_e32 v[4:5], v[18:19], v[6:7]
	s_delay_alu instid0(VALU_DEP_2)
	v_mul_f64_e32 v[6:7], v[16:17], v[6:7]
.LBB213_130:                            ;   in Loop: Header=BB213_114 Depth=2
	s_and_not1_b32 vcc_lo, exec_lo, s26
	s_cbranch_vccnz .LBB213_132
; %bb.131:                              ;   in Loop: Header=BB213_114 Depth=2
	v_div_scale_f64 v[4:5], null, v[8:9], v[8:9], v[10:11]
	v_div_scale_f64 v[18:19], vcc_lo, v[10:11], v[8:9], v[10:11]
	s_delay_alu instid0(VALU_DEP_2) | instskip(SKIP_1) | instid1(TRANS32_DEP_1)
	v_rcp_f64_e32 v[6:7], v[4:5]
	v_nop
	v_fma_f64 v[16:17], -v[4:5], v[6:7], 1.0
	s_delay_alu instid0(VALU_DEP_1) | instskip(NEXT) | instid1(VALU_DEP_1)
	v_fmac_f64_e32 v[6:7], v[6:7], v[16:17]
	v_fma_f64 v[16:17], -v[4:5], v[6:7], 1.0
	s_delay_alu instid0(VALU_DEP_1) | instskip(NEXT) | instid1(VALU_DEP_1)
	v_fmac_f64_e32 v[6:7], v[6:7], v[16:17]
	v_mul_f64_e32 v[16:17], v[18:19], v[6:7]
	s_delay_alu instid0(VALU_DEP_1) | instskip(NEXT) | instid1(VALU_DEP_1)
	v_fma_f64 v[4:5], -v[4:5], v[16:17], v[18:19]
	v_div_fmas_f64 v[4:5], v[4:5], v[6:7], v[16:17]
	s_delay_alu instid0(VALU_DEP_1) | instskip(NEXT) | instid1(VALU_DEP_1)
	v_div_fixup_f64 v[4:5], v[4:5], v[8:9], v[10:11]
	v_fmac_f64_e32 v[8:9], v[10:11], v[4:5]
	s_delay_alu instid0(VALU_DEP_1) | instskip(SKIP_1) | instid1(VALU_DEP_2)
	v_div_scale_f64 v[6:7], null, v[8:9], v[8:9], 1.0
	v_div_scale_f64 v[18:19], vcc_lo, 1.0, v[8:9], 1.0
	v_rcp_f64_e32 v[10:11], v[6:7]
	v_nop
	s_delay_alu instid0(TRANS32_DEP_1) | instskip(NEXT) | instid1(VALU_DEP_1)
	v_fma_f64 v[16:17], -v[6:7], v[10:11], 1.0
	v_fmac_f64_e32 v[10:11], v[10:11], v[16:17]
	s_delay_alu instid0(VALU_DEP_1) | instskip(NEXT) | instid1(VALU_DEP_1)
	v_fma_f64 v[16:17], -v[6:7], v[10:11], 1.0
	v_fmac_f64_e32 v[10:11], v[10:11], v[16:17]
	s_delay_alu instid0(VALU_DEP_1) | instskip(NEXT) | instid1(VALU_DEP_1)
	v_mul_f64_e32 v[16:17], v[18:19], v[10:11]
	v_fma_f64 v[6:7], -v[6:7], v[16:17], v[18:19]
	s_delay_alu instid0(VALU_DEP_1) | instskip(SKIP_1) | instid1(VALU_DEP_2)
	v_div_fmas_f64 v[6:7], v[6:7], v[10:11], v[16:17]
	v_fma_f64 v[10:11], v[4:5], v[14:15], v[12:13]
	v_div_fixup_f64 v[6:7], v[6:7], v[8:9], 1.0
	v_fma_f64 v[8:9], -v[4:5], v[12:13], v[14:15]
	s_delay_alu instid0(VALU_DEP_2) | instskip(NEXT) | instid1(VALU_DEP_2)
	v_mul_f64_e32 v[4:5], v[10:11], v[6:7]
	v_mul_f64_e32 v[6:7], v[8:9], v[6:7]
.LBB213_132:                            ;   in Loop: Header=BB213_114 Depth=2
	s_add_co_i32 s26, s25, 4
	s_add_co_i32 s25, s25, 7
	s_addk_co_i32 s24, 0x300
	s_cmp_ge_i32 s25, s29
	ds_store_b128 v37, v[4:7] offset:576
	s_cbranch_scc1 .LBB213_134
; %bb.133:                              ;   in Loop: Header=BB213_114 Depth=2
	s_mov_b32 s25, s26
	s_branch .LBB213_114
.LBB213_134:                            ;   in Loop: Header=BB213_3 Depth=1
	s_cmp_ge_i32 s26, s29
	s_cbranch_scc1 .LBB213_143
; %bb.135:                              ;   in Loop: Header=BB213_3 Depth=1
	s_mul_i32 s24, s26, 0xc0
	s_branch .LBB213_137
.LBB213_136:                            ;   in Loop: Header=BB213_137 Depth=2
	s_add_co_i32 s26, s26, 1
	s_addk_co_i32 s24, 0xc0
	s_cmp_ge_i32 s26, s29
	ds_store_b128 v16, v[12:15]
	s_cbranch_scc1 .LBB213_143
.LBB213_137:                            ;   Parent Loop BB213_3 Depth=1
                                        ; =>  This Loop Header: Depth=2
                                        ;       Child Loop BB213_138 Depth 3
	v_mad_u32 v16, 0xc0, s26, v34
	v_mov_b32_e32 v8, v34
	s_cmp_eq_u32 s26, 0
	s_mov_b32 s25, s24
	s_mov_b32 s27, s26
	ds_load_b128 v[4:7], v16
	s_cbranch_scc1 .LBB213_139
.LBB213_138:                            ;   Parent Loop BB213_3 Depth=1
                                        ;     Parent Loop BB213_137 Depth=2
                                        ; =>    This Inner Loop Header: Depth=3
	v_mov_b32_e32 v9, s25
	s_add_co_i32 s27, s27, -1
	s_add_co_i32 s25, s25, 16
	s_cmp_eq_u32 s27, 0
	ds_load_b128 v[10:13], v8
	ds_load_b128 v[18:21], v9
	v_add_nc_u32_e32 v8, 0xc0, v8
	s_wait_dscnt 0x0
	v_mul_f64_e32 v[14:15], v[20:21], v[12:13]
	v_mul_f64_e32 v[12:13], v[18:19], v[12:13]
	s_delay_alu instid0(VALU_DEP_2) | instskip(NEXT) | instid1(VALU_DEP_2)
	v_fma_f64 v[14:15], v[18:19], v[10:11], -v[14:15]
	v_fmac_f64_e32 v[12:13], v[20:21], v[10:11]
	s_delay_alu instid0(VALU_DEP_2) | instskip(NEXT) | instid1(VALU_DEP_2)
	v_add_f64_e64 v[4:5], v[4:5], -v[14:15]
	v_add_f64_e64 v[6:7], v[6:7], -v[12:13]
	s_cbranch_scc0 .LBB213_138
.LBB213_139:                            ;   in Loop: Header=BB213_137 Depth=2
	s_mul_i32 s25, s26, 0xd0
                                        ; implicit-def: $vgpr12_vgpr13
	s_delay_alu instid0(SALU_CYCLE_1)
	v_mov_b32_e32 v8, s25
	ds_load_b128 v[8:11], v8
	s_wait_dscnt 0x0
	v_cmp_ngt_f64_e64 s25, |v[8:9]|, |v[10:11]|
	s_and_b32 vcc_lo, exec_lo, s25
	s_mov_b32 s25, -1
	s_cbranch_vccz .LBB213_141
; %bb.140:                              ;   in Loop: Header=BB213_137 Depth=2
	v_div_scale_f64 v[12:13], null, v[10:11], v[10:11], v[8:9]
	v_div_scale_f64 v[20:21], vcc_lo, v[8:9], v[10:11], v[8:9]
	s_mov_b32 s25, 0
	v_rcp_f64_e32 v[14:15], v[12:13]
	v_nop
	s_delay_alu instid0(TRANS32_DEP_1) | instskip(NEXT) | instid1(VALU_DEP_1)
	v_fma_f64 v[18:19], -v[12:13], v[14:15], 1.0
	v_fmac_f64_e32 v[14:15], v[14:15], v[18:19]
	s_delay_alu instid0(VALU_DEP_1) | instskip(NEXT) | instid1(VALU_DEP_1)
	v_fma_f64 v[18:19], -v[12:13], v[14:15], 1.0
	v_fmac_f64_e32 v[14:15], v[14:15], v[18:19]
	s_delay_alu instid0(VALU_DEP_1) | instskip(NEXT) | instid1(VALU_DEP_1)
	v_mul_f64_e32 v[18:19], v[20:21], v[14:15]
	v_fma_f64 v[12:13], -v[12:13], v[18:19], v[20:21]
	s_delay_alu instid0(VALU_DEP_1) | instskip(NEXT) | instid1(VALU_DEP_1)
	v_div_fmas_f64 v[12:13], v[12:13], v[14:15], v[18:19]
	v_div_fixup_f64 v[12:13], v[12:13], v[10:11], v[8:9]
	s_delay_alu instid0(VALU_DEP_1) | instskip(NEXT) | instid1(VALU_DEP_1)
	v_fma_f64 v[14:15], v[8:9], v[12:13], v[10:11]
	v_div_scale_f64 v[18:19], null, v[14:15], v[14:15], 1.0
	v_div_scale_f64 v[24:25], vcc_lo, 1.0, v[14:15], 1.0
	s_delay_alu instid0(VALU_DEP_2) | instskip(SKIP_1) | instid1(TRANS32_DEP_1)
	v_rcp_f64_e32 v[20:21], v[18:19]
	v_nop
	v_fma_f64 v[22:23], -v[18:19], v[20:21], 1.0
	s_delay_alu instid0(VALU_DEP_1) | instskip(NEXT) | instid1(VALU_DEP_1)
	v_fmac_f64_e32 v[20:21], v[20:21], v[22:23]
	v_fma_f64 v[22:23], -v[18:19], v[20:21], 1.0
	s_delay_alu instid0(VALU_DEP_1) | instskip(NEXT) | instid1(VALU_DEP_1)
	v_fmac_f64_e32 v[20:21], v[20:21], v[22:23]
	v_mul_f64_e32 v[22:23], v[24:25], v[20:21]
	s_delay_alu instid0(VALU_DEP_1) | instskip(NEXT) | instid1(VALU_DEP_1)
	v_fma_f64 v[18:19], -v[18:19], v[22:23], v[24:25]
	v_div_fmas_f64 v[18:19], v[18:19], v[20:21], v[22:23]
	v_fma_f64 v[20:21], v[4:5], v[12:13], v[6:7]
	s_delay_alu instid0(VALU_DEP_2) | instskip(SKIP_1) | instid1(VALU_DEP_2)
	v_div_fixup_f64 v[14:15], v[18:19], v[14:15], 1.0
	v_fma_f64 v[18:19], v[6:7], v[12:13], -v[4:5]
	v_mul_f64_e32 v[12:13], v[20:21], v[14:15]
	s_delay_alu instid0(VALU_DEP_2)
	v_mul_f64_e32 v[14:15], v[18:19], v[14:15]
.LBB213_141:                            ;   in Loop: Header=BB213_137 Depth=2
	s_and_not1_b32 vcc_lo, exec_lo, s25
	s_cbranch_vccnz .LBB213_136
; %bb.142:                              ;   in Loop: Header=BB213_137 Depth=2
	v_div_scale_f64 v[12:13], null, v[8:9], v[8:9], v[10:11]
	v_div_scale_f64 v[20:21], vcc_lo, v[10:11], v[8:9], v[10:11]
	s_delay_alu instid0(VALU_DEP_2) | instskip(SKIP_1) | instid1(TRANS32_DEP_1)
	v_rcp_f64_e32 v[14:15], v[12:13]
	v_nop
	v_fma_f64 v[18:19], -v[12:13], v[14:15], 1.0
	s_delay_alu instid0(VALU_DEP_1) | instskip(NEXT) | instid1(VALU_DEP_1)
	v_fmac_f64_e32 v[14:15], v[14:15], v[18:19]
	v_fma_f64 v[18:19], -v[12:13], v[14:15], 1.0
	s_delay_alu instid0(VALU_DEP_1) | instskip(NEXT) | instid1(VALU_DEP_1)
	v_fmac_f64_e32 v[14:15], v[14:15], v[18:19]
	v_mul_f64_e32 v[18:19], v[20:21], v[14:15]
	s_delay_alu instid0(VALU_DEP_1) | instskip(NEXT) | instid1(VALU_DEP_1)
	v_fma_f64 v[12:13], -v[12:13], v[18:19], v[20:21]
	v_div_fmas_f64 v[12:13], v[12:13], v[14:15], v[18:19]
	s_delay_alu instid0(VALU_DEP_1) | instskip(NEXT) | instid1(VALU_DEP_1)
	v_div_fixup_f64 v[12:13], v[12:13], v[8:9], v[10:11]
	v_fmac_f64_e32 v[8:9], v[10:11], v[12:13]
	s_delay_alu instid0(VALU_DEP_1) | instskip(SKIP_1) | instid1(VALU_DEP_2)
	v_div_scale_f64 v[10:11], null, v[8:9], v[8:9], 1.0
	v_div_scale_f64 v[20:21], vcc_lo, 1.0, v[8:9], 1.0
	v_rcp_f64_e32 v[14:15], v[10:11]
	v_nop
	s_delay_alu instid0(TRANS32_DEP_1) | instskip(NEXT) | instid1(VALU_DEP_1)
	v_fma_f64 v[18:19], -v[10:11], v[14:15], 1.0
	v_fmac_f64_e32 v[14:15], v[14:15], v[18:19]
	s_delay_alu instid0(VALU_DEP_1) | instskip(NEXT) | instid1(VALU_DEP_1)
	v_fma_f64 v[18:19], -v[10:11], v[14:15], 1.0
	v_fmac_f64_e32 v[14:15], v[14:15], v[18:19]
	s_delay_alu instid0(VALU_DEP_1) | instskip(NEXT) | instid1(VALU_DEP_1)
	v_mul_f64_e32 v[18:19], v[20:21], v[14:15]
	v_fma_f64 v[10:11], -v[10:11], v[18:19], v[20:21]
	s_delay_alu instid0(VALU_DEP_1) | instskip(SKIP_2) | instid1(VALU_DEP_3)
	v_div_fmas_f64 v[10:11], v[10:11], v[14:15], v[18:19]
	v_fma_f64 v[14:15], v[6:7], v[12:13], v[4:5]
	v_fma_f64 v[4:5], -v[4:5], v[12:13], v[6:7]
	v_div_fixup_f64 v[8:9], v[10:11], v[8:9], 1.0
	s_delay_alu instid0(VALU_DEP_1) | instskip(NEXT) | instid1(VALU_DEP_3)
	v_mul_f64_e32 v[12:13], v[14:15], v[8:9]
	v_mul_f64_e32 v[14:15], v[4:5], v[8:9]
	s_branch .LBB213_136
.LBB213_143:                            ;   in Loop: Header=BB213_3 Depth=1
	s_and_saveexec_b32 s24, s35
	s_cbranch_execz .LBB213_2
; %bb.144:                              ;   in Loop: Header=BB213_3 Depth=1
	v_add_nc_u64_e32 v[4:5], s[16:17], v[0:1]
	v_mov_b32_e32 v6, v34
	s_mov_b32 s16, s28
.LBB213_145:                            ;   Parent Loop BB213_3 Depth=1
                                        ; =>  This Inner Loop Header: Depth=2
	ds_load_2addr_b64 v[8:11], v6 offset1:1
	v_add_nc_u32_e32 v6, 0xc0, v6
	s_add_co_i32 s16, s16, -1
	s_delay_alu instid0(SALU_CYCLE_1)
	s_cmp_lg_u32 s16, 0
	s_wait_dscnt 0x0
	global_store_b128 v[4:5], v[8:11], off
	s_wait_xcnt 0x0
	v_add_nc_u64_e32 v[4:5], s[14:15], v[4:5]
	s_cbranch_scc1 .LBB213_145
	s_branch .LBB213_2
.LBB213_146:
	s_endpgm
	.section	.rodata,"a",@progbits
	.p2align	6, 0x0
	.amdhsa_kernel _ZL31rocblas_trsm_small_right_deviceI19rocblas_complex_numIdES1_PKS1_PS1_Li12EEv13rocblas_fill_18rocblas_operation_17rocblas_diagonal_iiT0_T1_lilT2_lili
		.amdhsa_group_segment_fixed_size 4608
		.amdhsa_private_segment_fixed_size 0
		.amdhsa_kernarg_size 368
		.amdhsa_user_sgpr_count 2
		.amdhsa_user_sgpr_dispatch_ptr 0
		.amdhsa_user_sgpr_queue_ptr 0
		.amdhsa_user_sgpr_kernarg_segment_ptr 1
		.amdhsa_user_sgpr_dispatch_id 0
		.amdhsa_user_sgpr_kernarg_preload_length 0
		.amdhsa_user_sgpr_kernarg_preload_offset 0
		.amdhsa_user_sgpr_private_segment_size 0
		.amdhsa_wavefront_size32 1
		.amdhsa_uses_dynamic_stack 0
		.amdhsa_enable_private_segment 0
		.amdhsa_system_sgpr_workgroup_id_x 1
		.amdhsa_system_sgpr_workgroup_id_y 0
		.amdhsa_system_sgpr_workgroup_id_z 1
		.amdhsa_system_sgpr_workgroup_info 0
		.amdhsa_system_vgpr_workitem_id 0
		.amdhsa_next_free_vgpr 62
		.amdhsa_next_free_sgpr 40
		.amdhsa_named_barrier_count 0
		.amdhsa_reserve_vcc 1
		.amdhsa_float_round_mode_32 0
		.amdhsa_float_round_mode_16_64 0
		.amdhsa_float_denorm_mode_32 3
		.amdhsa_float_denorm_mode_16_64 3
		.amdhsa_fp16_overflow 0
		.amdhsa_memory_ordered 1
		.amdhsa_forward_progress 1
		.amdhsa_inst_pref_size 117
		.amdhsa_round_robin_scheduling 0
		.amdhsa_exception_fp_ieee_invalid_op 0
		.amdhsa_exception_fp_denorm_src 0
		.amdhsa_exception_fp_ieee_div_zero 0
		.amdhsa_exception_fp_ieee_overflow 0
		.amdhsa_exception_fp_ieee_underflow 0
		.amdhsa_exception_fp_ieee_inexact 0
		.amdhsa_exception_int_div_zero 0
	.end_amdhsa_kernel
	.section	.text._ZL31rocblas_trsm_small_right_deviceI19rocblas_complex_numIdES1_PKS1_PS1_Li12EEv13rocblas_fill_18rocblas_operation_17rocblas_diagonal_iiT0_T1_lilT2_lili,"axG",@progbits,_ZL31rocblas_trsm_small_right_deviceI19rocblas_complex_numIdES1_PKS1_PS1_Li12EEv13rocblas_fill_18rocblas_operation_17rocblas_diagonal_iiT0_T1_lilT2_lili,comdat
.Lfunc_end213:
	.size	_ZL31rocblas_trsm_small_right_deviceI19rocblas_complex_numIdES1_PKS1_PS1_Li12EEv13rocblas_fill_18rocblas_operation_17rocblas_diagonal_iiT0_T1_lilT2_lili, .Lfunc_end213-_ZL31rocblas_trsm_small_right_deviceI19rocblas_complex_numIdES1_PKS1_PS1_Li12EEv13rocblas_fill_18rocblas_operation_17rocblas_diagonal_iiT0_T1_lilT2_lili
                                        ; -- End function
	.set _ZL31rocblas_trsm_small_right_deviceI19rocblas_complex_numIdES1_PKS1_PS1_Li12EEv13rocblas_fill_18rocblas_operation_17rocblas_diagonal_iiT0_T1_lilT2_lili.num_vgpr, 62
	.set _ZL31rocblas_trsm_small_right_deviceI19rocblas_complex_numIdES1_PKS1_PS1_Li12EEv13rocblas_fill_18rocblas_operation_17rocblas_diagonal_iiT0_T1_lilT2_lili.num_agpr, 0
	.set _ZL31rocblas_trsm_small_right_deviceI19rocblas_complex_numIdES1_PKS1_PS1_Li12EEv13rocblas_fill_18rocblas_operation_17rocblas_diagonal_iiT0_T1_lilT2_lili.numbered_sgpr, 40
	.set _ZL31rocblas_trsm_small_right_deviceI19rocblas_complex_numIdES1_PKS1_PS1_Li12EEv13rocblas_fill_18rocblas_operation_17rocblas_diagonal_iiT0_T1_lilT2_lili.num_named_barrier, 0
	.set _ZL31rocblas_trsm_small_right_deviceI19rocblas_complex_numIdES1_PKS1_PS1_Li12EEv13rocblas_fill_18rocblas_operation_17rocblas_diagonal_iiT0_T1_lilT2_lili.private_seg_size, 0
	.set _ZL31rocblas_trsm_small_right_deviceI19rocblas_complex_numIdES1_PKS1_PS1_Li12EEv13rocblas_fill_18rocblas_operation_17rocblas_diagonal_iiT0_T1_lilT2_lili.uses_vcc, 1
	.set _ZL31rocblas_trsm_small_right_deviceI19rocblas_complex_numIdES1_PKS1_PS1_Li12EEv13rocblas_fill_18rocblas_operation_17rocblas_diagonal_iiT0_T1_lilT2_lili.uses_flat_scratch, 0
	.set _ZL31rocblas_trsm_small_right_deviceI19rocblas_complex_numIdES1_PKS1_PS1_Li12EEv13rocblas_fill_18rocblas_operation_17rocblas_diagonal_iiT0_T1_lilT2_lili.has_dyn_sized_stack, 0
	.set _ZL31rocblas_trsm_small_right_deviceI19rocblas_complex_numIdES1_PKS1_PS1_Li12EEv13rocblas_fill_18rocblas_operation_17rocblas_diagonal_iiT0_T1_lilT2_lili.has_recursion, 0
	.set _ZL31rocblas_trsm_small_right_deviceI19rocblas_complex_numIdES1_PKS1_PS1_Li12EEv13rocblas_fill_18rocblas_operation_17rocblas_diagonal_iiT0_T1_lilT2_lili.has_indirect_call, 0
	.section	.AMDGPU.csdata,"",@progbits
; Kernel info:
; codeLenInByte = 14968
; TotalNumSgprs: 42
; NumVgprs: 62
; ScratchSize: 0
; MemoryBound: 0
; FloatMode: 240
; IeeeMode: 1
; LDSByteSize: 4608 bytes/workgroup (compile time only)
; SGPRBlocks: 0
; VGPRBlocks: 3
; NumSGPRsForWavesPerEU: 42
; NumVGPRsForWavesPerEU: 62
; NamedBarCnt: 0
; Occupancy: 16
; WaveLimiterHint : 0
; COMPUTE_PGM_RSRC2:SCRATCH_EN: 0
; COMPUTE_PGM_RSRC2:USER_SGPR: 2
; COMPUTE_PGM_RSRC2:TRAP_HANDLER: 0
; COMPUTE_PGM_RSRC2:TGID_X_EN: 1
; COMPUTE_PGM_RSRC2:TGID_Y_EN: 0
; COMPUTE_PGM_RSRC2:TGID_Z_EN: 1
; COMPUTE_PGM_RSRC2:TIDIG_COMP_CNT: 0
	.section	.text._ZL38rocblas_trsm_small_left_device_sharedBILi16ELi16ELb0E19rocblas_complex_numIdES1_PKS1_PS1_Ev13rocblas_fill_18rocblas_operation_17rocblas_diagonal_iiT3_T4_lilT5_lili,"axG",@progbits,_ZL38rocblas_trsm_small_left_device_sharedBILi16ELi16ELb0E19rocblas_complex_numIdES1_PKS1_PS1_Ev13rocblas_fill_18rocblas_operation_17rocblas_diagonal_iiT3_T4_lilT5_lili,comdat
	.globl	_ZL38rocblas_trsm_small_left_device_sharedBILi16ELi16ELb0E19rocblas_complex_numIdES1_PKS1_PS1_Ev13rocblas_fill_18rocblas_operation_17rocblas_diagonal_iiT3_T4_lilT5_lili ; -- Begin function _ZL38rocblas_trsm_small_left_device_sharedBILi16ELi16ELb0E19rocblas_complex_numIdES1_PKS1_PS1_Ev13rocblas_fill_18rocblas_operation_17rocblas_diagonal_iiT3_T4_lilT5_lili
	.p2align	8
	.type	_ZL38rocblas_trsm_small_left_device_sharedBILi16ELi16ELb0E19rocblas_complex_numIdES1_PKS1_PS1_Ev13rocblas_fill_18rocblas_operation_17rocblas_diagonal_iiT3_T4_lilT5_lili,@function
_ZL38rocblas_trsm_small_left_device_sharedBILi16ELi16ELb0E19rocblas_complex_numIdES1_PKS1_PS1_Ev13rocblas_fill_18rocblas_operation_17rocblas_diagonal_iiT3_T4_lilT5_lili: ; @_ZL38rocblas_trsm_small_left_device_sharedBILi16ELi16ELb0E19rocblas_complex_numIdES1_PKS1_PS1_Ev13rocblas_fill_18rocblas_operation_17rocblas_diagonal_iiT3_T4_lilT5_lili
; %bb.0:
	s_load_b32 s3, s[0:1], 0x68
	s_bfe_u32 s2, ttmp6, 0x40014
	s_lshr_b32 s5, ttmp7, 16
	s_add_co_i32 s2, s2, 1
	s_bfe_u32 s6, ttmp6, 0x40008
	s_mul_i32 s2, s5, s2
	s_getreg_b32 s4, hwreg(HW_REG_IB_STS2, 6, 4)
	s_add_co_i32 s6, s6, s2
	s_cmp_eq_u32 s4, 0
	s_mov_b32 s21, 0
	s_cselect_b32 s20, s5, s6
	s_wait_kmcnt 0x0
	s_cmp_ge_u32 s20, s3
	s_cbranch_scc1 .LBB214_62
; %bb.1:
	s_clause 0x5
	s_load_b32 s26, s[0:1], 0x38
	s_load_b96 s[16:18], s[0:1], 0x50
	s_load_b128 s[8:11], s[0:1], 0x4
	s_load_b32 s5, s[0:1], 0x70
	s_load_b64 s[28:29], s[0:1], 0x60
	s_load_b128 s[12:15], s[0:1], 0x40
	v_dual_mov_b32 v9, 0 :: v_dual_lshlrev_b32 v8, 4, v0
	s_wait_kmcnt 0x0
	s_ashr_i32 s27, s26, 31
	s_ashr_i32 s25, s18, 31
	s_cmp_eq_u32 s8, 0x71
	s_cselect_b32 s2, -1, 0
	s_bfe_u32 s6, ttmp6, 0x4000c
	s_min_i32 s19, s10, 16
	s_add_co_i32 s6, s6, 1
	s_and_b32 s7, ttmp6, 15
	s_mul_i32 s6, ttmp9, s6
	s_add_co_i32 s5, s5, -1
	s_add_co_i32 s22, s19, -1
	s_add_co_i32 s7, s7, s6
	s_cmp_eq_u32 s4, 0
	s_cselect_b32 s6, ttmp9, s7
	s_delay_alu instid0(SALU_CYCLE_1) | instskip(NEXT) | instid1(SALU_CYCLE_1)
	s_lshl_b32 s4, s6, 4
	s_sub_co_i32 s7, s11, s4
	s_cmp_ge_u32 s6, s5
	s_cselect_b32 s33, s7, 16
	s_ashr_i32 s5, s4, 31
	s_cmp_lg_u32 s9, 0x84
	v_cmp_gt_i32_e32 vcc_lo, s33, v0
	s_cselect_b32 s23, -1, 0
	s_cmp_gt_i32 s10, 0
	s_cselect_b32 s34, -1, 0
	s_cmp_lg_u32 s8, 0x6f
	s_cselect_b32 s24, -1, 0
	s_lshl_b64 s[30:31], s[4:5], 4
	s_lshl_b64 s[4:5], s[16:17], 4
	v_or_b32_e32 v1, s30, v8
	s_add_nc_u64 s[14:15], s[14:15], s[4:5]
	s_load_b256 s[4:11], s[0:1], 0x18
	s_delay_alu instid0(VALU_DEP_1) | instskip(SKIP_1) | instid1(VALU_DEP_1)
	v_mad_nc_u64_u32 v[10:11], v1, s18, s[14:15]
	s_lshl_b64 s[14:15], s[28:29], 4
	v_mad_u32 v2, s31, s18, v11
	s_or_b32 s18, 0, 8
	s_wait_kmcnt 0x0
	s_lshl_b64 s[0:1], s[10:11], 4
	s_lshl_b64 s[10:11], s[26:27], 4
	s_add_nc_u64 s[0:1], s[8:9], s[0:1]
	s_lshl_b64 s[8:9], s[12:13], 4
	s_get_pc_i64 s[12:13]
	s_add_nc_u64 s[12:13], s[12:13], __const._ZL38rocblas_trsm_small_left_device_sharedBILi16ELi16ELb0E19rocblas_complex_numIdES1_PKS1_PS1_Ev13rocblas_fill_18rocblas_operation_17rocblas_diagonal_iiT3_T4_lilT5_lili.step_sizes@rel64+4
	s_delay_alu instid0(VALU_DEP_1)
	v_mad_u32 v11, v1, s25, v2
	v_add_nc_u64_e32 v[2:3], s[0:1], v[8:9]
	v_cmp_gt_i32_e64 s0, s19, v0
	v_lshlrev_b32_e32 v0, 8, v0
	v_or_b32_e32 v9, 0x1000, v8
	s_lshl_b32 s25, s19, 8
	s_and_b32 s1, vcc_lo, s34
	s_addk_co_i32 s25, 0xff00
	v_add_nc_u64_e32 v[12:13], 8, v[2:3]
	v_add_nc_u32_e32 v16, v8, v0
	v_add_nc_u64_e32 v[14:15], 8, v[10:11]
	s_branch .LBB214_3
.LBB214_2:                              ;   in Loop: Header=BB214_3 Depth=1
	s_or_b32 exec_lo, exec_lo, s26
	s_add_co_i32 s20, s20, 0x10000
	s_delay_alu instid0(SALU_CYCLE_1)
	s_cmp_lt_u32 s20, s3
	s_cbranch_scc0 .LBB214_62
.LBB214_3:                              ; =>This Loop Header: Depth=1
                                        ;     Child Loop BB214_5 Depth 2
                                        ;     Child Loop BB214_16 Depth 2
	;; [unrolled: 1-line block ×3, first 2 shown]
                                        ;       Child Loop BB214_23 Depth 3
                                        ;         Child Loop BB214_24 Depth 4
                                        ;         Child Loop BB214_27 Depth 4
                                        ;           Child Loop BB214_28 Depth 5
                                        ;         Child Loop BB214_32 Depth 4
                                        ;           Child Loop BB214_34 Depth 5
                                        ;     Child Loop BB214_42 Depth 2
                                        ;       Child Loop BB214_45 Depth 3
                                        ;         Child Loop BB214_46 Depth 4
                                        ;         Child Loop BB214_48 Depth 4
                                        ;           Child Loop BB214_49 Depth 5
                                        ;         Child Loop BB214_53 Depth 4
                                        ;           Child Loop BB214_55 Depth 5
                                        ;     Child Loop BB214_61 Depth 2
	s_and_saveexec_b32 s16, s0
	s_cbranch_execz .LBB214_14
; %bb.4:                                ;   in Loop: Header=BB214_3 Depth=1
	s_delay_alu instid0(VALU_DEP_3) | instskip(SKIP_2) | instid1(VALU_DEP_2)
	v_mad_nc_u64_u32 v[0:1], s8, s20, v[12:13]
	v_mov_b32_e32 v2, v8
	s_mov_b32 s17, s19
	v_mad_u32 v1, s9, s20, v1
.LBB214_5:                              ;   Parent Loop BB214_3 Depth=1
                                        ; =>  This Inner Loop Header: Depth=2
	global_load_b128 v[4:7], v[0:1], off offset:-8
	s_wait_xcnt 0x0
	v_add_nc_u64_e32 v[0:1], s[10:11], v[0:1]
	s_add_co_i32 s17, s17, -1
	s_delay_alu instid0(SALU_CYCLE_1) | instskip(SKIP_2) | instid1(VALU_DEP_1)
	s_cmp_eq_u32 s17, 0
	s_wait_loadcnt 0x0
	v_xor_b32_e32 v3, 0x80000000, v7
	v_cndmask_b32_e64 v7, v7, v3, s2
	ds_store_b128 v2, v[4:7]
	v_add_nc_u32_e32 v2, 0x100, v2
	s_cbranch_scc0 .LBB214_5
; %bb.6:                                ;   in Loop: Header=BB214_3 Depth=1
	s_and_b32 vcc_lo, exec_lo, s23
	s_cbranch_vccz .LBB214_12
; %bb.7:                                ;   in Loop: Header=BB214_3 Depth=1
	ds_load_b128 v[0:3], v16
                                        ; implicit-def: $vgpr6_vgpr7
	s_wait_dscnt 0x0
	v_cmp_ngt_f64_e64 s17, |v[0:1]|, |v[2:3]|
	s_and_saveexec_b32 s26, s17
	s_delay_alu instid0(SALU_CYCLE_1)
	s_xor_b32 s17, exec_lo, s26
	s_cbranch_execz .LBB214_9
; %bb.8:                                ;   in Loop: Header=BB214_3 Depth=1
	v_div_scale_f64 v[4:5], null, v[2:3], v[2:3], v[0:1]
	v_div_scale_f64 v[20:21], vcc_lo, v[0:1], v[2:3], v[0:1]
	s_delay_alu instid0(VALU_DEP_2) | instskip(SKIP_1) | instid1(TRANS32_DEP_1)
	v_rcp_f64_e32 v[6:7], v[4:5]
	v_nop
	v_fma_f64 v[18:19], -v[4:5], v[6:7], 1.0
	s_delay_alu instid0(VALU_DEP_1) | instskip(NEXT) | instid1(VALU_DEP_1)
	v_fmac_f64_e32 v[6:7], v[6:7], v[18:19]
	v_fma_f64 v[18:19], -v[4:5], v[6:7], 1.0
	s_delay_alu instid0(VALU_DEP_1) | instskip(NEXT) | instid1(VALU_DEP_1)
	v_fmac_f64_e32 v[6:7], v[6:7], v[18:19]
	v_mul_f64_e32 v[18:19], v[20:21], v[6:7]
	s_delay_alu instid0(VALU_DEP_1) | instskip(NEXT) | instid1(VALU_DEP_1)
	v_fma_f64 v[4:5], -v[4:5], v[18:19], v[20:21]
	v_div_fmas_f64 v[4:5], v[4:5], v[6:7], v[18:19]
	s_delay_alu instid0(VALU_DEP_1) | instskip(NEXT) | instid1(VALU_DEP_1)
	v_div_fixup_f64 v[4:5], v[4:5], v[2:3], v[0:1]
	v_fmac_f64_e32 v[2:3], v[0:1], v[4:5]
	s_delay_alu instid0(VALU_DEP_1) | instskip(SKIP_1) | instid1(VALU_DEP_2)
	v_div_scale_f64 v[0:1], null, v[2:3], v[2:3], 1.0
	v_div_scale_f64 v[20:21], vcc_lo, 1.0, v[2:3], 1.0
	v_rcp_f64_e32 v[6:7], v[0:1]
	v_nop
	s_delay_alu instid0(TRANS32_DEP_1) | instskip(NEXT) | instid1(VALU_DEP_1)
	v_fma_f64 v[18:19], -v[0:1], v[6:7], 1.0
	v_fmac_f64_e32 v[6:7], v[6:7], v[18:19]
	s_delay_alu instid0(VALU_DEP_1) | instskip(NEXT) | instid1(VALU_DEP_1)
	v_fma_f64 v[18:19], -v[0:1], v[6:7], 1.0
	v_fmac_f64_e32 v[6:7], v[6:7], v[18:19]
	s_delay_alu instid0(VALU_DEP_1) | instskip(NEXT) | instid1(VALU_DEP_1)
	v_mul_f64_e32 v[18:19], v[20:21], v[6:7]
	v_fma_f64 v[0:1], -v[0:1], v[18:19], v[20:21]
	s_delay_alu instid0(VALU_DEP_1) | instskip(SKIP_1) | instid1(VALU_DEP_2)
	v_div_fmas_f64 v[0:1], v[0:1], v[6:7], v[18:19]
	v_add_f64_e32 v[6:7], 0, v[4:5]
	v_div_fixup_f64 v[0:1], v[0:1], v[2:3], 1.0
	v_fma_f64 v[2:3], v[4:5], 0, -1.0
	s_delay_alu instid0(VALU_DEP_2) | instskip(NEXT) | instid1(VALU_DEP_2)
	v_mul_f64_e32 v[4:5], v[6:7], v[0:1]
	v_mul_f64_e32 v[6:7], v[2:3], v[0:1]
                                        ; implicit-def: $vgpr0_vgpr1
.LBB214_9:                              ;   in Loop: Header=BB214_3 Depth=1
	s_and_not1_saveexec_b32 s17, s17
	s_cbranch_execz .LBB214_11
; %bb.10:                               ;   in Loop: Header=BB214_3 Depth=1
	v_div_scale_f64 v[4:5], null, v[0:1], v[0:1], v[2:3]
	v_div_scale_f64 v[20:21], vcc_lo, v[2:3], v[0:1], v[2:3]
	s_delay_alu instid0(VALU_DEP_2) | instskip(SKIP_1) | instid1(TRANS32_DEP_1)
	v_rcp_f64_e32 v[6:7], v[4:5]
	v_nop
	v_fma_f64 v[18:19], -v[4:5], v[6:7], 1.0
	s_delay_alu instid0(VALU_DEP_1) | instskip(NEXT) | instid1(VALU_DEP_1)
	v_fmac_f64_e32 v[6:7], v[6:7], v[18:19]
	v_fma_f64 v[18:19], -v[4:5], v[6:7], 1.0
	s_delay_alu instid0(VALU_DEP_1) | instskip(NEXT) | instid1(VALU_DEP_1)
	v_fmac_f64_e32 v[6:7], v[6:7], v[18:19]
	v_mul_f64_e32 v[18:19], v[20:21], v[6:7]
	s_delay_alu instid0(VALU_DEP_1) | instskip(NEXT) | instid1(VALU_DEP_1)
	v_fma_f64 v[4:5], -v[4:5], v[18:19], v[20:21]
	v_div_fmas_f64 v[4:5], v[4:5], v[6:7], v[18:19]
	s_delay_alu instid0(VALU_DEP_1) | instskip(NEXT) | instid1(VALU_DEP_1)
	v_div_fixup_f64 v[4:5], v[4:5], v[0:1], v[2:3]
	v_fmac_f64_e32 v[0:1], v[2:3], v[4:5]
	s_delay_alu instid0(VALU_DEP_1) | instskip(SKIP_1) | instid1(VALU_DEP_2)
	v_div_scale_f64 v[2:3], null, v[0:1], v[0:1], 1.0
	v_div_scale_f64 v[20:21], vcc_lo, 1.0, v[0:1], 1.0
	v_rcp_f64_e32 v[6:7], v[2:3]
	v_nop
	s_delay_alu instid0(TRANS32_DEP_1) | instskip(NEXT) | instid1(VALU_DEP_1)
	v_fma_f64 v[18:19], -v[2:3], v[6:7], 1.0
	v_fmac_f64_e32 v[6:7], v[6:7], v[18:19]
	s_delay_alu instid0(VALU_DEP_1) | instskip(NEXT) | instid1(VALU_DEP_1)
	v_fma_f64 v[18:19], -v[2:3], v[6:7], 1.0
	v_fmac_f64_e32 v[6:7], v[6:7], v[18:19]
	s_delay_alu instid0(VALU_DEP_1) | instskip(NEXT) | instid1(VALU_DEP_1)
	v_mul_f64_e32 v[18:19], v[20:21], v[6:7]
	v_fma_f64 v[2:3], -v[2:3], v[18:19], v[20:21]
	s_delay_alu instid0(VALU_DEP_1) | instskip(SKIP_1) | instid1(VALU_DEP_2)
	v_div_fmas_f64 v[2:3], v[2:3], v[6:7], v[18:19]
	v_fma_f64 v[6:7], v[4:5], 0, 1.0
	v_div_fixup_f64 v[0:1], v[2:3], v[0:1], 1.0
	v_add_f64_e64 v[2:3], -v[4:5], 0
	s_delay_alu instid0(VALU_DEP_2) | instskip(NEXT) | instid1(VALU_DEP_2)
	v_mul_f64_e32 v[4:5], v[6:7], v[0:1]
	v_mul_f64_e32 v[6:7], v[2:3], v[0:1]
.LBB214_11:                             ;   in Loop: Header=BB214_3 Depth=1
	s_or_b32 exec_lo, exec_lo, s17
	s_branch .LBB214_13
.LBB214_12:                             ;   in Loop: Header=BB214_3 Depth=1
	v_mov_b64_e32 v[6:7], 0
	v_mov_b64_e32 v[4:5], 1.0
.LBB214_13:                             ;   in Loop: Header=BB214_3 Depth=1
	ds_store_b128 v16, v[4:7]
.LBB214_14:                             ;   in Loop: Header=BB214_3 Depth=1
	s_or_b32 exec_lo, exec_lo, s16
	s_mul_u64 s[16:17], s[14:15], s[20:21]
	s_and_saveexec_b32 s26, s1
	s_cbranch_execz .LBB214_17
; %bb.15:                               ;   in Loop: Header=BB214_3 Depth=1
	v_add_nc_u64_e32 v[0:1], s[16:17], v[14:15]
	v_mov_b32_e32 v2, v9
	s_mov_b32 s27, s19
.LBB214_16:                             ;   Parent Loop BB214_3 Depth=1
                                        ; =>  This Inner Loop Header: Depth=2
	global_load_b128 v[4:7], v[0:1], off offset:-8
	s_wait_xcnt 0x0
	v_add_nc_u64_e32 v[0:1], 16, v[0:1]
	s_add_co_i32 s27, s27, -1
	s_delay_alu instid0(SALU_CYCLE_1) | instskip(SKIP_3) | instid1(VALU_DEP_2)
	s_cmp_lg_u32 s27, 0
	s_wait_loadcnt 0x0
	v_mul_f64_e32 v[18:19], s[6:7], v[6:7]
	v_mul_f64_e32 v[20:21], s[4:5], v[6:7]
	v_fma_f64 v[18:19], s[4:5], v[4:5], -v[18:19]
	s_delay_alu instid0(VALU_DEP_2)
	v_fmac_f64_e32 v[20:21], s[6:7], v[4:5]
	ds_store_b128 v2, v[18:21]
	v_add_nc_u32_e32 v2, 0x100, v2
	s_cbranch_scc1 .LBB214_16
.LBB214_17:                             ;   in Loop: Header=BB214_3 Depth=1
	s_or_b32 exec_lo, exec_lo, s26
	s_delay_alu instid0(SALU_CYCLE_1)
	s_and_not1_b32 vcc_lo, exec_lo, s24
	s_mov_b32 s26, -1
	s_wait_dscnt 0x0
	; wave barrier
	s_cbranch_vccnz .LBB214_39
; %bb.18:                               ;   in Loop: Header=BB214_3 Depth=1
	s_mov_b32 s27, 0
	s_mov_b32 s26, 0
	s_branch .LBB214_20
.LBB214_19:                             ;   in Loop: Header=BB214_20 Depth=2
	s_cmp_lt_i32 s26, s19
	s_cselect_b32 s28, -1, 0
	s_add_co_i32 s29, s27, 1
	s_cmp_lt_u32 s27, 2
	s_wait_xcnt 0x0
	s_cselect_b32 s27, -1, 0
	s_delay_alu instid0(SALU_CYCLE_1) | instskip(NEXT) | instid1(SALU_CYCLE_1)
	s_and_b32 s27, s28, s27
	s_and_b32 vcc_lo, exec_lo, s27
	s_mov_b32 s27, s29
	s_cbranch_vccz .LBB214_38
.LBB214_20:                             ;   Parent Loop BB214_3 Depth=1
                                        ; =>  This Loop Header: Depth=2
                                        ;       Child Loop BB214_23 Depth 3
                                        ;         Child Loop BB214_24 Depth 4
                                        ;         Child Loop BB214_27 Depth 4
                                        ;           Child Loop BB214_28 Depth 5
                                        ;         Child Loop BB214_32 Depth 4
                                        ;           Child Loop BB214_34 Depth 5
	s_load_b32 s28, s[12:13], s27 offset:0x0 scale_offset
	s_wait_kmcnt 0x0
	s_add_co_i32 s29, s28, -1
	s_delay_alu instid0(SALU_CYCLE_1) | instskip(NEXT) | instid1(SALU_CYCLE_1)
	s_add_co_i32 s30, s29, s26
	s_cmp_ge_i32 s30, s19
	s_cbranch_scc1 .LBB214_19
; %bb.21:                               ;   in Loop: Header=BB214_20 Depth=2
	s_lshl_b32 s30, s26, 8
	s_max_i32 s31, s28, 1
	v_add_nc_u32_e32 v4, s30, v9
	s_lshl_b32 s33, s28, 8
	s_mul_i32 s34, s26, 0x110
	s_mul_i32 s35, s28, 0x110
	s_branch .LBB214_23
.LBB214_22:                             ;   in Loop: Header=BB214_23 Depth=3
	s_add_co_i32 s26, s26, s28
	v_add_nc_u32_e32 v4, s33, v4
	s_add_co_i32 s36, s29, s26
	s_add_co_i32 s30, s30, s33
	;; [unrolled: 1-line block ×3, first 2 shown]
	s_cmp_ge_i32 s36, s19
	s_cbranch_scc1 .LBB214_19
.LBB214_23:                             ;   Parent Loop BB214_3 Depth=1
                                        ;     Parent Loop BB214_20 Depth=2
                                        ; =>    This Loop Header: Depth=3
                                        ;         Child Loop BB214_24 Depth 4
                                        ;         Child Loop BB214_27 Depth 4
                                        ;           Child Loop BB214_28 Depth 5
                                        ;         Child Loop BB214_32 Depth 4
                                        ;           Child Loop BB214_34 Depth 5
	v_mov_b32_e32 v0, v4
	s_mov_b32 s36, 0
	s_mov_b32 s37, s31
.LBB214_24:                             ;   Parent Loop BB214_3 Depth=1
                                        ;     Parent Loop BB214_20 Depth=2
                                        ;       Parent Loop BB214_23 Depth=3
                                        ; =>      This Inner Loop Header: Depth=4
	ds_load_b128 v[18:21], v0
	v_add_nc_u32_e32 v0, 0x100, v0
	s_add_co_i32 s37, s37, -1
	s_wait_dscnt 0x0
	scratch_store_b128 off, v[18:21], s36
	s_wait_xcnt 0x0
	s_add_co_i32 s36, s36, 16
	s_cmp_eq_u32 s37, 0
	s_cbranch_scc0 .LBB214_24
; %bb.25:                               ;   in Loop: Header=BB214_23 Depth=3
	s_cmp_lt_i32 s26, 1
	s_cbranch_scc1 .LBB214_30
; %bb.26:                               ;   in Loop: Header=BB214_23 Depth=3
	s_mov_b32 s36, 0
	s_mov_b32 s37, s30
.LBB214_27:                             ;   Parent Loop BB214_3 Depth=1
                                        ;     Parent Loop BB214_20 Depth=2
                                        ;       Parent Loop BB214_23 Depth=3
                                        ; =>      This Loop Header: Depth=4
                                        ;           Child Loop BB214_28 Depth 5
	v_lshl_add_u32 v0, s36, 8, v9
	s_mov_b32 s38, s18
	s_mov_b32 s39, s37
	;; [unrolled: 1-line block ×3, first 2 shown]
	ds_load_b128 v[0:3], v0
.LBB214_28:                             ;   Parent Loop BB214_3 Depth=1
                                        ;     Parent Loop BB214_20 Depth=2
                                        ;       Parent Loop BB214_23 Depth=3
                                        ;         Parent Loop BB214_27 Depth=4
                                        ; =>        This Inner Loop Header: Depth=5
	scratch_load_b128 v[18:21], off, s38 offset:-8
	v_mov_b32_e32 v5, s39
	s_add_co_i32 s40, s40, -1
	s_addk_co_i32 s39, 0x100
	ds_load_b128 v[22:25], v5
	s_wait_dscnt 0x0
	v_mul_f64_e32 v[6:7], v[2:3], v[24:25]
	v_mul_f64_e32 v[24:25], v[0:1], v[24:25]
	s_delay_alu instid0(VALU_DEP_2) | instskip(NEXT) | instid1(VALU_DEP_2)
	v_fma_f64 v[6:7], v[0:1], v[22:23], -v[6:7]
	v_fmac_f64_e32 v[24:25], v[2:3], v[22:23]
	s_wait_loadcnt 0x0
	s_delay_alu instid0(VALU_DEP_2) | instskip(NEXT) | instid1(VALU_DEP_2)
	v_add_f64_e64 v[18:19], v[18:19], -v[6:7]
	v_add_f64_e64 v[20:21], v[20:21], -v[24:25]
	scratch_store_b128 off, v[18:21], s38 offset:-8
	s_wait_xcnt 0x0
	s_add_co_i32 s38, s38, 16
	s_cmp_eq_u32 s40, 0
	s_cbranch_scc0 .LBB214_28
; %bb.29:                               ;   in Loop: Header=BB214_27 Depth=4
	s_add_co_i32 s36, s36, 1
	s_add_co_i32 s37, s37, 16
	s_cmp_eq_u32 s36, s26
	s_cbranch_scc0 .LBB214_27
.LBB214_30:                             ;   in Loop: Header=BB214_23 Depth=3
	s_lshl_b32 s36, s26, 8
	s_mov_b32 s37, 0
	s_mov_b32 s38, s34
	s_branch .LBB214_32
.LBB214_31:                             ;   in Loop: Header=BB214_32 Depth=4
	s_wait_xcnt 0x0
	s_mulk_i32 s40, 0x110
	s_addk_co_i32 s38, 0x100
	v_mov_b32_e32 v5, s40
	s_lshl_b32 s40, s37, 4
	s_add_co_i32 s37, s37, 1
	s_delay_alu instid0(SALU_CYCLE_1) | instskip(SKIP_4) | instid1(VALU_DEP_2)
	s_cmp_eq_u32 s37, s31
	ds_load_b128 v[18:21], v5
	s_wait_loadcnt_dscnt 0x0
	v_mul_f64_e32 v[6:7], v[20:21], v[2:3]
	v_mul_f64_e32 v[24:25], v[18:19], v[2:3]
	v_fma_f64 v[22:23], v[18:19], v[0:1], -v[6:7]
	s_delay_alu instid0(VALU_DEP_2)
	v_fmac_f64_e32 v[24:25], v[20:21], v[0:1]
	v_add_nc_u32_e32 v0, s39, v9
	scratch_store_b128 off, v[22:25], s40
	ds_store_b128 v0, v[22:25]
	s_cbranch_scc1 .LBB214_22
.LBB214_32:                             ;   Parent Loop BB214_3 Depth=1
                                        ;     Parent Loop BB214_20 Depth=2
                                        ;       Parent Loop BB214_23 Depth=3
                                        ; =>      This Loop Header: Depth=4
                                        ;           Child Loop BB214_34 Depth 5
	s_cmp_lg_u32 s37, 0
	s_cbranch_scc0 .LBB214_36
; %bb.33:                               ;   in Loop: Header=BB214_32 Depth=4
	s_lshl_b32 s41, s37, 4
	s_wait_xcnt 0x0
	s_add_co_i32 s40, s37, s26
	scratch_load_b128 v[0:3], off, s41
	s_lshl_b32 s39, s40, 8
	s_mov_b32 s42, s38
	s_mov_b32 s43, s18
	;; [unrolled: 1-line block ×3, first 2 shown]
.LBB214_34:                             ;   Parent Loop BB214_3 Depth=1
                                        ;     Parent Loop BB214_20 Depth=2
                                        ;       Parent Loop BB214_23 Depth=3
                                        ;         Parent Loop BB214_32 Depth=4
                                        ; =>        This Inner Loop Header: Depth=5
	scratch_load_b128 v[18:21], off, s43 offset:-8
	v_mov_b32_e32 v5, s42
	s_add_co_i32 s44, s44, -1
	s_wait_xcnt 0x0
	s_add_co_i32 s43, s43, 16
	s_add_co_i32 s42, s42, 16
	s_cmp_eq_u32 s44, 0
	ds_load_b128 v[22:25], v5
	s_wait_loadcnt_dscnt 0x0
	v_mul_f64_e32 v[6:7], v[24:25], v[20:21]
	v_mul_f64_e32 v[20:21], v[22:23], v[20:21]
	s_delay_alu instid0(VALU_DEP_2) | instskip(NEXT) | instid1(VALU_DEP_2)
	v_fma_f64 v[6:7], v[22:23], v[18:19], -v[6:7]
	v_fmac_f64_e32 v[20:21], v[24:25], v[18:19]
	s_delay_alu instid0(VALU_DEP_2) | instskip(NEXT) | instid1(VALU_DEP_2)
	v_add_f64_e64 v[0:1], v[0:1], -v[6:7]
	v_add_f64_e64 v[2:3], v[2:3], -v[20:21]
	scratch_store_b128 off, v[0:3], s41
	s_cbranch_scc0 .LBB214_34
; %bb.35:                               ;   in Loop: Header=BB214_32 Depth=4
	s_wait_xcnt 0x0
	s_branch .LBB214_31
.LBB214_36:                             ;   in Loop: Header=BB214_32 Depth=4
                                        ; implicit-def: $vgpr0_vgpr1
                                        ; implicit-def: $sgpr40
                                        ; implicit-def: $sgpr39
	s_cbranch_execz .LBB214_31
; %bb.37:                               ;   in Loop: Header=BB214_32 Depth=4
	scratch_load_b128 v[0:3], off, off
	s_mov_b32 s39, s36
	s_wait_xcnt 0x1
	s_mov_b32 s40, s26
	s_branch .LBB214_31
.LBB214_38:                             ;   in Loop: Header=BB214_3 Depth=1
	s_mov_b32 s26, 0
.LBB214_39:                             ;   in Loop: Header=BB214_3 Depth=1
	s_delay_alu instid0(SALU_CYCLE_1)
	s_and_b32 vcc_lo, exec_lo, s26
	s_cbranch_vccz .LBB214_59
; %bb.40:                               ;   in Loop: Header=BB214_3 Depth=1
	s_mov_b32 s27, 0
	s_mov_b32 s26, s22
	s_branch .LBB214_42
.LBB214_41:                             ;   in Loop: Header=BB214_42 Depth=2
	s_cmp_gt_i32 s26, -1
	s_cselect_b32 s28, -1, 0
	s_add_co_i32 s29, s27, 1
	s_cmp_lt_u32 s27, 2
	s_cselect_b32 s27, -1, 0
	s_delay_alu instid0(SALU_CYCLE_1) | instskip(NEXT) | instid1(SALU_CYCLE_1)
	s_and_b32 s27, s28, s27
	s_and_not1_b32 vcc_lo, exec_lo, s27
	s_mov_b32 s27, s29
	s_cbranch_vccnz .LBB214_59
.LBB214_42:                             ;   Parent Loop BB214_3 Depth=1
                                        ; =>  This Loop Header: Depth=2
                                        ;       Child Loop BB214_45 Depth 3
                                        ;         Child Loop BB214_46 Depth 4
                                        ;         Child Loop BB214_48 Depth 4
                                        ;           Child Loop BB214_49 Depth 5
                                        ;         Child Loop BB214_53 Depth 4
                                        ;           Child Loop BB214_55 Depth 5
	s_load_b32 s28, s[12:13], s27 offset:0x0 scale_offset
	s_wait_kmcnt 0x0
	s_add_co_i32 s29, s28, -1
	s_delay_alu instid0(SALU_CYCLE_1)
	s_cmp_lt_i32 s26, s29
	s_cbranch_scc1 .LBB214_41
; %bb.43:                               ;   in Loop: Header=BB214_42 Depth=2
	v_lshl_add_u32 v4, s26, 8, v9
	s_lshl_b32 s31, s28, 8
	s_lshl_b32 s33, s26, 4
	;; [unrolled: 1-line block ×3, first 2 shown]
	s_max_i32 s30, s28, 1
	s_sub_co_i32 s31, 0, s31
	s_add_co_i32 s33, s25, s33
	s_sub_co_i32 s34, 0, s34
	s_mul_i32 s35, s26, 0x110
	s_mul_i32 s36, s28, 0xfffffef0
	s_branch .LBB214_45
.LBB214_44:                             ;   in Loop: Header=BB214_45 Depth=3
	v_add_nc_u32_e32 v4, s31, v4
	s_sub_co_i32 s26, s26, s28
	s_add_co_i32 s33, s33, s34
	s_add_co_i32 s35, s35, s36
	s_cmp_lt_i32 s26, s29
	s_cbranch_scc1 .LBB214_41
.LBB214_45:                             ;   Parent Loop BB214_3 Depth=1
                                        ;     Parent Loop BB214_42 Depth=2
                                        ; =>    This Loop Header: Depth=3
                                        ;         Child Loop BB214_46 Depth 4
                                        ;         Child Loop BB214_48 Depth 4
                                        ;           Child Loop BB214_49 Depth 5
                                        ;         Child Loop BB214_53 Depth 4
                                        ;           Child Loop BB214_55 Depth 5
	v_mov_b32_e32 v0, v4
	s_mov_b32 s37, 0
	s_mov_b32 s38, s30
.LBB214_46:                             ;   Parent Loop BB214_3 Depth=1
                                        ;     Parent Loop BB214_42 Depth=2
                                        ;       Parent Loop BB214_45 Depth=3
                                        ; =>      This Inner Loop Header: Depth=4
	ds_load_b128 v[18:21], v0
	v_add_nc_u32_e32 v0, 0xffffff00, v0
	s_add_co_i32 s38, s38, -1
	s_wait_dscnt 0x0
	scratch_store_b128 off, v[18:21], s37
	s_wait_xcnt 0x0
	s_add_co_i32 s37, s37, 16
	s_cmp_eq_u32 s38, 0
	s_cbranch_scc0 .LBB214_46
; %bb.47:                               ;   in Loop: Header=BB214_45 Depth=3
	s_cmp_le_i32 s22, s26
	s_mov_b32 s37, s33
	s_mov_b32 s38, s22
	s_cbranch_scc1 .LBB214_51
.LBB214_48:                             ;   Parent Loop BB214_3 Depth=1
                                        ;     Parent Loop BB214_42 Depth=2
                                        ;       Parent Loop BB214_45 Depth=3
                                        ; =>      This Loop Header: Depth=4
                                        ;           Child Loop BB214_49 Depth 5
	v_lshl_add_u32 v0, s38, 8, v9
	s_mov_b32 s39, s18
	s_mov_b32 s40, s37
	;; [unrolled: 1-line block ×3, first 2 shown]
	ds_load_b128 v[0:3], v0
.LBB214_49:                             ;   Parent Loop BB214_3 Depth=1
                                        ;     Parent Loop BB214_42 Depth=2
                                        ;       Parent Loop BB214_45 Depth=3
                                        ;         Parent Loop BB214_48 Depth=4
                                        ; =>        This Inner Loop Header: Depth=5
	scratch_load_b128 v[18:21], off, s39 offset:-8
	v_mov_b32_e32 v5, s40
	s_add_co_i32 s41, s41, -1
	s_add_co_i32 s40, s40, -16
	ds_load_b128 v[22:25], v5
	s_wait_dscnt 0x0
	v_mul_f64_e32 v[6:7], v[2:3], v[24:25]
	v_mul_f64_e32 v[24:25], v[0:1], v[24:25]
	s_delay_alu instid0(VALU_DEP_2) | instskip(NEXT) | instid1(VALU_DEP_2)
	v_fma_f64 v[6:7], v[0:1], v[22:23], -v[6:7]
	v_fmac_f64_e32 v[24:25], v[2:3], v[22:23]
	s_wait_loadcnt 0x0
	s_delay_alu instid0(VALU_DEP_2) | instskip(NEXT) | instid1(VALU_DEP_2)
	v_add_f64_e64 v[18:19], v[18:19], -v[6:7]
	v_add_f64_e64 v[20:21], v[20:21], -v[24:25]
	scratch_store_b128 off, v[18:21], s39 offset:-8
	s_wait_xcnt 0x0
	s_add_co_i32 s39, s39, 16
	s_cmp_eq_u32 s41, 0
	s_cbranch_scc0 .LBB214_49
; %bb.50:                               ;   in Loop: Header=BB214_48 Depth=4
	s_add_co_i32 s38, s38, -1
	s_addk_co_i32 s37, 0xff00
	s_cmp_le_i32 s38, s26
	s_cbranch_scc0 .LBB214_48
.LBB214_51:                             ;   in Loop: Header=BB214_45 Depth=3
	s_mov_b32 s37, 0
	s_mov_b32 s38, s35
	s_branch .LBB214_53
.LBB214_52:                             ;   in Loop: Header=BB214_53 Depth=4
	s_mul_i32 s40, s39, 0x110
	s_add_co_i32 s38, s38, -16
	v_mov_b32_e32 v5, s40
	s_lshl_b32 s40, s37, 4
	s_add_co_i32 s37, s37, 1
	s_delay_alu instid0(SALU_CYCLE_1) | instskip(SKIP_4) | instid1(VALU_DEP_2)
	s_cmp_eq_u32 s37, s30
	ds_load_b128 v[18:21], v5
	s_wait_loadcnt_dscnt 0x0
	v_mul_f64_e32 v[6:7], v[20:21], v[2:3]
	v_mul_f64_e32 v[24:25], v[18:19], v[2:3]
	v_fma_f64 v[22:23], v[18:19], v[0:1], -v[6:7]
	s_delay_alu instid0(VALU_DEP_2)
	v_fmac_f64_e32 v[24:25], v[20:21], v[0:1]
	v_lshl_add_u32 v0, s39, 8, v9
	scratch_store_b128 off, v[22:25], s40
	ds_store_b128 v0, v[22:25]
	s_cbranch_scc1 .LBB214_44
.LBB214_53:                             ;   Parent Loop BB214_3 Depth=1
                                        ;     Parent Loop BB214_42 Depth=2
                                        ;       Parent Loop BB214_45 Depth=3
                                        ; =>      This Loop Header: Depth=4
                                        ;           Child Loop BB214_55 Depth 5
	s_cmp_lg_u32 s37, 0
	s_cbranch_scc0 .LBB214_57
; %bb.54:                               ;   in Loop: Header=BB214_53 Depth=4
	s_wait_xcnt 0x0
	s_lshl_b32 s40, s37, 4
	s_sub_co_i32 s39, s26, s37
	scratch_load_b128 v[0:3], off, s40
	s_mov_b32 s41, s18
	s_mov_b32 s42, s38
	;; [unrolled: 1-line block ×3, first 2 shown]
.LBB214_55:                             ;   Parent Loop BB214_3 Depth=1
                                        ;     Parent Loop BB214_42 Depth=2
                                        ;       Parent Loop BB214_45 Depth=3
                                        ;         Parent Loop BB214_53 Depth=4
                                        ; =>        This Inner Loop Header: Depth=5
	scratch_load_b128 v[18:21], off, s41 offset:-8
	v_mov_b32_e32 v5, s42
	s_add_co_i32 s43, s43, -1
	s_addk_co_i32 s42, 0xff00
	s_wait_xcnt 0x0
	s_add_co_i32 s41, s41, 16
	s_cmp_eq_u32 s43, 0
	ds_load_b128 v[22:25], v5
	s_wait_loadcnt_dscnt 0x0
	v_mul_f64_e32 v[6:7], v[24:25], v[20:21]
	v_mul_f64_e32 v[20:21], v[22:23], v[20:21]
	s_delay_alu instid0(VALU_DEP_2) | instskip(NEXT) | instid1(VALU_DEP_2)
	v_fma_f64 v[6:7], v[22:23], v[18:19], -v[6:7]
	v_fmac_f64_e32 v[20:21], v[24:25], v[18:19]
	s_delay_alu instid0(VALU_DEP_2) | instskip(NEXT) | instid1(VALU_DEP_2)
	v_add_f64_e64 v[0:1], v[0:1], -v[6:7]
	v_add_f64_e64 v[2:3], v[2:3], -v[20:21]
	scratch_store_b128 off, v[0:3], s40
	s_cbranch_scc0 .LBB214_55
; %bb.56:                               ;   in Loop: Header=BB214_53 Depth=4
	s_wait_xcnt 0x0
	s_branch .LBB214_52
.LBB214_57:                             ;   in Loop: Header=BB214_53 Depth=4
	s_wait_xcnt 0x0
                                        ; implicit-def: $vgpr0_vgpr1
                                        ; implicit-def: $sgpr39
	s_cbranch_execz .LBB214_52
; %bb.58:                               ;   in Loop: Header=BB214_53 Depth=4
	scratch_load_b128 v[0:3], off, off
	s_mov_b32 s39, s26
	s_branch .LBB214_52
.LBB214_59:                             ;   in Loop: Header=BB214_3 Depth=1
	; wave barrier
	s_wait_storecnt_dscnt 0x0
	s_wait_xcnt 0x0
	s_and_saveexec_b32 s26, s1
	s_cbranch_execz .LBB214_2
; %bb.60:                               ;   in Loop: Header=BB214_3 Depth=1
	v_add_nc_u64_e32 v[0:1], s[16:17], v[10:11]
	v_mov_b32_e32 v2, v9
	s_mov_b32 s16, s19
.LBB214_61:                             ;   Parent Loop BB214_3 Depth=1
                                        ; =>  This Inner Loop Header: Depth=2
	ds_load_2addr_b64 v[4:7], v2 offset1:1
	v_add_nc_u32_e32 v2, 0x100, v2
	s_add_co_i32 s16, s16, -1
	s_delay_alu instid0(SALU_CYCLE_1)
	s_cmp_lg_u32 s16, 0
	s_wait_dscnt 0x0
	global_store_b128 v[0:1], v[4:7], off
	s_wait_xcnt 0x0
	v_add_nc_u64_e32 v[0:1], 16, v[0:1]
	s_cbranch_scc1 .LBB214_61
	s_branch .LBB214_2
.LBB214_62:
	s_endpgm
	.section	.rodata,"a",@progbits
	.p2align	6, 0x0
	.amdhsa_kernel _ZL38rocblas_trsm_small_left_device_sharedBILi16ELi16ELb0E19rocblas_complex_numIdES1_PKS1_PS1_Ev13rocblas_fill_18rocblas_operation_17rocblas_diagonal_iiT3_T4_lilT5_lili
		.amdhsa_group_segment_fixed_size 8192
		.amdhsa_private_segment_fixed_size 272
		.amdhsa_kernarg_size 368
		.amdhsa_user_sgpr_count 2
		.amdhsa_user_sgpr_dispatch_ptr 0
		.amdhsa_user_sgpr_queue_ptr 0
		.amdhsa_user_sgpr_kernarg_segment_ptr 1
		.amdhsa_user_sgpr_dispatch_id 0
		.amdhsa_user_sgpr_kernarg_preload_length 0
		.amdhsa_user_sgpr_kernarg_preload_offset 0
		.amdhsa_user_sgpr_private_segment_size 0
		.amdhsa_wavefront_size32 1
		.amdhsa_uses_dynamic_stack 0
		.amdhsa_enable_private_segment 1
		.amdhsa_system_sgpr_workgroup_id_x 1
		.amdhsa_system_sgpr_workgroup_id_y 0
		.amdhsa_system_sgpr_workgroup_id_z 1
		.amdhsa_system_sgpr_workgroup_info 0
		.amdhsa_system_vgpr_workitem_id 0
		.amdhsa_next_free_vgpr 81
		.amdhsa_next_free_sgpr 45
		.amdhsa_named_barrier_count 0
		.amdhsa_reserve_vcc 1
		.amdhsa_float_round_mode_32 0
		.amdhsa_float_round_mode_16_64 0
		.amdhsa_float_denorm_mode_32 3
		.amdhsa_float_denorm_mode_16_64 3
		.amdhsa_fp16_overflow 0
		.amdhsa_memory_ordered 1
		.amdhsa_forward_progress 1
		.amdhsa_inst_pref_size 22
		.amdhsa_round_robin_scheduling 0
		.amdhsa_exception_fp_ieee_invalid_op 0
		.amdhsa_exception_fp_denorm_src 0
		.amdhsa_exception_fp_ieee_div_zero 0
		.amdhsa_exception_fp_ieee_overflow 0
		.amdhsa_exception_fp_ieee_underflow 0
		.amdhsa_exception_fp_ieee_inexact 0
		.amdhsa_exception_int_div_zero 0
	.end_amdhsa_kernel
	.section	.text._ZL38rocblas_trsm_small_left_device_sharedBILi16ELi16ELb0E19rocblas_complex_numIdES1_PKS1_PS1_Ev13rocblas_fill_18rocblas_operation_17rocblas_diagonal_iiT3_T4_lilT5_lili,"axG",@progbits,_ZL38rocblas_trsm_small_left_device_sharedBILi16ELi16ELb0E19rocblas_complex_numIdES1_PKS1_PS1_Ev13rocblas_fill_18rocblas_operation_17rocblas_diagonal_iiT3_T4_lilT5_lili,comdat
.Lfunc_end214:
	.size	_ZL38rocblas_trsm_small_left_device_sharedBILi16ELi16ELb0E19rocblas_complex_numIdES1_PKS1_PS1_Ev13rocblas_fill_18rocblas_operation_17rocblas_diagonal_iiT3_T4_lilT5_lili, .Lfunc_end214-_ZL38rocblas_trsm_small_left_device_sharedBILi16ELi16ELb0E19rocblas_complex_numIdES1_PKS1_PS1_Ev13rocblas_fill_18rocblas_operation_17rocblas_diagonal_iiT3_T4_lilT5_lili
                                        ; -- End function
	.set _ZL38rocblas_trsm_small_left_device_sharedBILi16ELi16ELb0E19rocblas_complex_numIdES1_PKS1_PS1_Ev13rocblas_fill_18rocblas_operation_17rocblas_diagonal_iiT3_T4_lilT5_lili.num_vgpr, 26
	.set _ZL38rocblas_trsm_small_left_device_sharedBILi16ELi16ELb0E19rocblas_complex_numIdES1_PKS1_PS1_Ev13rocblas_fill_18rocblas_operation_17rocblas_diagonal_iiT3_T4_lilT5_lili.num_agpr, 0
	.set _ZL38rocblas_trsm_small_left_device_sharedBILi16ELi16ELb0E19rocblas_complex_numIdES1_PKS1_PS1_Ev13rocblas_fill_18rocblas_operation_17rocblas_diagonal_iiT3_T4_lilT5_lili.numbered_sgpr, 45
	.set _ZL38rocblas_trsm_small_left_device_sharedBILi16ELi16ELb0E19rocblas_complex_numIdES1_PKS1_PS1_Ev13rocblas_fill_18rocblas_operation_17rocblas_diagonal_iiT3_T4_lilT5_lili.num_named_barrier, 0
	.set _ZL38rocblas_trsm_small_left_device_sharedBILi16ELi16ELb0E19rocblas_complex_numIdES1_PKS1_PS1_Ev13rocblas_fill_18rocblas_operation_17rocblas_diagonal_iiT3_T4_lilT5_lili.private_seg_size, 272
	.set _ZL38rocblas_trsm_small_left_device_sharedBILi16ELi16ELb0E19rocblas_complex_numIdES1_PKS1_PS1_Ev13rocblas_fill_18rocblas_operation_17rocblas_diagonal_iiT3_T4_lilT5_lili.uses_vcc, 1
	.set _ZL38rocblas_trsm_small_left_device_sharedBILi16ELi16ELb0E19rocblas_complex_numIdES1_PKS1_PS1_Ev13rocblas_fill_18rocblas_operation_17rocblas_diagonal_iiT3_T4_lilT5_lili.uses_flat_scratch, 0
	.set _ZL38rocblas_trsm_small_left_device_sharedBILi16ELi16ELb0E19rocblas_complex_numIdES1_PKS1_PS1_Ev13rocblas_fill_18rocblas_operation_17rocblas_diagonal_iiT3_T4_lilT5_lili.has_dyn_sized_stack, 0
	.set _ZL38rocblas_trsm_small_left_device_sharedBILi16ELi16ELb0E19rocblas_complex_numIdES1_PKS1_PS1_Ev13rocblas_fill_18rocblas_operation_17rocblas_diagonal_iiT3_T4_lilT5_lili.has_recursion, 0
	.set _ZL38rocblas_trsm_small_left_device_sharedBILi16ELi16ELb0E19rocblas_complex_numIdES1_PKS1_PS1_Ev13rocblas_fill_18rocblas_operation_17rocblas_diagonal_iiT3_T4_lilT5_lili.has_indirect_call, 0
	.section	.AMDGPU.csdata,"",@progbits
; Kernel info:
; codeLenInByte = 2692
; TotalNumSgprs: 47
; NumVgprs: 26
; ScratchSize: 272
; MemoryBound: 0
; FloatMode: 240
; IeeeMode: 1
; LDSByteSize: 8192 bytes/workgroup (compile time only)
; SGPRBlocks: 0
; VGPRBlocks: 5
; NumSGPRsForWavesPerEU: 47
; NumVGPRsForWavesPerEU: 81
; NamedBarCnt: 0
; Occupancy: 10
; WaveLimiterHint : 0
; COMPUTE_PGM_RSRC2:SCRATCH_EN: 1
; COMPUTE_PGM_RSRC2:USER_SGPR: 2
; COMPUTE_PGM_RSRC2:TRAP_HANDLER: 0
; COMPUTE_PGM_RSRC2:TGID_X_EN: 1
; COMPUTE_PGM_RSRC2:TGID_Y_EN: 0
; COMPUTE_PGM_RSRC2:TGID_Z_EN: 1
; COMPUTE_PGM_RSRC2:TIDIG_COMP_CNT: 0
	.section	.text._ZL30rocblas_trsm_small_left_deviceILi16ELi16ELb0E19rocblas_complex_numIdES1_PKS1_PS1_Ev13rocblas_fill_18rocblas_operation_17rocblas_diagonal_iiT3_T4_lilT5_lili,"axG",@progbits,_ZL30rocblas_trsm_small_left_deviceILi16ELi16ELb0E19rocblas_complex_numIdES1_PKS1_PS1_Ev13rocblas_fill_18rocblas_operation_17rocblas_diagonal_iiT3_T4_lilT5_lili,comdat
	.globl	_ZL30rocblas_trsm_small_left_deviceILi16ELi16ELb0E19rocblas_complex_numIdES1_PKS1_PS1_Ev13rocblas_fill_18rocblas_operation_17rocblas_diagonal_iiT3_T4_lilT5_lili ; -- Begin function _ZL30rocblas_trsm_small_left_deviceILi16ELi16ELb0E19rocblas_complex_numIdES1_PKS1_PS1_Ev13rocblas_fill_18rocblas_operation_17rocblas_diagonal_iiT3_T4_lilT5_lili
	.p2align	8
	.type	_ZL30rocblas_trsm_small_left_deviceILi16ELi16ELb0E19rocblas_complex_numIdES1_PKS1_PS1_Ev13rocblas_fill_18rocblas_operation_17rocblas_diagonal_iiT3_T4_lilT5_lili,@function
_ZL30rocblas_trsm_small_left_deviceILi16ELi16ELb0E19rocblas_complex_numIdES1_PKS1_PS1_Ev13rocblas_fill_18rocblas_operation_17rocblas_diagonal_iiT3_T4_lilT5_lili: ; @_ZL30rocblas_trsm_small_left_deviceILi16ELi16ELb0E19rocblas_complex_numIdES1_PKS1_PS1_Ev13rocblas_fill_18rocblas_operation_17rocblas_diagonal_iiT3_T4_lilT5_lili
; %bb.0:
	s_load_b32 s3, s[0:1], 0x68
	s_bfe_u32 s2, ttmp6, 0x40014
	s_lshr_b32 s5, ttmp7, 16
	s_add_co_i32 s2, s2, 1
	s_bfe_u32 s6, ttmp6, 0x40008
	s_mul_i32 s2, s5, s2
	s_getreg_b32 s4, hwreg(HW_REG_IB_STS2, 6, 4)
	s_add_co_i32 s6, s6, s2
	s_cmp_eq_u32 s4, 0
	s_mov_b32 s23, 0
	s_cselect_b32 s20, s5, s6
	s_wait_kmcnt 0x0
	s_cmp_ge_u32 s20, s3
	s_cbranch_scc1 .LBB215_59
; %bb.1:
	s_clause 0x5
	s_load_b32 s26, s[0:1], 0x38
	s_load_b96 s[8:10], s[0:1], 0x50
	s_load_b128 s[12:15], s[0:1], 0x4
	s_load_b32 s6, s[0:1], 0x70
	s_load_b64 s[24:25], s[0:1], 0x60
	s_load_b128 s[16:19], s[0:1], 0x40
	v_lshlrev_b32_e32 v1, 8, v0
	s_mov_b32 s39, 0
                                        ; implicit-def: $sgpr40
                                        ; implicit-def: $sgpr41
	v_dual_mov_b32 v9, 0 :: v_dual_lshlrev_b32 v8, 4, v0
	s_wait_kmcnt 0x0
	s_ashr_i32 s27, s26, 31
	s_ashr_i32 s5, s10, 31
	s_cmp_eq_u32 s12, 0x71
	s_cselect_b32 s2, -1, 0
	s_bfe_u32 s7, ttmp6, 0x4000c
	s_min_i32 s33, s14, 16
	s_add_co_i32 s7, s7, 1
	s_add_co_i32 s14, s6, -1
	s_and_b32 s6, ttmp6, 15
	s_mul_i32 s7, ttmp9, s7
	s_lshl_b64 s[28:29], s[8:9], 4
	s_add_co_i32 s34, s33, -1
	s_add_co_i32 s6, s6, s7
	s_cmp_eq_u32 s4, 0
	s_mov_b32 s4, s10
	s_cselect_b32 s21, ttmp9, s6
	s_delay_alu instid0(SALU_CYCLE_1) | instskip(NEXT) | instid1(SALU_CYCLE_1)
	s_lshl_b32 s22, s21, 4
	v_or_b32_e32 v2, s22, v0
	s_delay_alu instid0(VALU_DEP_1) | instskip(NEXT) | instid1(VALU_DEP_1)
	v_ashrrev_i32_e32 v3, 31, v2
	v_mul_u64_e32 v[2:3], s[4:5], v[2:3]
	s_load_b256 s[4:11], s[0:1], 0x18
	s_wait_xcnt 0x0
	s_sub_co_i32 s0, s15, s22
	s_cmp_ge_u32 s21, s14
	s_cselect_b32 s14, s0, 16
	s_cmp_lg_u32 s13, 0x84
	s_cselect_b32 s35, -1, 0
	s_cmp_lg_u32 s12, 0x6f
	s_get_pc_i64 s[12:13]
	s_add_nc_u64 s[12:13], s[12:13], __const._ZL30rocblas_trsm_small_left_deviceILi16ELi16ELb0E19rocblas_complex_numIdES1_PKS1_PS1_Ev13rocblas_fill_18rocblas_operation_17rocblas_diagonal_iiT3_T4_lilT5_lili.step_sizes@rel64+4
	s_cselect_b32 s36, -1, 0
	s_lshl_b32 s38, s33, 8
	s_or_b32 s37, 0, 8
	s_addk_co_i32 s38, 0xff00
	s_wait_kmcnt 0x0
	s_lshl_b64 s[0:1], s[10:11], 4
	s_lshl_b64 s[10:11], s[26:27], 4
	s_add_nc_u64 s[0:1], s[8:9], s[0:1]
	s_add_nc_u64 s[8:9], s[18:19], s[28:29]
	v_add_nc_u64_e32 v[4:5], s[0:1], v[8:9]
	v_cmp_gt_i32_e64 s0, s33, v0
	v_cmp_gt_i32_e64 s1, s14, v0
	v_add_nc_u32_e32 v9, v8, v1
	s_lshl_b64 s[14:15], s[24:25], 4
	v_lshl_add_u64 v[10:11], v[2:3], 4, s[8:9]
	v_add_nc_u64_e32 v[12:13], 8, v[4:5]
	s_lshl_b64 s[8:9], s[16:17], 4
	s_delay_alu instid0(VALU_DEP_2)
	v_add_nc_u64_e32 v[14:15], 8, v[10:11]
	s_branch .LBB215_4
.LBB215_2:                              ;   in Loop: Header=BB215_4 Depth=1
	s_add_co_i32 s20, s20, 0x10000
	s_delay_alu instid0(SALU_CYCLE_1)
	s_cmp_ge_u32 s20, s3
	s_cselect_b32 s16, -1, 0
	s_and_not1_b32 s41, s41, exec_lo
	s_or_not1_b32 s16, s16, exec_lo
.LBB215_3:                              ;   in Loop: Header=BB215_4 Depth=1
	s_wait_xcnt 0x0
	s_or_b32 exec_lo, exec_lo, s42
	s_delay_alu instid0(SALU_CYCLE_1) | instskip(NEXT) | instid1(SALU_CYCLE_1)
	s_and_b32 s16, exec_lo, s16
	s_or_b32 s39, s16, s39
	s_and_not1_b32 s16, s40, exec_lo
	s_and_b32 s17, s41, exec_lo
	s_delay_alu instid0(SALU_CYCLE_1)
	s_or_b32 s40, s16, s17
	s_and_not1_b32 exec_lo, exec_lo, s39
	s_cbranch_execz .LBB215_58
.LBB215_4:                              ; =>This Loop Header: Depth=1
                                        ;     Child Loop BB215_6 Depth 2
                                        ;     Child Loop BB215_19 Depth 2
                                        ;       Child Loop BB215_22 Depth 3
                                        ;         Child Loop BB215_23 Depth 4
                                        ;         Child Loop BB215_26 Depth 4
                                        ;           Child Loop BB215_27 Depth 5
                                        ;         Child Loop BB215_31 Depth 4
                                        ;           Child Loop BB215_33 Depth 5
                                        ;     Child Loop BB215_41 Depth 2
                                        ;       Child Loop BB215_44 Depth 3
                                        ;         Child Loop BB215_45 Depth 4
                                        ;         Child Loop BB215_47 Depth 4
                                        ;           Child Loop BB215_48 Depth 5
                                        ;         Child Loop BB215_52 Depth 4
                                        ;           Child Loop BB215_54 Depth 5
	s_mov_b32 s21, s23
	s_and_saveexec_b32 s16, s0
	s_cbranch_execz .LBB215_15
; %bb.5:                                ;   in Loop: Header=BB215_4 Depth=1
	v_mad_nc_u64_u32 v[0:1], s8, s20, v[12:13]
	v_mov_b32_e32 v2, v8
	s_mov_b32 s17, s33
	s_delay_alu instid0(VALU_DEP_2)
	v_mad_u32 v1, s9, s20, v1
.LBB215_6:                              ;   Parent Loop BB215_4 Depth=1
                                        ; =>  This Inner Loop Header: Depth=2
	global_load_b128 v[4:7], v[0:1], off offset:-8
	s_wait_xcnt 0x0
	v_add_nc_u64_e32 v[0:1], s[10:11], v[0:1]
	s_add_co_i32 s17, s17, -1
	s_delay_alu instid0(SALU_CYCLE_1) | instskip(SKIP_2) | instid1(VALU_DEP_1)
	s_cmp_eq_u32 s17, 0
	s_wait_loadcnt 0x0
	v_xor_b32_e32 v3, 0x80000000, v7
	v_cndmask_b32_e64 v7, v7, v3, s2
	ds_store_b128 v2, v[4:7]
	v_add_nc_u32_e32 v2, 0x100, v2
	s_cbranch_scc0 .LBB215_6
; %bb.7:                                ;   in Loop: Header=BB215_4 Depth=1
	s_and_b32 vcc_lo, exec_lo, s35
	s_cbranch_vccz .LBB215_13
; %bb.8:                                ;   in Loop: Header=BB215_4 Depth=1
	ds_load_b128 v[0:3], v9
                                        ; implicit-def: $vgpr6_vgpr7
	s_wait_dscnt 0x0
	v_cmp_ngt_f64_e64 s17, |v[0:1]|, |v[2:3]|
	s_and_saveexec_b32 s18, s17
	s_delay_alu instid0(SALU_CYCLE_1)
	s_xor_b32 s17, exec_lo, s18
	s_cbranch_execz .LBB215_10
; %bb.9:                                ;   in Loop: Header=BB215_4 Depth=1
	v_div_scale_f64 v[4:5], null, v[2:3], v[2:3], v[0:1]
	v_div_scale_f64 v[18:19], vcc_lo, v[0:1], v[2:3], v[0:1]
	s_delay_alu instid0(VALU_DEP_2) | instskip(SKIP_1) | instid1(TRANS32_DEP_1)
	v_rcp_f64_e32 v[6:7], v[4:5]
	v_nop
	v_fma_f64 v[16:17], -v[4:5], v[6:7], 1.0
	s_delay_alu instid0(VALU_DEP_1) | instskip(NEXT) | instid1(VALU_DEP_1)
	v_fmac_f64_e32 v[6:7], v[6:7], v[16:17]
	v_fma_f64 v[16:17], -v[4:5], v[6:7], 1.0
	s_delay_alu instid0(VALU_DEP_1) | instskip(NEXT) | instid1(VALU_DEP_1)
	v_fmac_f64_e32 v[6:7], v[6:7], v[16:17]
	v_mul_f64_e32 v[16:17], v[18:19], v[6:7]
	s_delay_alu instid0(VALU_DEP_1) | instskip(NEXT) | instid1(VALU_DEP_1)
	v_fma_f64 v[4:5], -v[4:5], v[16:17], v[18:19]
	v_div_fmas_f64 v[4:5], v[4:5], v[6:7], v[16:17]
	s_delay_alu instid0(VALU_DEP_1) | instskip(NEXT) | instid1(VALU_DEP_1)
	v_div_fixup_f64 v[4:5], v[4:5], v[2:3], v[0:1]
	v_fmac_f64_e32 v[2:3], v[0:1], v[4:5]
	s_delay_alu instid0(VALU_DEP_1) | instskip(SKIP_1) | instid1(VALU_DEP_2)
	v_div_scale_f64 v[0:1], null, v[2:3], v[2:3], 1.0
	v_div_scale_f64 v[18:19], vcc_lo, 1.0, v[2:3], 1.0
	v_rcp_f64_e32 v[6:7], v[0:1]
	v_nop
	s_delay_alu instid0(TRANS32_DEP_1) | instskip(NEXT) | instid1(VALU_DEP_1)
	v_fma_f64 v[16:17], -v[0:1], v[6:7], 1.0
	v_fmac_f64_e32 v[6:7], v[6:7], v[16:17]
	s_delay_alu instid0(VALU_DEP_1) | instskip(NEXT) | instid1(VALU_DEP_1)
	v_fma_f64 v[16:17], -v[0:1], v[6:7], 1.0
	v_fmac_f64_e32 v[6:7], v[6:7], v[16:17]
	s_delay_alu instid0(VALU_DEP_1) | instskip(NEXT) | instid1(VALU_DEP_1)
	v_mul_f64_e32 v[16:17], v[18:19], v[6:7]
	v_fma_f64 v[0:1], -v[0:1], v[16:17], v[18:19]
	s_delay_alu instid0(VALU_DEP_1) | instskip(SKIP_1) | instid1(VALU_DEP_2)
	v_div_fmas_f64 v[0:1], v[0:1], v[6:7], v[16:17]
	v_add_f64_e32 v[6:7], 0, v[4:5]
	v_div_fixup_f64 v[0:1], v[0:1], v[2:3], 1.0
	v_fma_f64 v[2:3], v[4:5], 0, -1.0
	s_delay_alu instid0(VALU_DEP_2) | instskip(NEXT) | instid1(VALU_DEP_2)
	v_mul_f64_e32 v[4:5], v[6:7], v[0:1]
	v_mul_f64_e32 v[6:7], v[2:3], v[0:1]
                                        ; implicit-def: $vgpr0_vgpr1
.LBB215_10:                             ;   in Loop: Header=BB215_4 Depth=1
	s_and_not1_saveexec_b32 s17, s17
	s_cbranch_execz .LBB215_12
; %bb.11:                               ;   in Loop: Header=BB215_4 Depth=1
	v_div_scale_f64 v[4:5], null, v[0:1], v[0:1], v[2:3]
	v_div_scale_f64 v[18:19], vcc_lo, v[2:3], v[0:1], v[2:3]
	s_delay_alu instid0(VALU_DEP_2) | instskip(SKIP_1) | instid1(TRANS32_DEP_1)
	v_rcp_f64_e32 v[6:7], v[4:5]
	v_nop
	v_fma_f64 v[16:17], -v[4:5], v[6:7], 1.0
	s_delay_alu instid0(VALU_DEP_1) | instskip(NEXT) | instid1(VALU_DEP_1)
	v_fmac_f64_e32 v[6:7], v[6:7], v[16:17]
	v_fma_f64 v[16:17], -v[4:5], v[6:7], 1.0
	s_delay_alu instid0(VALU_DEP_1) | instskip(NEXT) | instid1(VALU_DEP_1)
	v_fmac_f64_e32 v[6:7], v[6:7], v[16:17]
	v_mul_f64_e32 v[16:17], v[18:19], v[6:7]
	s_delay_alu instid0(VALU_DEP_1) | instskip(NEXT) | instid1(VALU_DEP_1)
	v_fma_f64 v[4:5], -v[4:5], v[16:17], v[18:19]
	v_div_fmas_f64 v[4:5], v[4:5], v[6:7], v[16:17]
	s_delay_alu instid0(VALU_DEP_1) | instskip(NEXT) | instid1(VALU_DEP_1)
	v_div_fixup_f64 v[4:5], v[4:5], v[0:1], v[2:3]
	v_fmac_f64_e32 v[0:1], v[2:3], v[4:5]
	s_delay_alu instid0(VALU_DEP_1) | instskip(SKIP_1) | instid1(VALU_DEP_2)
	v_div_scale_f64 v[2:3], null, v[0:1], v[0:1], 1.0
	v_div_scale_f64 v[18:19], vcc_lo, 1.0, v[0:1], 1.0
	v_rcp_f64_e32 v[6:7], v[2:3]
	v_nop
	s_delay_alu instid0(TRANS32_DEP_1) | instskip(NEXT) | instid1(VALU_DEP_1)
	v_fma_f64 v[16:17], -v[2:3], v[6:7], 1.0
	v_fmac_f64_e32 v[6:7], v[6:7], v[16:17]
	s_delay_alu instid0(VALU_DEP_1) | instskip(NEXT) | instid1(VALU_DEP_1)
	v_fma_f64 v[16:17], -v[2:3], v[6:7], 1.0
	v_fmac_f64_e32 v[6:7], v[6:7], v[16:17]
	s_delay_alu instid0(VALU_DEP_1) | instskip(NEXT) | instid1(VALU_DEP_1)
	v_mul_f64_e32 v[16:17], v[18:19], v[6:7]
	v_fma_f64 v[2:3], -v[2:3], v[16:17], v[18:19]
	s_delay_alu instid0(VALU_DEP_1) | instskip(SKIP_1) | instid1(VALU_DEP_2)
	v_div_fmas_f64 v[2:3], v[2:3], v[6:7], v[16:17]
	v_fma_f64 v[6:7], v[4:5], 0, 1.0
	v_div_fixup_f64 v[0:1], v[2:3], v[0:1], 1.0
	v_add_f64_e64 v[2:3], -v[4:5], 0
	s_delay_alu instid0(VALU_DEP_2) | instskip(NEXT) | instid1(VALU_DEP_2)
	v_mul_f64_e32 v[4:5], v[6:7], v[0:1]
	v_mul_f64_e32 v[6:7], v[2:3], v[0:1]
.LBB215_12:                             ;   in Loop: Header=BB215_4 Depth=1
	s_or_b32 exec_lo, exec_lo, s17
	s_branch .LBB215_14
.LBB215_13:                             ;   in Loop: Header=BB215_4 Depth=1
	v_mov_b64_e32 v[6:7], 0
	v_mov_b64_e32 v[4:5], 1.0
.LBB215_14:                             ;   in Loop: Header=BB215_4 Depth=1
	ds_store_b128 v9, v[4:7]
.LBB215_15:                             ;   in Loop: Header=BB215_4 Depth=1
	s_or_b32 exec_lo, exec_lo, s16
	s_mov_b32 s16, -1
	s_or_b32 s41, s41, exec_lo
	s_wait_dscnt 0x0
	; wave barrier
	s_and_saveexec_b32 s42, s1
	s_cbranch_execz .LBB215_3
; %bb.16:                               ;   in Loop: Header=BB215_4 Depth=1
	s_mul_u64 s[16:17], s[24:25], s[20:21]
	s_and_not1_b32 vcc_lo, exec_lo, s36
	v_lshl_add_u64 v[4:5], s[16:17], 4, v[10:11]
	s_mul_u64 s[16:17], s[14:15], s[20:21]
	s_mov_b32 s18, -1
	s_cbranch_vccnz .LBB215_38
; %bb.17:                               ;   in Loop: Header=BB215_4 Depth=1
	v_add_nc_u64_e32 v[6:7], s[16:17], v[14:15]
	s_mov_b32 s21, 0
	s_mov_b32 s18, 0
	s_branch .LBB215_19
.LBB215_18:                             ;   in Loop: Header=BB215_19 Depth=2
	s_cmp_lt_i32 s18, s33
	s_cselect_b32 s19, -1, 0
	s_add_co_i32 s22, s21, 1
	s_cmp_lt_u32 s21, 2
	s_wait_xcnt 0x0
	s_cselect_b32 s21, -1, 0
	s_delay_alu instid0(SALU_CYCLE_1)
	s_and_b32 s19, s19, s21
	s_mov_b32 s21, s22
	s_and_b32 vcc_lo, exec_lo, s19
	s_cbranch_vccz .LBB215_37
.LBB215_19:                             ;   Parent Loop BB215_4 Depth=1
                                        ; =>  This Loop Header: Depth=2
                                        ;       Child Loop BB215_22 Depth 3
                                        ;         Child Loop BB215_23 Depth 4
                                        ;         Child Loop BB215_26 Depth 4
                                        ;           Child Loop BB215_27 Depth 5
                                        ;         Child Loop BB215_31 Depth 4
                                        ;           Child Loop BB215_33 Depth 5
	s_load_b32 s26, s[12:13], s21 offset:0x0 scale_offset
	s_wait_kmcnt 0x0
	s_add_co_i32 s43, s26, -1
	s_delay_alu instid0(SALU_CYCLE_1) | instskip(NEXT) | instid1(SALU_CYCLE_1)
	s_add_co_i32 s19, s43, s18
	s_cmp_ge_i32 s19, s33
	s_cbranch_scc1 .LBB215_18
; %bb.20:                               ;   in Loop: Header=BB215_19 Depth=2
	s_ashr_i32 s19, s18, 31
	s_ashr_i32 s27, s26, 31
	v_lshl_add_u64 v[16:17], s[18:19], 4, v[6:7]
	s_max_i32 s44, s26, 1
	s_lshl_b64 s[28:29], s[26:27], 4
	s_lshl_b32 s19, s18, 8
	s_lshl_b32 s27, s26, 8
	s_mul_i32 s45, s18, 0x110
	s_mul_i32 s46, s26, 0x110
	s_branch .LBB215_22
.LBB215_21:                             ;   in Loop: Header=BB215_22 Depth=3
	v_add_nc_u64_e32 v[16:17], s[28:29], v[16:17]
	s_add_co_i32 s18, s18, s26
	s_add_co_i32 s19, s19, s27
	;; [unrolled: 1-line block ×4, first 2 shown]
	s_cmp_ge_i32 s22, s33
	s_cbranch_scc1 .LBB215_18
.LBB215_22:                             ;   Parent Loop BB215_4 Depth=1
                                        ;     Parent Loop BB215_19 Depth=2
                                        ; =>    This Loop Header: Depth=3
                                        ;         Child Loop BB215_23 Depth 4
                                        ;         Child Loop BB215_26 Depth 4
                                        ;           Child Loop BB215_27 Depth 5
                                        ;         Child Loop BB215_31 Depth 4
                                        ;           Child Loop BB215_33 Depth 5
	s_wait_xcnt 0x0
	v_mov_b64_e32 v[0:1], v[16:17]
	s_mov_b32 s22, 8
	s_mov_b32 s30, s44
.LBB215_23:                             ;   Parent Loop BB215_4 Depth=1
                                        ;     Parent Loop BB215_19 Depth=2
                                        ;       Parent Loop BB215_22 Depth=3
                                        ; =>      This Inner Loop Header: Depth=4
	global_load_b128 v[18:21], v[0:1], off offset:-8
	s_wait_xcnt 0x0
	v_add_nc_u64_e32 v[0:1], 16, v[0:1]
	s_add_co_i32 s30, s30, -1
	s_mov_b32 s31, s22
	s_add_co_i32 s22, s22, 16
	s_cmp_eq_u32 s30, 0
	s_wait_loadcnt 0x0
	v_mul_f64_e32 v[2:3], s[6:7], v[20:21]
	v_mul_f64_e32 v[22:23], s[4:5], v[20:21]
	s_delay_alu instid0(VALU_DEP_2) | instskip(NEXT) | instid1(VALU_DEP_2)
	v_fma_f64 v[20:21], s[4:5], v[18:19], -v[2:3]
	v_fmac_f64_e32 v[22:23], s[6:7], v[18:19]
	scratch_store_b128 off, v[20:23], s31 offset:-8
	s_cbranch_scc0 .LBB215_23
; %bb.24:                               ;   in Loop: Header=BB215_22 Depth=3
	s_cmp_lt_i32 s18, 1
	s_cbranch_scc1 .LBB215_29
; %bb.25:                               ;   in Loop: Header=BB215_22 Depth=3
	s_mov_b32 s22, 0
	s_mov_b32 s30, s19
.LBB215_26:                             ;   Parent Loop BB215_4 Depth=1
                                        ;     Parent Loop BB215_19 Depth=2
                                        ;       Parent Loop BB215_22 Depth=3
                                        ; =>      This Loop Header: Depth=4
                                        ;           Child Loop BB215_27 Depth 5
	v_lshl_add_u64 v[0:1], s[22:23], 4, v[4:5]
	s_wait_xcnt 0x0
	s_mov_b32 s31, s37
	s_mov_b32 s47, s30
	;; [unrolled: 1-line block ×3, first 2 shown]
	global_load_b128 v[0:3], v[0:1], off
.LBB215_27:                             ;   Parent Loop BB215_4 Depth=1
                                        ;     Parent Loop BB215_19 Depth=2
                                        ;       Parent Loop BB215_22 Depth=3
                                        ;         Parent Loop BB215_26 Depth=4
                                        ; =>        This Inner Loop Header: Depth=5
	scratch_load_b128 v[18:21], off, s31 offset:-8
	v_mov_b32_e32 v22, s47
	s_add_co_i32 s48, s48, -1
	s_addk_co_i32 s47, 0x100
	ds_load_b128 v[22:25], v22
	s_wait_loadcnt_dscnt 0x100
	v_mul_f64_e32 v[26:27], v[2:3], v[24:25]
	v_mul_f64_e32 v[24:25], v[0:1], v[24:25]
	s_delay_alu instid0(VALU_DEP_2) | instskip(NEXT) | instid1(VALU_DEP_2)
	v_fma_f64 v[26:27], v[0:1], v[22:23], -v[26:27]
	v_fmac_f64_e32 v[24:25], v[2:3], v[22:23]
	s_wait_loadcnt 0x0
	s_delay_alu instid0(VALU_DEP_2) | instskip(NEXT) | instid1(VALU_DEP_2)
	v_add_f64_e64 v[18:19], v[18:19], -v[26:27]
	v_add_f64_e64 v[20:21], v[20:21], -v[24:25]
	scratch_store_b128 off, v[18:21], s31 offset:-8
	s_wait_xcnt 0x0
	s_add_co_i32 s31, s31, 16
	s_cmp_eq_u32 s48, 0
	s_cbranch_scc0 .LBB215_27
; %bb.28:                               ;   in Loop: Header=BB215_26 Depth=4
	s_add_co_i32 s22, s22, 1
	s_add_co_i32 s30, s30, 16
	s_cmp_eq_u32 s22, s18
	s_cbranch_scc0 .LBB215_26
.LBB215_29:                             ;   in Loop: Header=BB215_22 Depth=3
	s_mov_b32 s22, 0
	s_mov_b32 s47, s45
	s_branch .LBB215_31
.LBB215_30:                             ;   in Loop: Header=BB215_31 Depth=4
	s_mul_i32 s31, s30, 0x110
	s_lshl_b32 s48, s22, 4
	v_mov_b32_e32 v18, s31
	s_ashr_i32 s31, s30, 31
	s_add_co_i32 s22, s22, 1
	s_addk_co_i32 s47, 0x100
	s_cmp_eq_u32 s22, s44
	ds_load_b128 v[18:21], v18
	s_wait_loadcnt_dscnt 0x0
	v_mul_f64_e32 v[22:23], v[20:21], v[2:3]
	v_mul_f64_e32 v[24:25], v[18:19], v[2:3]
	s_delay_alu instid0(VALU_DEP_2) | instskip(NEXT) | instid1(VALU_DEP_2)
	v_fma_f64 v[22:23], v[18:19], v[0:1], -v[22:23]
	v_fmac_f64_e32 v[24:25], v[20:21], v[0:1]
	v_lshl_add_u64 v[0:1], s[30:31], 4, v[4:5]
	scratch_store_b128 off, v[22:25], s48
	global_store_b128 v[0:1], v[22:25], off
	s_cbranch_scc1 .LBB215_21
.LBB215_31:                             ;   Parent Loop BB215_4 Depth=1
                                        ;     Parent Loop BB215_19 Depth=2
                                        ;       Parent Loop BB215_22 Depth=3
                                        ; =>      This Loop Header: Depth=4
                                        ;           Child Loop BB215_33 Depth 5
	s_cmp_lg_u32 s22, 0
	s_cbranch_scc0 .LBB215_35
; %bb.32:                               ;   in Loop: Header=BB215_31 Depth=4
	s_wait_xcnt 0x0
	s_lshl_b32 s31, s22, 4
	s_add_co_i32 s30, s22, s18
	scratch_load_b128 v[0:3], off, s31
	s_mov_b32 s48, s47
	s_mov_b32 s49, s37
	;; [unrolled: 1-line block ×3, first 2 shown]
.LBB215_33:                             ;   Parent Loop BB215_4 Depth=1
                                        ;     Parent Loop BB215_19 Depth=2
                                        ;       Parent Loop BB215_22 Depth=3
                                        ;         Parent Loop BB215_31 Depth=4
                                        ; =>        This Inner Loop Header: Depth=5
	scratch_load_b128 v[18:21], off, s49 offset:-8
	v_mov_b32_e32 v22, s48
	s_add_co_i32 s50, s50, -1
	s_wait_xcnt 0x0
	s_add_co_i32 s49, s49, 16
	s_add_co_i32 s48, s48, 16
	s_cmp_eq_u32 s50, 0
	ds_load_b128 v[22:25], v22
	s_wait_loadcnt_dscnt 0x0
	v_mul_f64_e32 v[26:27], v[24:25], v[20:21]
	v_mul_f64_e32 v[20:21], v[22:23], v[20:21]
	s_delay_alu instid0(VALU_DEP_2) | instskip(NEXT) | instid1(VALU_DEP_2)
	v_fma_f64 v[22:23], v[22:23], v[18:19], -v[26:27]
	v_fmac_f64_e32 v[20:21], v[24:25], v[18:19]
	s_delay_alu instid0(VALU_DEP_2) | instskip(NEXT) | instid1(VALU_DEP_2)
	v_add_f64_e64 v[0:1], v[0:1], -v[22:23]
	v_add_f64_e64 v[2:3], v[2:3], -v[20:21]
	scratch_store_b128 off, v[0:3], s31
	s_cbranch_scc0 .LBB215_33
; %bb.34:                               ;   in Loop: Header=BB215_31 Depth=4
	s_wait_xcnt 0x0
	s_branch .LBB215_30
.LBB215_35:                             ;   in Loop: Header=BB215_31 Depth=4
	s_wait_xcnt 0x0
                                        ; implicit-def: $vgpr0_vgpr1
                                        ; implicit-def: $sgpr30
	s_cbranch_execz .LBB215_30
; %bb.36:                               ;   in Loop: Header=BB215_31 Depth=4
	scratch_load_b128 v[0:3], off, off
	s_mov_b32 s30, s18
	s_branch .LBB215_30
.LBB215_37:                             ;   in Loop: Header=BB215_4 Depth=1
	s_mov_b32 s18, 0
.LBB215_38:                             ;   in Loop: Header=BB215_4 Depth=1
	s_delay_alu instid0(SALU_CYCLE_1)
	s_and_b32 vcc_lo, exec_lo, s18
	s_cbranch_vccz .LBB215_2
; %bb.39:                               ;   in Loop: Header=BB215_4 Depth=1
	v_add_nc_u64_e32 v[6:7], s[16:17], v[14:15]
	s_mov_b32 s21, 0
	s_mov_b32 s16, s34
	s_branch .LBB215_41
.LBB215_40:                             ;   in Loop: Header=BB215_41 Depth=2
	s_cmp_gt_i32 s16, -1
	s_cselect_b32 s17, -1, 0
	s_add_co_i32 s18, s21, 1
	s_cmp_lt_u32 s21, 2
	s_wait_xcnt 0x0
	s_mov_b32 s21, s18
	s_cselect_b32 s19, -1, 0
	s_delay_alu instid0(SALU_CYCLE_1) | instskip(NEXT) | instid1(SALU_CYCLE_1)
	s_and_b32 s17, s17, s19
	s_and_not1_b32 vcc_lo, exec_lo, s17
	s_cbranch_vccnz .LBB215_2
.LBB215_41:                             ;   Parent Loop BB215_4 Depth=1
                                        ; =>  This Loop Header: Depth=2
                                        ;       Child Loop BB215_44 Depth 3
                                        ;         Child Loop BB215_45 Depth 4
                                        ;         Child Loop BB215_47 Depth 4
                                        ;           Child Loop BB215_48 Depth 5
                                        ;         Child Loop BB215_52 Depth 4
                                        ;           Child Loop BB215_54 Depth 5
	s_load_b32 s22, s[12:13], s21 offset:0x0 scale_offset
	s_wait_kmcnt 0x0
	s_add_co_i32 s28, s22, -1
	s_delay_alu instid0(SALU_CYCLE_1)
	s_cmp_lt_i32 s16, s28
	s_cbranch_scc1 .LBB215_40
; %bb.42:                               ;   in Loop: Header=BB215_41 Depth=2
	s_lshl_b32 s17, s16, 4
	s_lshl_b32 s18, s22, 4
	s_max_i32 s29, s22, 1
	s_add_co_i32 s30, s38, s17
	s_sub_co_i32 s31, 0, s18
	s_mul_i32 s43, s16, 0x110
	s_mul_i32 s44, s22, 0xfffffef0
	s_branch .LBB215_44
.LBB215_43:                             ;   in Loop: Header=BB215_44 Depth=3
	s_sub_co_i32 s16, s16, s22
	s_add_co_i32 s30, s30, s31
	s_add_co_i32 s43, s43, s44
	s_cmp_lt_i32 s16, s28
	s_cbranch_scc1 .LBB215_40
.LBB215_44:                             ;   Parent Loop BB215_4 Depth=1
                                        ;     Parent Loop BB215_41 Depth=2
                                        ; =>    This Loop Header: Depth=3
                                        ;         Child Loop BB215_45 Depth 4
                                        ;         Child Loop BB215_47 Depth 4
                                        ;           Child Loop BB215_48 Depth 5
                                        ;         Child Loop BB215_52 Depth 4
                                        ;           Child Loop BB215_54 Depth 5
	s_ashr_i32 s17, s16, 31
	s_mov_b32 s18, 8
	s_wait_xcnt 0x0
	v_lshl_add_u64 v[0:1], s[16:17], 4, v[6:7]
	s_mov_b32 s19, s29
.LBB215_45:                             ;   Parent Loop BB215_4 Depth=1
                                        ;     Parent Loop BB215_41 Depth=2
                                        ;       Parent Loop BB215_44 Depth=3
                                        ; =>      This Inner Loop Header: Depth=4
	global_load_b128 v[16:19], v[0:1], off offset:-8
	s_wait_xcnt 0x0
	v_add_nc_u64_e32 v[0:1], -16, v[0:1]
	s_add_co_i32 s19, s19, -1
	s_mov_b32 s26, s18
	s_add_co_i32 s18, s18, 16
	s_cmp_eq_u32 s19, 0
	s_wait_loadcnt 0x0
	v_mul_f64_e32 v[2:3], s[6:7], v[18:19]
	v_mul_f64_e32 v[20:21], s[4:5], v[18:19]
	s_delay_alu instid0(VALU_DEP_2) | instskip(NEXT) | instid1(VALU_DEP_2)
	v_fma_f64 v[18:19], s[4:5], v[16:17], -v[2:3]
	v_fmac_f64_e32 v[20:21], s[6:7], v[16:17]
	scratch_store_b128 off, v[18:21], s26 offset:-8
	s_cbranch_scc0 .LBB215_45
; %bb.46:                               ;   in Loop: Header=BB215_44 Depth=3
	s_cmp_le_i32 s34, s16
	s_wait_xcnt 0x0
	s_mov_b32 s26, s30
	s_mov_b32 s18, s34
	s_cbranch_scc1 .LBB215_50
.LBB215_47:                             ;   Parent Loop BB215_4 Depth=1
                                        ;     Parent Loop BB215_41 Depth=2
                                        ;       Parent Loop BB215_44 Depth=3
                                        ; =>      This Loop Header: Depth=4
                                        ;           Child Loop BB215_48 Depth 5
	s_ashr_i32 s19, s18, 31
	s_mov_b32 s27, s26
	v_lshl_add_u64 v[0:1], s[18:19], 4, v[4:5]
	s_mov_b32 s19, s37
	s_mov_b32 s45, s29
	global_load_b128 v[0:3], v[0:1], off
.LBB215_48:                             ;   Parent Loop BB215_4 Depth=1
                                        ;     Parent Loop BB215_41 Depth=2
                                        ;       Parent Loop BB215_44 Depth=3
                                        ;         Parent Loop BB215_47 Depth=4
                                        ; =>        This Inner Loop Header: Depth=5
	scratch_load_b128 v[16:19], off, s19 offset:-8
	v_mov_b32_e32 v20, s27
	s_add_co_i32 s45, s45, -1
	s_add_co_i32 s27, s27, -16
	ds_load_b128 v[20:23], v20
	s_wait_loadcnt_dscnt 0x100
	v_mul_f64_e32 v[24:25], v[2:3], v[22:23]
	v_mul_f64_e32 v[22:23], v[0:1], v[22:23]
	s_delay_alu instid0(VALU_DEP_2) | instskip(NEXT) | instid1(VALU_DEP_2)
	v_fma_f64 v[24:25], v[0:1], v[20:21], -v[24:25]
	v_fmac_f64_e32 v[22:23], v[2:3], v[20:21]
	s_wait_loadcnt 0x0
	s_delay_alu instid0(VALU_DEP_2) | instskip(NEXT) | instid1(VALU_DEP_2)
	v_add_f64_e64 v[16:17], v[16:17], -v[24:25]
	v_add_f64_e64 v[18:19], v[18:19], -v[22:23]
	scratch_store_b128 off, v[16:19], s19 offset:-8
	s_wait_xcnt 0x0
	s_add_co_i32 s19, s19, 16
	s_cmp_eq_u32 s45, 0
	s_cbranch_scc0 .LBB215_48
; %bb.49:                               ;   in Loop: Header=BB215_47 Depth=4
	s_add_co_i32 s18, s18, -1
	s_addk_co_i32 s26, 0xff00
	s_cmp_le_i32 s18, s16
	s_cbranch_scc0 .LBB215_47
.LBB215_50:                             ;   in Loop: Header=BB215_44 Depth=3
	s_mov_b32 s45, 0
	s_mov_b32 s46, s43
	s_branch .LBB215_52
.LBB215_51:                             ;   in Loop: Header=BB215_52 Depth=4
	s_wait_xcnt 0x1
	s_mulk_i32 s26, 0x110
	s_add_co_i32 s46, s46, -16
	v_mov_b32_e32 v16, s26
	s_lshl_b32 s26, s45, 4
	s_add_co_i32 s45, s45, 1
	s_delay_alu instid0(SALU_CYCLE_1)
	s_cmp_eq_u32 s45, s29
	ds_load_b128 v[16:19], v16
	s_wait_loadcnt_dscnt 0x0
	s_wait_xcnt 0x0
	v_mul_f64_e32 v[20:21], v[18:19], v[2:3]
	v_mul_f64_e32 v[22:23], v[16:17], v[2:3]
	s_delay_alu instid0(VALU_DEP_2) | instskip(NEXT) | instid1(VALU_DEP_2)
	v_fma_f64 v[20:21], v[16:17], v[0:1], -v[20:21]
	v_fmac_f64_e32 v[22:23], v[18:19], v[0:1]
	v_lshl_add_u64 v[0:1], s[18:19], 4, v[4:5]
	scratch_store_b128 off, v[20:23], s26
	global_store_b128 v[0:1], v[20:23], off
	s_cbranch_scc1 .LBB215_43
.LBB215_52:                             ;   Parent Loop BB215_4 Depth=1
                                        ;     Parent Loop BB215_41 Depth=2
                                        ;       Parent Loop BB215_44 Depth=3
                                        ; =>      This Loop Header: Depth=4
                                        ;           Child Loop BB215_54 Depth 5
	s_cmp_lg_u32 s45, 0
	s_cbranch_scc0 .LBB215_56
; %bb.53:                               ;   in Loop: Header=BB215_52 Depth=4
	s_lshl_b32 s18, s45, 4
	s_mov_b32 s19, s37
	scratch_load_b128 v[0:3], off, s18
	s_mov_b32 s26, s46
	s_mov_b32 s27, s45
.LBB215_54:                             ;   Parent Loop BB215_4 Depth=1
                                        ;     Parent Loop BB215_41 Depth=2
                                        ;       Parent Loop BB215_44 Depth=3
                                        ;         Parent Loop BB215_52 Depth=4
                                        ; =>        This Inner Loop Header: Depth=5
	scratch_load_b128 v[16:19], off, s19 offset:-8
	v_mov_b32_e32 v20, s26
	s_add_co_i32 s27, s27, -1
	s_addk_co_i32 s26, 0xff00
	s_wait_xcnt 0x0
	s_add_co_i32 s19, s19, 16
	s_cmp_eq_u32 s27, 0
	ds_load_b128 v[20:23], v20
	s_wait_loadcnt_dscnt 0x0
	v_mul_f64_e32 v[24:25], v[22:23], v[18:19]
	v_mul_f64_e32 v[18:19], v[20:21], v[18:19]
	s_delay_alu instid0(VALU_DEP_2) | instskip(NEXT) | instid1(VALU_DEP_2)
	v_fma_f64 v[20:21], v[20:21], v[16:17], -v[24:25]
	v_fmac_f64_e32 v[18:19], v[22:23], v[16:17]
	s_delay_alu instid0(VALU_DEP_2) | instskip(NEXT) | instid1(VALU_DEP_2)
	v_add_f64_e64 v[0:1], v[0:1], -v[20:21]
	v_add_f64_e64 v[2:3], v[2:3], -v[18:19]
	scratch_store_b128 off, v[0:3], s18
	s_cbranch_scc0 .LBB215_54
; %bb.55:                               ;   in Loop: Header=BB215_52 Depth=4
	s_sub_co_i32 s26, s16, s45
	s_delay_alu instid0(SALU_CYCLE_1)
	s_ashr_i32 s27, s26, 31
	s_wait_xcnt 0x0
	s_mov_b64 s[18:19], s[26:27]
	s_branch .LBB215_51
.LBB215_56:                             ;   in Loop: Header=BB215_52 Depth=4
                                        ; implicit-def: $vgpr0_vgpr1
                                        ; implicit-def: $sgpr26
                                        ; implicit-def: $sgpr18_sgpr19
	s_cbranch_execz .LBB215_51
; %bb.57:                               ;   in Loop: Header=BB215_52 Depth=4
	scratch_load_b128 v[0:3], off, off
	s_mov_b64 s[18:19], s[16:17]
	s_mov_b32 s26, s16
	s_branch .LBB215_51
.LBB215_58:
	s_or_b32 exec_lo, exec_lo, s39
	s_and_saveexec_b32 s0, s40
	s_delay_alu instid0(SALU_CYCLE_1)
	s_xor_b32 s0, exec_lo, s0
.LBB215_59:
	s_endpgm
	.section	.rodata,"a",@progbits
	.p2align	6, 0x0
	.amdhsa_kernel _ZL30rocblas_trsm_small_left_deviceILi16ELi16ELb0E19rocblas_complex_numIdES1_PKS1_PS1_Ev13rocblas_fill_18rocblas_operation_17rocblas_diagonal_iiT3_T4_lilT5_lili
		.amdhsa_group_segment_fixed_size 4096
		.amdhsa_private_segment_fixed_size 272
		.amdhsa_kernarg_size 368
		.amdhsa_user_sgpr_count 2
		.amdhsa_user_sgpr_dispatch_ptr 0
		.amdhsa_user_sgpr_queue_ptr 0
		.amdhsa_user_sgpr_kernarg_segment_ptr 1
		.amdhsa_user_sgpr_dispatch_id 0
		.amdhsa_user_sgpr_kernarg_preload_length 0
		.amdhsa_user_sgpr_kernarg_preload_offset 0
		.amdhsa_user_sgpr_private_segment_size 0
		.amdhsa_wavefront_size32 1
		.amdhsa_uses_dynamic_stack 0
		.amdhsa_enable_private_segment 1
		.amdhsa_system_sgpr_workgroup_id_x 1
		.amdhsa_system_sgpr_workgroup_id_y 0
		.amdhsa_system_sgpr_workgroup_id_z 1
		.amdhsa_system_sgpr_workgroup_info 0
		.amdhsa_system_vgpr_workitem_id 0
		.amdhsa_next_free_vgpr 28
		.amdhsa_next_free_sgpr 51
		.amdhsa_named_barrier_count 0
		.amdhsa_reserve_vcc 1
		.amdhsa_float_round_mode_32 0
		.amdhsa_float_round_mode_16_64 0
		.amdhsa_float_denorm_mode_32 3
		.amdhsa_float_denorm_mode_16_64 3
		.amdhsa_fp16_overflow 0
		.amdhsa_memory_ordered 1
		.amdhsa_forward_progress 1
		.amdhsa_inst_pref_size 21
		.amdhsa_round_robin_scheduling 0
		.amdhsa_exception_fp_ieee_invalid_op 0
		.amdhsa_exception_fp_denorm_src 0
		.amdhsa_exception_fp_ieee_div_zero 0
		.amdhsa_exception_fp_ieee_overflow 0
		.amdhsa_exception_fp_ieee_underflow 0
		.amdhsa_exception_fp_ieee_inexact 0
		.amdhsa_exception_int_div_zero 0
	.end_amdhsa_kernel
	.section	.text._ZL30rocblas_trsm_small_left_deviceILi16ELi16ELb0E19rocblas_complex_numIdES1_PKS1_PS1_Ev13rocblas_fill_18rocblas_operation_17rocblas_diagonal_iiT3_T4_lilT5_lili,"axG",@progbits,_ZL30rocblas_trsm_small_left_deviceILi16ELi16ELb0E19rocblas_complex_numIdES1_PKS1_PS1_Ev13rocblas_fill_18rocblas_operation_17rocblas_diagonal_iiT3_T4_lilT5_lili,comdat
.Lfunc_end215:
	.size	_ZL30rocblas_trsm_small_left_deviceILi16ELi16ELb0E19rocblas_complex_numIdES1_PKS1_PS1_Ev13rocblas_fill_18rocblas_operation_17rocblas_diagonal_iiT3_T4_lilT5_lili, .Lfunc_end215-_ZL30rocblas_trsm_small_left_deviceILi16ELi16ELb0E19rocblas_complex_numIdES1_PKS1_PS1_Ev13rocblas_fill_18rocblas_operation_17rocblas_diagonal_iiT3_T4_lilT5_lili
                                        ; -- End function
	.set _ZL30rocblas_trsm_small_left_deviceILi16ELi16ELb0E19rocblas_complex_numIdES1_PKS1_PS1_Ev13rocblas_fill_18rocblas_operation_17rocblas_diagonal_iiT3_T4_lilT5_lili.num_vgpr, 28
	.set _ZL30rocblas_trsm_small_left_deviceILi16ELi16ELb0E19rocblas_complex_numIdES1_PKS1_PS1_Ev13rocblas_fill_18rocblas_operation_17rocblas_diagonal_iiT3_T4_lilT5_lili.num_agpr, 0
	.set _ZL30rocblas_trsm_small_left_deviceILi16ELi16ELb0E19rocblas_complex_numIdES1_PKS1_PS1_Ev13rocblas_fill_18rocblas_operation_17rocblas_diagonal_iiT3_T4_lilT5_lili.numbered_sgpr, 51
	.set _ZL30rocblas_trsm_small_left_deviceILi16ELi16ELb0E19rocblas_complex_numIdES1_PKS1_PS1_Ev13rocblas_fill_18rocblas_operation_17rocblas_diagonal_iiT3_T4_lilT5_lili.num_named_barrier, 0
	.set _ZL30rocblas_trsm_small_left_deviceILi16ELi16ELb0E19rocblas_complex_numIdES1_PKS1_PS1_Ev13rocblas_fill_18rocblas_operation_17rocblas_diagonal_iiT3_T4_lilT5_lili.private_seg_size, 272
	.set _ZL30rocblas_trsm_small_left_deviceILi16ELi16ELb0E19rocblas_complex_numIdES1_PKS1_PS1_Ev13rocblas_fill_18rocblas_operation_17rocblas_diagonal_iiT3_T4_lilT5_lili.uses_vcc, 1
	.set _ZL30rocblas_trsm_small_left_deviceILi16ELi16ELb0E19rocblas_complex_numIdES1_PKS1_PS1_Ev13rocblas_fill_18rocblas_operation_17rocblas_diagonal_iiT3_T4_lilT5_lili.uses_flat_scratch, 0
	.set _ZL30rocblas_trsm_small_left_deviceILi16ELi16ELb0E19rocblas_complex_numIdES1_PKS1_PS1_Ev13rocblas_fill_18rocblas_operation_17rocblas_diagonal_iiT3_T4_lilT5_lili.has_dyn_sized_stack, 0
	.set _ZL30rocblas_trsm_small_left_deviceILi16ELi16ELb0E19rocblas_complex_numIdES1_PKS1_PS1_Ev13rocblas_fill_18rocblas_operation_17rocblas_diagonal_iiT3_T4_lilT5_lili.has_recursion, 0
	.set _ZL30rocblas_trsm_small_left_deviceILi16ELi16ELb0E19rocblas_complex_numIdES1_PKS1_PS1_Ev13rocblas_fill_18rocblas_operation_17rocblas_diagonal_iiT3_T4_lilT5_lili.has_indirect_call, 0
	.section	.AMDGPU.csdata,"",@progbits
; Kernel info:
; codeLenInByte = 2684
; TotalNumSgprs: 53
; NumVgprs: 28
; ScratchSize: 272
; MemoryBound: 0
; FloatMode: 240
; IeeeMode: 1
; LDSByteSize: 4096 bytes/workgroup (compile time only)
; SGPRBlocks: 0
; VGPRBlocks: 1
; NumSGPRsForWavesPerEU: 53
; NumVGPRsForWavesPerEU: 28
; NamedBarCnt: 0
; Occupancy: 16
; WaveLimiterHint : 0
; COMPUTE_PGM_RSRC2:SCRATCH_EN: 1
; COMPUTE_PGM_RSRC2:USER_SGPR: 2
; COMPUTE_PGM_RSRC2:TRAP_HANDLER: 0
; COMPUTE_PGM_RSRC2:TGID_X_EN: 1
; COMPUTE_PGM_RSRC2:TGID_Y_EN: 0
; COMPUTE_PGM_RSRC2:TGID_Z_EN: 1
; COMPUTE_PGM_RSRC2:TIDIG_COMP_CNT: 0
	.section	.text._ZL38rocblas_trsm_small_left_device_sharedBILi16ELi16ELb1E19rocblas_complex_numIdES1_PKS1_PS1_Ev13rocblas_fill_18rocblas_operation_17rocblas_diagonal_iiT3_T4_lilT5_lili,"axG",@progbits,_ZL38rocblas_trsm_small_left_device_sharedBILi16ELi16ELb1E19rocblas_complex_numIdES1_PKS1_PS1_Ev13rocblas_fill_18rocblas_operation_17rocblas_diagonal_iiT3_T4_lilT5_lili,comdat
	.globl	_ZL38rocblas_trsm_small_left_device_sharedBILi16ELi16ELb1E19rocblas_complex_numIdES1_PKS1_PS1_Ev13rocblas_fill_18rocblas_operation_17rocblas_diagonal_iiT3_T4_lilT5_lili ; -- Begin function _ZL38rocblas_trsm_small_left_device_sharedBILi16ELi16ELb1E19rocblas_complex_numIdES1_PKS1_PS1_Ev13rocblas_fill_18rocblas_operation_17rocblas_diagonal_iiT3_T4_lilT5_lili
	.p2align	8
	.type	_ZL38rocblas_trsm_small_left_device_sharedBILi16ELi16ELb1E19rocblas_complex_numIdES1_PKS1_PS1_Ev13rocblas_fill_18rocblas_operation_17rocblas_diagonal_iiT3_T4_lilT5_lili,@function
_ZL38rocblas_trsm_small_left_device_sharedBILi16ELi16ELb1E19rocblas_complex_numIdES1_PKS1_PS1_Ev13rocblas_fill_18rocblas_operation_17rocblas_diagonal_iiT3_T4_lilT5_lili: ; @_ZL38rocblas_trsm_small_left_device_sharedBILi16ELi16ELb1E19rocblas_complex_numIdES1_PKS1_PS1_Ev13rocblas_fill_18rocblas_operation_17rocblas_diagonal_iiT3_T4_lilT5_lili
; %bb.0:
	s_load_b32 s3, s[0:1], 0x68
	s_bfe_u32 s2, ttmp6, 0x40014
	s_lshr_b32 s5, ttmp7, 16
	s_add_co_i32 s2, s2, 1
	s_bfe_u32 s6, ttmp6, 0x40008
	s_mul_i32 s2, s5, s2
	s_getreg_b32 s4, hwreg(HW_REG_IB_STS2, 6, 4)
	s_add_co_i32 s6, s6, s2
	s_cmp_eq_u32 s4, 0
	s_mov_b32 s21, 0
	s_cselect_b32 s20, s5, s6
	s_wait_kmcnt 0x0
	s_cmp_ge_u32 s20, s3
	s_cbranch_scc1 .LBB216_62
; %bb.1:
	s_clause 0x5
	s_load_b32 s26, s[0:1], 0x38
	s_load_b96 s[16:18], s[0:1], 0x50
	s_load_b128 s[8:11], s[0:1], 0x4
	s_load_b32 s5, s[0:1], 0x70
	s_load_b64 s[28:29], s[0:1], 0x60
	s_load_b128 s[12:15], s[0:1], 0x40
	v_dual_mov_b32 v9, 0 :: v_dual_lshlrev_b32 v8, 4, v0
	s_wait_kmcnt 0x0
	s_ashr_i32 s27, s26, 31
	s_ashr_i32 s25, s18, 31
	s_cmp_eq_u32 s8, 0x71
	s_cselect_b32 s2, -1, 0
	s_bfe_u32 s6, ttmp6, 0x4000c
	s_min_i32 s19, s10, 16
	s_add_co_i32 s6, s6, 1
	s_and_b32 s7, ttmp6, 15
	s_mul_i32 s6, ttmp9, s6
	s_add_co_i32 s5, s5, -1
	s_add_co_i32 s22, s19, -1
	s_add_co_i32 s7, s7, s6
	s_cmp_eq_u32 s4, 0
	s_cselect_b32 s6, ttmp9, s7
	s_delay_alu instid0(SALU_CYCLE_1) | instskip(NEXT) | instid1(SALU_CYCLE_1)
	s_lshl_b32 s4, s6, 4
	s_sub_co_i32 s7, s11, s4
	s_cmp_ge_u32 s6, s5
	s_cselect_b32 s33, s7, 16
	s_ashr_i32 s5, s4, 31
	s_cmp_lg_u32 s9, 0x84
	v_cmp_gt_i32_e32 vcc_lo, s33, v0
	s_cselect_b32 s23, -1, 0
	s_cmp_gt_i32 s10, 0
	s_cselect_b32 s34, -1, 0
	s_cmp_lg_u32 s8, 0x6f
	s_cselect_b32 s24, -1, 0
	s_lshl_b64 s[30:31], s[4:5], 4
	s_lshl_b64 s[4:5], s[16:17], 4
	v_or_b32_e32 v1, s30, v8
	s_add_nc_u64 s[14:15], s[14:15], s[4:5]
	s_load_b256 s[4:11], s[0:1], 0x18
	s_delay_alu instid0(VALU_DEP_1) | instskip(SKIP_1) | instid1(VALU_DEP_1)
	v_mad_nc_u64_u32 v[10:11], v1, s18, s[14:15]
	s_lshl_b64 s[14:15], s[28:29], 4
	v_mad_u32 v2, s31, s18, v11
	s_or_b32 s18, 0, 8
	s_wait_kmcnt 0x0
	s_lshl_b64 s[0:1], s[10:11], 4
	s_lshl_b64 s[10:11], s[26:27], 4
	s_add_nc_u64 s[0:1], s[8:9], s[0:1]
	s_lshl_b64 s[8:9], s[12:13], 4
	s_get_pc_i64 s[12:13]
	s_add_nc_u64 s[12:13], s[12:13], __const._ZL38rocblas_trsm_small_left_device_sharedBILi16ELi16ELb1E19rocblas_complex_numIdES1_PKS1_PS1_Ev13rocblas_fill_18rocblas_operation_17rocblas_diagonal_iiT3_T4_lilT5_lili.step_sizes@rel64+4
	s_delay_alu instid0(VALU_DEP_1)
	v_mad_u32 v11, v1, s25, v2
	v_add_nc_u64_e32 v[2:3], s[0:1], v[8:9]
	v_cmp_gt_i32_e64 s0, s19, v0
	v_lshlrev_b32_e32 v0, 8, v0
	v_or_b32_e32 v9, 0x1000, v8
	s_lshl_b32 s25, s19, 4
	s_and_b32 s1, vcc_lo, s34
	s_add_co_i32 s25, s25, -16
	v_add_nc_u64_e32 v[12:13], 8, v[2:3]
	v_add_nc_u32_e32 v16, v8, v0
	v_add_nc_u64_e32 v[14:15], 8, v[10:11]
	s_branch .LBB216_3
.LBB216_2:                              ;   in Loop: Header=BB216_3 Depth=1
	s_or_b32 exec_lo, exec_lo, s26
	s_add_co_i32 s20, s20, 0x10000
	s_delay_alu instid0(SALU_CYCLE_1)
	s_cmp_lt_u32 s20, s3
	s_cbranch_scc0 .LBB216_62
.LBB216_3:                              ; =>This Loop Header: Depth=1
                                        ;     Child Loop BB216_5 Depth 2
                                        ;     Child Loop BB216_16 Depth 2
	;; [unrolled: 1-line block ×3, first 2 shown]
                                        ;       Child Loop BB216_23 Depth 3
                                        ;         Child Loop BB216_24 Depth 4
                                        ;         Child Loop BB216_26 Depth 4
                                        ;           Child Loop BB216_27 Depth 5
                                        ;         Child Loop BB216_31 Depth 4
                                        ;           Child Loop BB216_33 Depth 5
                                        ;     Child Loop BB216_41 Depth 2
                                        ;       Child Loop BB216_44 Depth 3
                                        ;         Child Loop BB216_45 Depth 4
                                        ;         Child Loop BB216_48 Depth 4
                                        ;           Child Loop BB216_49 Depth 5
                                        ;         Child Loop BB216_53 Depth 4
                                        ;           Child Loop BB216_55 Depth 5
                                        ;     Child Loop BB216_61 Depth 2
	s_and_saveexec_b32 s16, s0
	s_cbranch_execz .LBB216_14
; %bb.4:                                ;   in Loop: Header=BB216_3 Depth=1
	s_delay_alu instid0(VALU_DEP_3) | instskip(SKIP_2) | instid1(VALU_DEP_2)
	v_mad_nc_u64_u32 v[0:1], s8, s20, v[12:13]
	v_mov_b32_e32 v2, v8
	s_mov_b32 s17, s19
	v_mad_u32 v1, s9, s20, v1
.LBB216_5:                              ;   Parent Loop BB216_3 Depth=1
                                        ; =>  This Inner Loop Header: Depth=2
	global_load_b128 v[4:7], v[0:1], off offset:-8
	s_wait_xcnt 0x0
	v_add_nc_u64_e32 v[0:1], s[10:11], v[0:1]
	s_add_co_i32 s17, s17, -1
	s_delay_alu instid0(SALU_CYCLE_1) | instskip(SKIP_2) | instid1(VALU_DEP_1)
	s_cmp_eq_u32 s17, 0
	s_wait_loadcnt 0x0
	v_xor_b32_e32 v3, 0x80000000, v7
	v_cndmask_b32_e64 v7, v7, v3, s2
	ds_store_b128 v2, v[4:7]
	v_add_nc_u32_e32 v2, 0x100, v2
	s_cbranch_scc0 .LBB216_5
; %bb.6:                                ;   in Loop: Header=BB216_3 Depth=1
	s_and_b32 vcc_lo, exec_lo, s23
	s_cbranch_vccz .LBB216_12
; %bb.7:                                ;   in Loop: Header=BB216_3 Depth=1
	ds_load_b128 v[0:3], v16
                                        ; implicit-def: $vgpr6_vgpr7
	s_wait_dscnt 0x0
	v_cmp_ngt_f64_e64 s17, |v[0:1]|, |v[2:3]|
	s_and_saveexec_b32 s26, s17
	s_delay_alu instid0(SALU_CYCLE_1)
	s_xor_b32 s17, exec_lo, s26
	s_cbranch_execz .LBB216_9
; %bb.8:                                ;   in Loop: Header=BB216_3 Depth=1
	v_div_scale_f64 v[4:5], null, v[2:3], v[2:3], v[0:1]
	v_div_scale_f64 v[20:21], vcc_lo, v[0:1], v[2:3], v[0:1]
	s_delay_alu instid0(VALU_DEP_2) | instskip(SKIP_1) | instid1(TRANS32_DEP_1)
	v_rcp_f64_e32 v[6:7], v[4:5]
	v_nop
	v_fma_f64 v[18:19], -v[4:5], v[6:7], 1.0
	s_delay_alu instid0(VALU_DEP_1) | instskip(NEXT) | instid1(VALU_DEP_1)
	v_fmac_f64_e32 v[6:7], v[6:7], v[18:19]
	v_fma_f64 v[18:19], -v[4:5], v[6:7], 1.0
	s_delay_alu instid0(VALU_DEP_1) | instskip(NEXT) | instid1(VALU_DEP_1)
	v_fmac_f64_e32 v[6:7], v[6:7], v[18:19]
	v_mul_f64_e32 v[18:19], v[20:21], v[6:7]
	s_delay_alu instid0(VALU_DEP_1) | instskip(NEXT) | instid1(VALU_DEP_1)
	v_fma_f64 v[4:5], -v[4:5], v[18:19], v[20:21]
	v_div_fmas_f64 v[4:5], v[4:5], v[6:7], v[18:19]
	s_delay_alu instid0(VALU_DEP_1) | instskip(NEXT) | instid1(VALU_DEP_1)
	v_div_fixup_f64 v[4:5], v[4:5], v[2:3], v[0:1]
	v_fmac_f64_e32 v[2:3], v[0:1], v[4:5]
	s_delay_alu instid0(VALU_DEP_1) | instskip(SKIP_1) | instid1(VALU_DEP_2)
	v_div_scale_f64 v[0:1], null, v[2:3], v[2:3], 1.0
	v_div_scale_f64 v[20:21], vcc_lo, 1.0, v[2:3], 1.0
	v_rcp_f64_e32 v[6:7], v[0:1]
	v_nop
	s_delay_alu instid0(TRANS32_DEP_1) | instskip(NEXT) | instid1(VALU_DEP_1)
	v_fma_f64 v[18:19], -v[0:1], v[6:7], 1.0
	v_fmac_f64_e32 v[6:7], v[6:7], v[18:19]
	s_delay_alu instid0(VALU_DEP_1) | instskip(NEXT) | instid1(VALU_DEP_1)
	v_fma_f64 v[18:19], -v[0:1], v[6:7], 1.0
	v_fmac_f64_e32 v[6:7], v[6:7], v[18:19]
	s_delay_alu instid0(VALU_DEP_1) | instskip(NEXT) | instid1(VALU_DEP_1)
	v_mul_f64_e32 v[18:19], v[20:21], v[6:7]
	v_fma_f64 v[0:1], -v[0:1], v[18:19], v[20:21]
	s_delay_alu instid0(VALU_DEP_1) | instskip(SKIP_1) | instid1(VALU_DEP_2)
	v_div_fmas_f64 v[0:1], v[0:1], v[6:7], v[18:19]
	v_add_f64_e32 v[6:7], 0, v[4:5]
	v_div_fixup_f64 v[0:1], v[0:1], v[2:3], 1.0
	v_fma_f64 v[2:3], v[4:5], 0, -1.0
	s_delay_alu instid0(VALU_DEP_2) | instskip(NEXT) | instid1(VALU_DEP_2)
	v_mul_f64_e32 v[4:5], v[6:7], v[0:1]
	v_mul_f64_e32 v[6:7], v[2:3], v[0:1]
                                        ; implicit-def: $vgpr0_vgpr1
.LBB216_9:                              ;   in Loop: Header=BB216_3 Depth=1
	s_and_not1_saveexec_b32 s17, s17
	s_cbranch_execz .LBB216_11
; %bb.10:                               ;   in Loop: Header=BB216_3 Depth=1
	v_div_scale_f64 v[4:5], null, v[0:1], v[0:1], v[2:3]
	v_div_scale_f64 v[20:21], vcc_lo, v[2:3], v[0:1], v[2:3]
	s_delay_alu instid0(VALU_DEP_2) | instskip(SKIP_1) | instid1(TRANS32_DEP_1)
	v_rcp_f64_e32 v[6:7], v[4:5]
	v_nop
	v_fma_f64 v[18:19], -v[4:5], v[6:7], 1.0
	s_delay_alu instid0(VALU_DEP_1) | instskip(NEXT) | instid1(VALU_DEP_1)
	v_fmac_f64_e32 v[6:7], v[6:7], v[18:19]
	v_fma_f64 v[18:19], -v[4:5], v[6:7], 1.0
	s_delay_alu instid0(VALU_DEP_1) | instskip(NEXT) | instid1(VALU_DEP_1)
	v_fmac_f64_e32 v[6:7], v[6:7], v[18:19]
	v_mul_f64_e32 v[18:19], v[20:21], v[6:7]
	s_delay_alu instid0(VALU_DEP_1) | instskip(NEXT) | instid1(VALU_DEP_1)
	v_fma_f64 v[4:5], -v[4:5], v[18:19], v[20:21]
	v_div_fmas_f64 v[4:5], v[4:5], v[6:7], v[18:19]
	s_delay_alu instid0(VALU_DEP_1) | instskip(NEXT) | instid1(VALU_DEP_1)
	v_div_fixup_f64 v[4:5], v[4:5], v[0:1], v[2:3]
	v_fmac_f64_e32 v[0:1], v[2:3], v[4:5]
	s_delay_alu instid0(VALU_DEP_1) | instskip(SKIP_1) | instid1(VALU_DEP_2)
	v_div_scale_f64 v[2:3], null, v[0:1], v[0:1], 1.0
	v_div_scale_f64 v[20:21], vcc_lo, 1.0, v[0:1], 1.0
	v_rcp_f64_e32 v[6:7], v[2:3]
	v_nop
	s_delay_alu instid0(TRANS32_DEP_1) | instskip(NEXT) | instid1(VALU_DEP_1)
	v_fma_f64 v[18:19], -v[2:3], v[6:7], 1.0
	v_fmac_f64_e32 v[6:7], v[6:7], v[18:19]
	s_delay_alu instid0(VALU_DEP_1) | instskip(NEXT) | instid1(VALU_DEP_1)
	v_fma_f64 v[18:19], -v[2:3], v[6:7], 1.0
	v_fmac_f64_e32 v[6:7], v[6:7], v[18:19]
	s_delay_alu instid0(VALU_DEP_1) | instskip(NEXT) | instid1(VALU_DEP_1)
	v_mul_f64_e32 v[18:19], v[20:21], v[6:7]
	v_fma_f64 v[2:3], -v[2:3], v[18:19], v[20:21]
	s_delay_alu instid0(VALU_DEP_1) | instskip(SKIP_1) | instid1(VALU_DEP_2)
	v_div_fmas_f64 v[2:3], v[2:3], v[6:7], v[18:19]
	v_fma_f64 v[6:7], v[4:5], 0, 1.0
	v_div_fixup_f64 v[0:1], v[2:3], v[0:1], 1.0
	v_add_f64_e64 v[2:3], -v[4:5], 0
	s_delay_alu instid0(VALU_DEP_2) | instskip(NEXT) | instid1(VALU_DEP_2)
	v_mul_f64_e32 v[4:5], v[6:7], v[0:1]
	v_mul_f64_e32 v[6:7], v[2:3], v[0:1]
.LBB216_11:                             ;   in Loop: Header=BB216_3 Depth=1
	s_or_b32 exec_lo, exec_lo, s17
	s_branch .LBB216_13
.LBB216_12:                             ;   in Loop: Header=BB216_3 Depth=1
	v_mov_b64_e32 v[6:7], 0
	v_mov_b64_e32 v[4:5], 1.0
.LBB216_13:                             ;   in Loop: Header=BB216_3 Depth=1
	ds_store_b128 v16, v[4:7]
.LBB216_14:                             ;   in Loop: Header=BB216_3 Depth=1
	s_or_b32 exec_lo, exec_lo, s16
	s_mul_u64 s[16:17], s[14:15], s[20:21]
	s_and_saveexec_b32 s26, s1
	s_cbranch_execz .LBB216_17
; %bb.15:                               ;   in Loop: Header=BB216_3 Depth=1
	v_add_nc_u64_e32 v[0:1], s[16:17], v[14:15]
	v_mov_b32_e32 v2, v9
	s_mov_b32 s27, s19
.LBB216_16:                             ;   Parent Loop BB216_3 Depth=1
                                        ; =>  This Inner Loop Header: Depth=2
	global_load_b128 v[4:7], v[0:1], off offset:-8
	s_wait_xcnt 0x0
	v_add_nc_u64_e32 v[0:1], 16, v[0:1]
	s_add_co_i32 s27, s27, -1
	s_delay_alu instid0(SALU_CYCLE_1) | instskip(SKIP_3) | instid1(VALU_DEP_2)
	s_cmp_lg_u32 s27, 0
	s_wait_loadcnt 0x0
	v_mul_f64_e32 v[18:19], s[6:7], v[6:7]
	v_mul_f64_e32 v[20:21], s[4:5], v[6:7]
	v_fma_f64 v[18:19], s[4:5], v[4:5], -v[18:19]
	s_delay_alu instid0(VALU_DEP_2)
	v_fmac_f64_e32 v[20:21], s[6:7], v[4:5]
	ds_store_b128 v2, v[18:21]
	v_add_nc_u32_e32 v2, 0x100, v2
	s_cbranch_scc1 .LBB216_16
.LBB216_17:                             ;   in Loop: Header=BB216_3 Depth=1
	s_or_b32 exec_lo, exec_lo, s26
	s_delay_alu instid0(SALU_CYCLE_1)
	s_and_not1_b32 vcc_lo, exec_lo, s24
	s_mov_b32 s26, -1
	s_wait_dscnt 0x0
	; wave barrier
	s_cbranch_vccnz .LBB216_38
; %bb.18:                               ;   in Loop: Header=BB216_3 Depth=1
	s_mov_b32 s27, 0
	s_mov_b32 s26, s22
	s_branch .LBB216_20
.LBB216_19:                             ;   in Loop: Header=BB216_20 Depth=2
	s_cmp_gt_i32 s26, -1
	s_cselect_b32 s28, -1, 0
	s_add_co_i32 s29, s27, 1
	s_cmp_lt_u32 s27, 2
	s_wait_xcnt 0x0
	s_cselect_b32 s27, -1, 0
	s_delay_alu instid0(SALU_CYCLE_1) | instskip(NEXT) | instid1(SALU_CYCLE_1)
	s_and_b32 s27, s28, s27
	s_and_b32 vcc_lo, exec_lo, s27
	s_mov_b32 s27, s29
	s_cbranch_vccz .LBB216_37
.LBB216_20:                             ;   Parent Loop BB216_3 Depth=1
                                        ; =>  This Loop Header: Depth=2
                                        ;       Child Loop BB216_23 Depth 3
                                        ;         Child Loop BB216_24 Depth 4
                                        ;         Child Loop BB216_26 Depth 4
                                        ;           Child Loop BB216_27 Depth 5
                                        ;         Child Loop BB216_31 Depth 4
                                        ;           Child Loop BB216_33 Depth 5
	s_load_b32 s28, s[12:13], s27 offset:0x0 scale_offset
	s_wait_kmcnt 0x0
	s_add_co_i32 s29, s28, -1
	s_delay_alu instid0(SALU_CYCLE_1)
	s_cmp_lt_i32 s26, s29
	s_cbranch_scc1 .LBB216_19
; %bb.21:                               ;   in Loop: Header=BB216_20 Depth=2
	s_lshl_b32 s33, s26, 8
	s_lshl_b32 s31, s28, 8
	v_add_nc_u32_e32 v4, s33, v9
	s_max_i32 s30, s28, 1
	s_sub_co_i32 s31, 0, s31
	s_add_co_i32 s33, s25, s33
	s_mul_i32 s34, s26, 0x110
	s_mul_i32 s35, s28, 0xfffffef0
	s_branch .LBB216_23
.LBB216_22:                             ;   in Loop: Header=BB216_23 Depth=3
	v_add_nc_u32_e32 v4, s31, v4
	s_sub_co_i32 s26, s26, s28
	s_add_co_i32 s33, s33, s31
	s_add_co_i32 s34, s34, s35
	s_cmp_lt_i32 s26, s29
	s_cbranch_scc1 .LBB216_19
.LBB216_23:                             ;   Parent Loop BB216_3 Depth=1
                                        ;     Parent Loop BB216_20 Depth=2
                                        ; =>    This Loop Header: Depth=3
                                        ;         Child Loop BB216_24 Depth 4
                                        ;         Child Loop BB216_26 Depth 4
                                        ;           Child Loop BB216_27 Depth 5
                                        ;         Child Loop BB216_31 Depth 4
                                        ;           Child Loop BB216_33 Depth 5
	v_mov_b32_e32 v0, v4
	s_mov_b32 s36, 0
	s_mov_b32 s37, s30
.LBB216_24:                             ;   Parent Loop BB216_3 Depth=1
                                        ;     Parent Loop BB216_20 Depth=2
                                        ;       Parent Loop BB216_23 Depth=3
                                        ; =>      This Inner Loop Header: Depth=4
	ds_load_b128 v[18:21], v0
	v_add_nc_u32_e32 v0, 0xffffff00, v0
	s_add_co_i32 s37, s37, -1
	s_wait_dscnt 0x0
	scratch_store_b128 off, v[18:21], s36
	s_wait_xcnt 0x0
	s_add_co_i32 s36, s36, 16
	s_cmp_eq_u32 s37, 0
	s_cbranch_scc0 .LBB216_24
; %bb.25:                               ;   in Loop: Header=BB216_23 Depth=3
	s_cmp_le_i32 s22, s26
	s_mov_b32 s36, s33
	s_mov_b32 s37, s22
	s_cbranch_scc1 .LBB216_29
.LBB216_26:                             ;   Parent Loop BB216_3 Depth=1
                                        ;     Parent Loop BB216_20 Depth=2
                                        ;       Parent Loop BB216_23 Depth=3
                                        ; =>      This Loop Header: Depth=4
                                        ;           Child Loop BB216_27 Depth 5
	v_lshl_add_u32 v0, s37, 8, v9
	s_mov_b32 s38, s18
	s_mov_b32 s39, s36
	s_mov_b32 s40, s30
	ds_load_b128 v[0:3], v0
.LBB216_27:                             ;   Parent Loop BB216_3 Depth=1
                                        ;     Parent Loop BB216_20 Depth=2
                                        ;       Parent Loop BB216_23 Depth=3
                                        ;         Parent Loop BB216_26 Depth=4
                                        ; =>        This Inner Loop Header: Depth=5
	scratch_load_b128 v[18:21], off, s38 offset:-8
	v_mov_b32_e32 v5, s39
	s_add_co_i32 s40, s40, -1
	s_addk_co_i32 s39, 0xff00
	ds_load_b128 v[22:25], v5
	s_wait_dscnt 0x0
	v_mul_f64_e32 v[6:7], v[2:3], v[24:25]
	v_mul_f64_e32 v[24:25], v[0:1], v[24:25]
	s_delay_alu instid0(VALU_DEP_2) | instskip(NEXT) | instid1(VALU_DEP_2)
	v_fma_f64 v[6:7], v[0:1], v[22:23], -v[6:7]
	v_fmac_f64_e32 v[24:25], v[2:3], v[22:23]
	s_wait_loadcnt 0x0
	s_delay_alu instid0(VALU_DEP_2) | instskip(NEXT) | instid1(VALU_DEP_2)
	v_add_f64_e64 v[18:19], v[18:19], -v[6:7]
	v_add_f64_e64 v[20:21], v[20:21], -v[24:25]
	scratch_store_b128 off, v[18:21], s38 offset:-8
	s_wait_xcnt 0x0
	s_add_co_i32 s38, s38, 16
	s_cmp_eq_u32 s40, 0
	s_cbranch_scc0 .LBB216_27
; %bb.28:                               ;   in Loop: Header=BB216_26 Depth=4
	s_add_co_i32 s37, s37, -1
	s_add_co_i32 s36, s36, -16
	s_cmp_le_i32 s37, s26
	s_cbranch_scc0 .LBB216_26
.LBB216_29:                             ;   in Loop: Header=BB216_23 Depth=3
	s_lshl_b32 s36, s26, 8
	s_mov_b32 s37, 0
	s_mov_b32 s38, s34
	s_branch .LBB216_31
.LBB216_30:                             ;   in Loop: Header=BB216_31 Depth=4
	s_wait_xcnt 0x0
	s_mulk_i32 s40, 0x110
	s_addk_co_i32 s38, 0xff00
	v_mov_b32_e32 v5, s40
	s_lshl_b32 s40, s37, 4
	s_add_co_i32 s37, s37, 1
	s_delay_alu instid0(SALU_CYCLE_1) | instskip(SKIP_4) | instid1(VALU_DEP_2)
	s_cmp_eq_u32 s37, s30
	ds_load_b128 v[18:21], v5
	s_wait_loadcnt_dscnt 0x0
	v_mul_f64_e32 v[6:7], v[20:21], v[2:3]
	v_mul_f64_e32 v[24:25], v[18:19], v[2:3]
	v_fma_f64 v[22:23], v[18:19], v[0:1], -v[6:7]
	s_delay_alu instid0(VALU_DEP_2)
	v_fmac_f64_e32 v[24:25], v[20:21], v[0:1]
	v_add_nc_u32_e32 v0, s39, v9
	scratch_store_b128 off, v[22:25], s40
	ds_store_b128 v0, v[22:25]
	s_cbranch_scc1 .LBB216_22
.LBB216_31:                             ;   Parent Loop BB216_3 Depth=1
                                        ;     Parent Loop BB216_20 Depth=2
                                        ;       Parent Loop BB216_23 Depth=3
                                        ; =>      This Loop Header: Depth=4
                                        ;           Child Loop BB216_33 Depth 5
	s_cmp_lg_u32 s37, 0
	s_cbranch_scc0 .LBB216_35
; %bb.32:                               ;   in Loop: Header=BB216_31 Depth=4
	s_lshl_b32 s41, s37, 4
	s_wait_xcnt 0x0
	s_sub_co_i32 s40, s26, s37
	scratch_load_b128 v[0:3], off, s41
	s_lshl_b32 s39, s40, 8
	s_mov_b32 s42, s18
	s_mov_b32 s43, s38
	;; [unrolled: 1-line block ×3, first 2 shown]
.LBB216_33:                             ;   Parent Loop BB216_3 Depth=1
                                        ;     Parent Loop BB216_20 Depth=2
                                        ;       Parent Loop BB216_23 Depth=3
                                        ;         Parent Loop BB216_31 Depth=4
                                        ; =>        This Inner Loop Header: Depth=5
	scratch_load_b128 v[18:21], off, s42 offset:-8
	v_mov_b32_e32 v5, s43
	s_add_co_i32 s44, s44, -1
	s_add_co_i32 s43, s43, -16
	s_wait_xcnt 0x0
	s_add_co_i32 s42, s42, 16
	s_cmp_eq_u32 s44, 0
	ds_load_b128 v[22:25], v5
	s_wait_loadcnt_dscnt 0x0
	v_mul_f64_e32 v[6:7], v[24:25], v[20:21]
	v_mul_f64_e32 v[20:21], v[22:23], v[20:21]
	s_delay_alu instid0(VALU_DEP_2) | instskip(NEXT) | instid1(VALU_DEP_2)
	v_fma_f64 v[6:7], v[22:23], v[18:19], -v[6:7]
	v_fmac_f64_e32 v[20:21], v[24:25], v[18:19]
	s_delay_alu instid0(VALU_DEP_2) | instskip(NEXT) | instid1(VALU_DEP_2)
	v_add_f64_e64 v[0:1], v[0:1], -v[6:7]
	v_add_f64_e64 v[2:3], v[2:3], -v[20:21]
	scratch_store_b128 off, v[0:3], s41
	s_cbranch_scc0 .LBB216_33
; %bb.34:                               ;   in Loop: Header=BB216_31 Depth=4
	s_wait_xcnt 0x0
	s_branch .LBB216_30
.LBB216_35:                             ;   in Loop: Header=BB216_31 Depth=4
                                        ; implicit-def: $vgpr0_vgpr1
                                        ; implicit-def: $sgpr40
                                        ; implicit-def: $sgpr39
	s_cbranch_execz .LBB216_30
; %bb.36:                               ;   in Loop: Header=BB216_31 Depth=4
	scratch_load_b128 v[0:3], off, off
	s_mov_b32 s39, s36
	s_wait_xcnt 0x1
	s_mov_b32 s40, s26
	s_branch .LBB216_30
.LBB216_37:                             ;   in Loop: Header=BB216_3 Depth=1
	s_mov_b32 s26, 0
.LBB216_38:                             ;   in Loop: Header=BB216_3 Depth=1
	s_delay_alu instid0(SALU_CYCLE_1)
	s_and_b32 vcc_lo, exec_lo, s26
	s_cbranch_vccz .LBB216_59
; %bb.39:                               ;   in Loop: Header=BB216_3 Depth=1
	s_mov_b32 s27, 0
	s_mov_b32 s26, 0
	s_branch .LBB216_41
.LBB216_40:                             ;   in Loop: Header=BB216_41 Depth=2
	s_cmp_lt_i32 s26, s19
	s_cselect_b32 s28, -1, 0
	s_add_co_i32 s29, s27, 1
	s_cmp_lt_u32 s27, 2
	s_cselect_b32 s27, -1, 0
	s_delay_alu instid0(SALU_CYCLE_1) | instskip(NEXT) | instid1(SALU_CYCLE_1)
	s_and_b32 s27, s28, s27
	s_and_not1_b32 vcc_lo, exec_lo, s27
	s_mov_b32 s27, s29
	s_cbranch_vccnz .LBB216_59
.LBB216_41:                             ;   Parent Loop BB216_3 Depth=1
                                        ; =>  This Loop Header: Depth=2
                                        ;       Child Loop BB216_44 Depth 3
                                        ;         Child Loop BB216_45 Depth 4
                                        ;         Child Loop BB216_48 Depth 4
                                        ;           Child Loop BB216_49 Depth 5
                                        ;         Child Loop BB216_53 Depth 4
                                        ;           Child Loop BB216_55 Depth 5
	s_load_b32 s28, s[12:13], s27 offset:0x0 scale_offset
	s_wait_kmcnt 0x0
	s_add_co_i32 s29, s28, -1
	s_delay_alu instid0(SALU_CYCLE_1) | instskip(NEXT) | instid1(SALU_CYCLE_1)
	s_add_co_i32 s30, s29, s26
	s_cmp_ge_i32 s30, s19
	s_cbranch_scc1 .LBB216_40
; %bb.42:                               ;   in Loop: Header=BB216_41 Depth=2
	v_lshl_add_u32 v4, s26, 8, v9
	s_max_i32 s30, s28, 1
	s_lshl_b32 s31, s28, 8
	s_lshl_b32 s33, s26, 4
	;; [unrolled: 1-line block ×3, first 2 shown]
	s_mul_i32 s35, s26, 0x110
	s_mul_i32 s36, s28, 0x110
	s_branch .LBB216_44
.LBB216_43:                             ;   in Loop: Header=BB216_44 Depth=3
	s_add_co_i32 s26, s26, s28
	v_add_nc_u32_e32 v4, s31, v4
	s_add_co_i32 s37, s29, s26
	s_add_co_i32 s33, s33, s34
	;; [unrolled: 1-line block ×3, first 2 shown]
	s_cmp_ge_i32 s37, s19
	s_cbranch_scc1 .LBB216_40
.LBB216_44:                             ;   Parent Loop BB216_3 Depth=1
                                        ;     Parent Loop BB216_41 Depth=2
                                        ; =>    This Loop Header: Depth=3
                                        ;         Child Loop BB216_45 Depth 4
                                        ;         Child Loop BB216_48 Depth 4
                                        ;           Child Loop BB216_49 Depth 5
                                        ;         Child Loop BB216_53 Depth 4
                                        ;           Child Loop BB216_55 Depth 5
	v_mov_b32_e32 v0, v4
	s_mov_b32 s37, 0
	s_mov_b32 s38, s30
.LBB216_45:                             ;   Parent Loop BB216_3 Depth=1
                                        ;     Parent Loop BB216_41 Depth=2
                                        ;       Parent Loop BB216_44 Depth=3
                                        ; =>      This Inner Loop Header: Depth=4
	ds_load_b128 v[18:21], v0
	v_add_nc_u32_e32 v0, 0x100, v0
	s_add_co_i32 s38, s38, -1
	s_wait_dscnt 0x0
	scratch_store_b128 off, v[18:21], s37
	s_wait_xcnt 0x0
	s_add_co_i32 s37, s37, 16
	s_cmp_eq_u32 s38, 0
	s_cbranch_scc0 .LBB216_45
; %bb.46:                               ;   in Loop: Header=BB216_44 Depth=3
	s_cmp_lt_i32 s26, 1
	s_cbranch_scc1 .LBB216_51
; %bb.47:                               ;   in Loop: Header=BB216_44 Depth=3
	s_mov_b32 s37, 0
	s_mov_b32 s38, s33
.LBB216_48:                             ;   Parent Loop BB216_3 Depth=1
                                        ;     Parent Loop BB216_41 Depth=2
                                        ;       Parent Loop BB216_44 Depth=3
                                        ; =>      This Loop Header: Depth=4
                                        ;           Child Loop BB216_49 Depth 5
	v_lshl_add_u32 v0, s37, 8, v9
	s_mov_b32 s39, s18
	s_mov_b32 s40, s38
	;; [unrolled: 1-line block ×3, first 2 shown]
	ds_load_b128 v[0:3], v0
.LBB216_49:                             ;   Parent Loop BB216_3 Depth=1
                                        ;     Parent Loop BB216_41 Depth=2
                                        ;       Parent Loop BB216_44 Depth=3
                                        ;         Parent Loop BB216_48 Depth=4
                                        ; =>        This Inner Loop Header: Depth=5
	scratch_load_b128 v[18:21], off, s39 offset:-8
	v_mov_b32_e32 v5, s40
	s_add_co_i32 s41, s41, -1
	s_add_co_i32 s40, s40, 16
	ds_load_b128 v[22:25], v5
	s_wait_dscnt 0x0
	v_mul_f64_e32 v[6:7], v[2:3], v[24:25]
	v_mul_f64_e32 v[24:25], v[0:1], v[24:25]
	s_delay_alu instid0(VALU_DEP_2) | instskip(NEXT) | instid1(VALU_DEP_2)
	v_fma_f64 v[6:7], v[0:1], v[22:23], -v[6:7]
	v_fmac_f64_e32 v[24:25], v[2:3], v[22:23]
	s_wait_loadcnt 0x0
	s_delay_alu instid0(VALU_DEP_2) | instskip(NEXT) | instid1(VALU_DEP_2)
	v_add_f64_e64 v[18:19], v[18:19], -v[6:7]
	v_add_f64_e64 v[20:21], v[20:21], -v[24:25]
	scratch_store_b128 off, v[18:21], s39 offset:-8
	s_wait_xcnt 0x0
	s_add_co_i32 s39, s39, 16
	s_cmp_eq_u32 s41, 0
	s_cbranch_scc0 .LBB216_49
; %bb.50:                               ;   in Loop: Header=BB216_48 Depth=4
	s_add_co_i32 s37, s37, 1
	s_addk_co_i32 s38, 0x100
	s_cmp_eq_u32 s37, s26
	s_cbranch_scc0 .LBB216_48
.LBB216_51:                             ;   in Loop: Header=BB216_44 Depth=3
	s_mov_b32 s37, 0
	s_mov_b32 s38, s35
	s_branch .LBB216_53
.LBB216_52:                             ;   in Loop: Header=BB216_53 Depth=4
	s_add_co_i32 s39, s37, s26
	s_add_co_i32 s38, s38, 16
	s_wait_xcnt 0x0
	s_mul_i32 s40, s39, 0x110
	s_delay_alu instid0(SALU_CYCLE_1) | instskip(SKIP_2) | instid1(SALU_CYCLE_1)
	v_mov_b32_e32 v5, s40
	s_lshl_b32 s40, s37, 4
	s_add_co_i32 s37, s37, 1
	s_cmp_eq_u32 s37, s30
	ds_load_b128 v[18:21], v5
	s_wait_loadcnt_dscnt 0x0
	v_mul_f64_e32 v[6:7], v[20:21], v[2:3]
	v_mul_f64_e32 v[24:25], v[18:19], v[2:3]
	s_delay_alu instid0(VALU_DEP_2) | instskip(NEXT) | instid1(VALU_DEP_2)
	v_fma_f64 v[22:23], v[18:19], v[0:1], -v[6:7]
	v_fmac_f64_e32 v[24:25], v[20:21], v[0:1]
	v_lshl_add_u32 v0, s39, 8, v9
	scratch_store_b128 off, v[22:25], s40
	ds_store_b128 v0, v[22:25]
	s_cbranch_scc1 .LBB216_43
.LBB216_53:                             ;   Parent Loop BB216_3 Depth=1
                                        ;     Parent Loop BB216_41 Depth=2
                                        ;       Parent Loop BB216_44 Depth=3
                                        ; =>      This Loop Header: Depth=4
                                        ;           Child Loop BB216_55 Depth 5
	s_cmp_lg_u32 s37, 0
	s_cbranch_scc0 .LBB216_57
; %bb.54:                               ;   in Loop: Header=BB216_53 Depth=4
	s_lshl_b32 s39, s37, 4
	s_wait_xcnt 0x0
	s_mov_b32 s40, s18
	scratch_load_b128 v[0:3], off, s39
	s_mov_b32 s41, s38
	s_mov_b32 s42, s37
.LBB216_55:                             ;   Parent Loop BB216_3 Depth=1
                                        ;     Parent Loop BB216_41 Depth=2
                                        ;       Parent Loop BB216_44 Depth=3
                                        ;         Parent Loop BB216_53 Depth=4
                                        ; =>        This Inner Loop Header: Depth=5
	scratch_load_b128 v[18:21], off, s40 offset:-8
	v_mov_b32_e32 v5, s41
	s_add_co_i32 s42, s42, -1
	s_addk_co_i32 s41, 0x100
	s_wait_xcnt 0x0
	s_add_co_i32 s40, s40, 16
	s_cmp_eq_u32 s42, 0
	ds_load_b128 v[22:25], v5
	s_wait_loadcnt_dscnt 0x0
	v_mul_f64_e32 v[6:7], v[24:25], v[20:21]
	v_mul_f64_e32 v[20:21], v[22:23], v[20:21]
	s_delay_alu instid0(VALU_DEP_2) | instskip(NEXT) | instid1(VALU_DEP_2)
	v_fma_f64 v[6:7], v[22:23], v[18:19], -v[6:7]
	v_fmac_f64_e32 v[20:21], v[24:25], v[18:19]
	s_delay_alu instid0(VALU_DEP_2) | instskip(NEXT) | instid1(VALU_DEP_2)
	v_add_f64_e64 v[0:1], v[0:1], -v[6:7]
	v_add_f64_e64 v[2:3], v[2:3], -v[20:21]
	scratch_store_b128 off, v[0:3], s39
	s_cbranch_scc0 .LBB216_55
; %bb.56:                               ;   in Loop: Header=BB216_53 Depth=4
	s_wait_xcnt 0x0
	s_branch .LBB216_52
.LBB216_57:                             ;   in Loop: Header=BB216_53 Depth=4
                                        ; implicit-def: $vgpr0_vgpr1
	s_cbranch_execz .LBB216_52
; %bb.58:                               ;   in Loop: Header=BB216_53 Depth=4
	scratch_load_b128 v[0:3], off, off
	s_branch .LBB216_52
.LBB216_59:                             ;   in Loop: Header=BB216_3 Depth=1
	; wave barrier
	s_wait_storecnt_dscnt 0x0
	s_wait_xcnt 0x0
	s_and_saveexec_b32 s26, s1
	s_cbranch_execz .LBB216_2
; %bb.60:                               ;   in Loop: Header=BB216_3 Depth=1
	v_add_nc_u64_e32 v[0:1], s[16:17], v[10:11]
	v_mov_b32_e32 v2, v9
	s_mov_b32 s16, s19
.LBB216_61:                             ;   Parent Loop BB216_3 Depth=1
                                        ; =>  This Inner Loop Header: Depth=2
	ds_load_2addr_b64 v[4:7], v2 offset1:1
	v_add_nc_u32_e32 v2, 0x100, v2
	s_add_co_i32 s16, s16, -1
	s_delay_alu instid0(SALU_CYCLE_1)
	s_cmp_lg_u32 s16, 0
	s_wait_dscnt 0x0
	global_store_b128 v[0:1], v[4:7], off
	s_wait_xcnt 0x0
	v_add_nc_u64_e32 v[0:1], 16, v[0:1]
	s_cbranch_scc1 .LBB216_61
	s_branch .LBB216_2
.LBB216_62:
	s_endpgm
	.section	.rodata,"a",@progbits
	.p2align	6, 0x0
	.amdhsa_kernel _ZL38rocblas_trsm_small_left_device_sharedBILi16ELi16ELb1E19rocblas_complex_numIdES1_PKS1_PS1_Ev13rocblas_fill_18rocblas_operation_17rocblas_diagonal_iiT3_T4_lilT5_lili
		.amdhsa_group_segment_fixed_size 8192
		.amdhsa_private_segment_fixed_size 272
		.amdhsa_kernarg_size 368
		.amdhsa_user_sgpr_count 2
		.amdhsa_user_sgpr_dispatch_ptr 0
		.amdhsa_user_sgpr_queue_ptr 0
		.amdhsa_user_sgpr_kernarg_segment_ptr 1
		.amdhsa_user_sgpr_dispatch_id 0
		.amdhsa_user_sgpr_kernarg_preload_length 0
		.amdhsa_user_sgpr_kernarg_preload_offset 0
		.amdhsa_user_sgpr_private_segment_size 0
		.amdhsa_wavefront_size32 1
		.amdhsa_uses_dynamic_stack 0
		.amdhsa_enable_private_segment 1
		.amdhsa_system_sgpr_workgroup_id_x 1
		.amdhsa_system_sgpr_workgroup_id_y 0
		.amdhsa_system_sgpr_workgroup_id_z 1
		.amdhsa_system_sgpr_workgroup_info 0
		.amdhsa_system_vgpr_workitem_id 0
		.amdhsa_next_free_vgpr 81
		.amdhsa_next_free_sgpr 45
		.amdhsa_named_barrier_count 0
		.amdhsa_reserve_vcc 1
		.amdhsa_float_round_mode_32 0
		.amdhsa_float_round_mode_16_64 0
		.amdhsa_float_denorm_mode_32 3
		.amdhsa_float_denorm_mode_16_64 3
		.amdhsa_fp16_overflow 0
		.amdhsa_memory_ordered 1
		.amdhsa_forward_progress 1
		.amdhsa_inst_pref_size 21
		.amdhsa_round_robin_scheduling 0
		.amdhsa_exception_fp_ieee_invalid_op 0
		.amdhsa_exception_fp_denorm_src 0
		.amdhsa_exception_fp_ieee_div_zero 0
		.amdhsa_exception_fp_ieee_overflow 0
		.amdhsa_exception_fp_ieee_underflow 0
		.amdhsa_exception_fp_ieee_inexact 0
		.amdhsa_exception_int_div_zero 0
	.end_amdhsa_kernel
	.section	.text._ZL38rocblas_trsm_small_left_device_sharedBILi16ELi16ELb1E19rocblas_complex_numIdES1_PKS1_PS1_Ev13rocblas_fill_18rocblas_operation_17rocblas_diagonal_iiT3_T4_lilT5_lili,"axG",@progbits,_ZL38rocblas_trsm_small_left_device_sharedBILi16ELi16ELb1E19rocblas_complex_numIdES1_PKS1_PS1_Ev13rocblas_fill_18rocblas_operation_17rocblas_diagonal_iiT3_T4_lilT5_lili,comdat
.Lfunc_end216:
	.size	_ZL38rocblas_trsm_small_left_device_sharedBILi16ELi16ELb1E19rocblas_complex_numIdES1_PKS1_PS1_Ev13rocblas_fill_18rocblas_operation_17rocblas_diagonal_iiT3_T4_lilT5_lili, .Lfunc_end216-_ZL38rocblas_trsm_small_left_device_sharedBILi16ELi16ELb1E19rocblas_complex_numIdES1_PKS1_PS1_Ev13rocblas_fill_18rocblas_operation_17rocblas_diagonal_iiT3_T4_lilT5_lili
                                        ; -- End function
	.set _ZL38rocblas_trsm_small_left_device_sharedBILi16ELi16ELb1E19rocblas_complex_numIdES1_PKS1_PS1_Ev13rocblas_fill_18rocblas_operation_17rocblas_diagonal_iiT3_T4_lilT5_lili.num_vgpr, 26
	.set _ZL38rocblas_trsm_small_left_device_sharedBILi16ELi16ELb1E19rocblas_complex_numIdES1_PKS1_PS1_Ev13rocblas_fill_18rocblas_operation_17rocblas_diagonal_iiT3_T4_lilT5_lili.num_agpr, 0
	.set _ZL38rocblas_trsm_small_left_device_sharedBILi16ELi16ELb1E19rocblas_complex_numIdES1_PKS1_PS1_Ev13rocblas_fill_18rocblas_operation_17rocblas_diagonal_iiT3_T4_lilT5_lili.numbered_sgpr, 45
	.set _ZL38rocblas_trsm_small_left_device_sharedBILi16ELi16ELb1E19rocblas_complex_numIdES1_PKS1_PS1_Ev13rocblas_fill_18rocblas_operation_17rocblas_diagonal_iiT3_T4_lilT5_lili.num_named_barrier, 0
	.set _ZL38rocblas_trsm_small_left_device_sharedBILi16ELi16ELb1E19rocblas_complex_numIdES1_PKS1_PS1_Ev13rocblas_fill_18rocblas_operation_17rocblas_diagonal_iiT3_T4_lilT5_lili.private_seg_size, 272
	.set _ZL38rocblas_trsm_small_left_device_sharedBILi16ELi16ELb1E19rocblas_complex_numIdES1_PKS1_PS1_Ev13rocblas_fill_18rocblas_operation_17rocblas_diagonal_iiT3_T4_lilT5_lili.uses_vcc, 1
	.set _ZL38rocblas_trsm_small_left_device_sharedBILi16ELi16ELb1E19rocblas_complex_numIdES1_PKS1_PS1_Ev13rocblas_fill_18rocblas_operation_17rocblas_diagonal_iiT3_T4_lilT5_lili.uses_flat_scratch, 0
	.set _ZL38rocblas_trsm_small_left_device_sharedBILi16ELi16ELb1E19rocblas_complex_numIdES1_PKS1_PS1_Ev13rocblas_fill_18rocblas_operation_17rocblas_diagonal_iiT3_T4_lilT5_lili.has_dyn_sized_stack, 0
	.set _ZL38rocblas_trsm_small_left_device_sharedBILi16ELi16ELb1E19rocblas_complex_numIdES1_PKS1_PS1_Ev13rocblas_fill_18rocblas_operation_17rocblas_diagonal_iiT3_T4_lilT5_lili.has_recursion, 0
	.set _ZL38rocblas_trsm_small_left_device_sharedBILi16ELi16ELb1E19rocblas_complex_numIdES1_PKS1_PS1_Ev13rocblas_fill_18rocblas_operation_17rocblas_diagonal_iiT3_T4_lilT5_lili.has_indirect_call, 0
	.section	.AMDGPU.csdata,"",@progbits
; Kernel info:
; codeLenInByte = 2684
; TotalNumSgprs: 47
; NumVgprs: 26
; ScratchSize: 272
; MemoryBound: 0
; FloatMode: 240
; IeeeMode: 1
; LDSByteSize: 8192 bytes/workgroup (compile time only)
; SGPRBlocks: 0
; VGPRBlocks: 5
; NumSGPRsForWavesPerEU: 47
; NumVGPRsForWavesPerEU: 81
; NamedBarCnt: 0
; Occupancy: 10
; WaveLimiterHint : 0
; COMPUTE_PGM_RSRC2:SCRATCH_EN: 1
; COMPUTE_PGM_RSRC2:USER_SGPR: 2
; COMPUTE_PGM_RSRC2:TRAP_HANDLER: 0
; COMPUTE_PGM_RSRC2:TGID_X_EN: 1
; COMPUTE_PGM_RSRC2:TGID_Y_EN: 0
; COMPUTE_PGM_RSRC2:TGID_Z_EN: 1
; COMPUTE_PGM_RSRC2:TIDIG_COMP_CNT: 0
	.section	.text._ZL30rocblas_trsm_small_left_deviceILi16ELi16ELb1E19rocblas_complex_numIdES1_PKS1_PS1_Ev13rocblas_fill_18rocblas_operation_17rocblas_diagonal_iiT3_T4_lilT5_lili,"axG",@progbits,_ZL30rocblas_trsm_small_left_deviceILi16ELi16ELb1E19rocblas_complex_numIdES1_PKS1_PS1_Ev13rocblas_fill_18rocblas_operation_17rocblas_diagonal_iiT3_T4_lilT5_lili,comdat
	.globl	_ZL30rocblas_trsm_small_left_deviceILi16ELi16ELb1E19rocblas_complex_numIdES1_PKS1_PS1_Ev13rocblas_fill_18rocblas_operation_17rocblas_diagonal_iiT3_T4_lilT5_lili ; -- Begin function _ZL30rocblas_trsm_small_left_deviceILi16ELi16ELb1E19rocblas_complex_numIdES1_PKS1_PS1_Ev13rocblas_fill_18rocblas_operation_17rocblas_diagonal_iiT3_T4_lilT5_lili
	.p2align	8
	.type	_ZL30rocblas_trsm_small_left_deviceILi16ELi16ELb1E19rocblas_complex_numIdES1_PKS1_PS1_Ev13rocblas_fill_18rocblas_operation_17rocblas_diagonal_iiT3_T4_lilT5_lili,@function
_ZL30rocblas_trsm_small_left_deviceILi16ELi16ELb1E19rocblas_complex_numIdES1_PKS1_PS1_Ev13rocblas_fill_18rocblas_operation_17rocblas_diagonal_iiT3_T4_lilT5_lili: ; @_ZL30rocblas_trsm_small_left_deviceILi16ELi16ELb1E19rocblas_complex_numIdES1_PKS1_PS1_Ev13rocblas_fill_18rocblas_operation_17rocblas_diagonal_iiT3_T4_lilT5_lili
; %bb.0:
	s_load_b32 s3, s[0:1], 0x68
	s_bfe_u32 s2, ttmp6, 0x40014
	s_lshr_b32 s5, ttmp7, 16
	s_add_co_i32 s2, s2, 1
	s_bfe_u32 s6, ttmp6, 0x40008
	s_mul_i32 s2, s5, s2
	s_getreg_b32 s4, hwreg(HW_REG_IB_STS2, 6, 4)
	s_add_co_i32 s6, s6, s2
	s_cmp_eq_u32 s4, 0
	s_mov_b32 s23, 0
	s_cselect_b32 s20, s5, s6
	s_wait_kmcnt 0x0
	s_cmp_ge_u32 s20, s3
	s_cbranch_scc1 .LBB217_59
; %bb.1:
	s_clause 0x5
	s_load_b32 s26, s[0:1], 0x38
	s_load_b96 s[8:10], s[0:1], 0x50
	s_load_b128 s[12:15], s[0:1], 0x4
	s_load_b32 s6, s[0:1], 0x70
	s_load_b64 s[24:25], s[0:1], 0x60
	s_load_b128 s[16:19], s[0:1], 0x40
	v_lshlrev_b32_e32 v1, 8, v0
	s_mov_b32 s37, 0
                                        ; implicit-def: $sgpr38
                                        ; implicit-def: $sgpr39
	v_dual_mov_b32 v9, 0 :: v_dual_lshlrev_b32 v8, 4, v0
	s_wait_kmcnt 0x0
	s_ashr_i32 s27, s26, 31
	s_ashr_i32 s5, s10, 31
	s_cmp_eq_u32 s12, 0x71
	s_cselect_b32 s2, -1, 0
	s_bfe_u32 s7, ttmp6, 0x4000c
	s_min_i32 s30, s14, 16
	s_add_co_i32 s7, s7, 1
	s_add_co_i32 s14, s6, -1
	s_and_b32 s6, ttmp6, 15
	s_mul_i32 s7, ttmp9, s7
	s_lshl_b64 s[28:29], s[8:9], 4
	s_add_co_i32 s31, s30, -1
	s_add_co_i32 s6, s6, s7
	s_cmp_eq_u32 s4, 0
	s_mov_b32 s4, s10
	s_cselect_b32 s21, ttmp9, s6
	s_delay_alu instid0(SALU_CYCLE_1) | instskip(NEXT) | instid1(SALU_CYCLE_1)
	s_lshl_b32 s22, s21, 4
	v_or_b32_e32 v2, s22, v0
	s_delay_alu instid0(VALU_DEP_1) | instskip(NEXT) | instid1(VALU_DEP_1)
	v_ashrrev_i32_e32 v3, 31, v2
	v_mul_u64_e32 v[2:3], s[4:5], v[2:3]
	s_load_b256 s[4:11], s[0:1], 0x18
	s_wait_xcnt 0x0
	s_sub_co_i32 s0, s15, s22
	s_cmp_ge_u32 s21, s14
	s_cselect_b32 s14, s0, 16
	s_cmp_lg_u32 s13, 0x84
	s_cselect_b32 s33, -1, 0
	s_cmp_lg_u32 s12, 0x6f
	s_get_pc_i64 s[12:13]
	s_add_nc_u64 s[12:13], s[12:13], __const._ZL30rocblas_trsm_small_left_deviceILi16ELi16ELb1E19rocblas_complex_numIdES1_PKS1_PS1_Ev13rocblas_fill_18rocblas_operation_17rocblas_diagonal_iiT3_T4_lilT5_lili.step_sizes@rel64+4
	s_cselect_b32 s34, -1, 0
	s_lshl_b32 s36, s30, 4
	s_or_b32 s35, 0, 8
	s_add_co_i32 s36, s36, -16
	s_wait_kmcnt 0x0
	s_lshl_b64 s[0:1], s[10:11], 4
	s_lshl_b64 s[10:11], s[26:27], 4
	s_add_nc_u64 s[0:1], s[8:9], s[0:1]
	s_add_nc_u64 s[8:9], s[18:19], s[28:29]
	v_add_nc_u64_e32 v[4:5], s[0:1], v[8:9]
	v_cmp_gt_i32_e64 s0, s30, v0
	v_cmp_gt_i32_e64 s1, s14, v0
	v_add_nc_u32_e32 v9, v8, v1
	s_lshl_b64 s[14:15], s[24:25], 4
	v_lshl_add_u64 v[10:11], v[2:3], 4, s[8:9]
	v_add_nc_u64_e32 v[12:13], 8, v[4:5]
	s_lshl_b64 s[8:9], s[16:17], 4
	s_delay_alu instid0(VALU_DEP_2)
	v_add_nc_u64_e32 v[14:15], 8, v[10:11]
	s_branch .LBB217_4
.LBB217_2:                              ;   in Loop: Header=BB217_4 Depth=1
	s_add_co_i32 s20, s20, 0x10000
	s_delay_alu instid0(SALU_CYCLE_1)
	s_cmp_ge_u32 s20, s3
	s_cselect_b32 s16, -1, 0
	s_and_not1_b32 s39, s39, exec_lo
	s_or_not1_b32 s16, s16, exec_lo
.LBB217_3:                              ;   in Loop: Header=BB217_4 Depth=1
	s_wait_xcnt 0x0
	s_or_b32 exec_lo, exec_lo, s40
	s_delay_alu instid0(SALU_CYCLE_1) | instskip(NEXT) | instid1(SALU_CYCLE_1)
	s_and_b32 s16, exec_lo, s16
	s_or_b32 s37, s16, s37
	s_and_not1_b32 s16, s38, exec_lo
	s_and_b32 s17, s39, exec_lo
	s_delay_alu instid0(SALU_CYCLE_1)
	s_or_b32 s38, s16, s17
	s_and_not1_b32 exec_lo, exec_lo, s37
	s_cbranch_execz .LBB217_58
.LBB217_4:                              ; =>This Loop Header: Depth=1
                                        ;     Child Loop BB217_6 Depth 2
                                        ;     Child Loop BB217_19 Depth 2
                                        ;       Child Loop BB217_22 Depth 3
                                        ;         Child Loop BB217_23 Depth 4
                                        ;         Child Loop BB217_25 Depth 4
                                        ;           Child Loop BB217_26 Depth 5
                                        ;         Child Loop BB217_30 Depth 4
                                        ;           Child Loop BB217_32 Depth 5
                                        ;     Child Loop BB217_40 Depth 2
                                        ;       Child Loop BB217_43 Depth 3
                                        ;         Child Loop BB217_44 Depth 4
                                        ;         Child Loop BB217_47 Depth 4
                                        ;           Child Loop BB217_48 Depth 5
                                        ;         Child Loop BB217_52 Depth 4
                                        ;           Child Loop BB217_54 Depth 5
	s_mov_b32 s21, s23
	s_and_saveexec_b32 s16, s0
	s_cbranch_execz .LBB217_15
; %bb.5:                                ;   in Loop: Header=BB217_4 Depth=1
	v_mad_nc_u64_u32 v[0:1], s8, s20, v[12:13]
	v_mov_b32_e32 v2, v8
	s_mov_b32 s17, s30
	s_delay_alu instid0(VALU_DEP_2)
	v_mad_u32 v1, s9, s20, v1
.LBB217_6:                              ;   Parent Loop BB217_4 Depth=1
                                        ; =>  This Inner Loop Header: Depth=2
	global_load_b128 v[4:7], v[0:1], off offset:-8
	s_wait_xcnt 0x0
	v_add_nc_u64_e32 v[0:1], s[10:11], v[0:1]
	s_add_co_i32 s17, s17, -1
	s_delay_alu instid0(SALU_CYCLE_1) | instskip(SKIP_2) | instid1(VALU_DEP_1)
	s_cmp_eq_u32 s17, 0
	s_wait_loadcnt 0x0
	v_xor_b32_e32 v3, 0x80000000, v7
	v_cndmask_b32_e64 v7, v7, v3, s2
	ds_store_b128 v2, v[4:7]
	v_add_nc_u32_e32 v2, 0x100, v2
	s_cbranch_scc0 .LBB217_6
; %bb.7:                                ;   in Loop: Header=BB217_4 Depth=1
	s_and_b32 vcc_lo, exec_lo, s33
	s_cbranch_vccz .LBB217_13
; %bb.8:                                ;   in Loop: Header=BB217_4 Depth=1
	ds_load_b128 v[0:3], v9
                                        ; implicit-def: $vgpr6_vgpr7
	s_wait_dscnt 0x0
	v_cmp_ngt_f64_e64 s17, |v[0:1]|, |v[2:3]|
	s_and_saveexec_b32 s18, s17
	s_delay_alu instid0(SALU_CYCLE_1)
	s_xor_b32 s17, exec_lo, s18
	s_cbranch_execz .LBB217_10
; %bb.9:                                ;   in Loop: Header=BB217_4 Depth=1
	v_div_scale_f64 v[4:5], null, v[2:3], v[2:3], v[0:1]
	v_div_scale_f64 v[18:19], vcc_lo, v[0:1], v[2:3], v[0:1]
	s_delay_alu instid0(VALU_DEP_2) | instskip(SKIP_1) | instid1(TRANS32_DEP_1)
	v_rcp_f64_e32 v[6:7], v[4:5]
	v_nop
	v_fma_f64 v[16:17], -v[4:5], v[6:7], 1.0
	s_delay_alu instid0(VALU_DEP_1) | instskip(NEXT) | instid1(VALU_DEP_1)
	v_fmac_f64_e32 v[6:7], v[6:7], v[16:17]
	v_fma_f64 v[16:17], -v[4:5], v[6:7], 1.0
	s_delay_alu instid0(VALU_DEP_1) | instskip(NEXT) | instid1(VALU_DEP_1)
	v_fmac_f64_e32 v[6:7], v[6:7], v[16:17]
	v_mul_f64_e32 v[16:17], v[18:19], v[6:7]
	s_delay_alu instid0(VALU_DEP_1) | instskip(NEXT) | instid1(VALU_DEP_1)
	v_fma_f64 v[4:5], -v[4:5], v[16:17], v[18:19]
	v_div_fmas_f64 v[4:5], v[4:5], v[6:7], v[16:17]
	s_delay_alu instid0(VALU_DEP_1) | instskip(NEXT) | instid1(VALU_DEP_1)
	v_div_fixup_f64 v[4:5], v[4:5], v[2:3], v[0:1]
	v_fmac_f64_e32 v[2:3], v[0:1], v[4:5]
	s_delay_alu instid0(VALU_DEP_1) | instskip(SKIP_1) | instid1(VALU_DEP_2)
	v_div_scale_f64 v[0:1], null, v[2:3], v[2:3], 1.0
	v_div_scale_f64 v[18:19], vcc_lo, 1.0, v[2:3], 1.0
	v_rcp_f64_e32 v[6:7], v[0:1]
	v_nop
	s_delay_alu instid0(TRANS32_DEP_1) | instskip(NEXT) | instid1(VALU_DEP_1)
	v_fma_f64 v[16:17], -v[0:1], v[6:7], 1.0
	v_fmac_f64_e32 v[6:7], v[6:7], v[16:17]
	s_delay_alu instid0(VALU_DEP_1) | instskip(NEXT) | instid1(VALU_DEP_1)
	v_fma_f64 v[16:17], -v[0:1], v[6:7], 1.0
	v_fmac_f64_e32 v[6:7], v[6:7], v[16:17]
	s_delay_alu instid0(VALU_DEP_1) | instskip(NEXT) | instid1(VALU_DEP_1)
	v_mul_f64_e32 v[16:17], v[18:19], v[6:7]
	v_fma_f64 v[0:1], -v[0:1], v[16:17], v[18:19]
	s_delay_alu instid0(VALU_DEP_1) | instskip(SKIP_1) | instid1(VALU_DEP_2)
	v_div_fmas_f64 v[0:1], v[0:1], v[6:7], v[16:17]
	v_add_f64_e32 v[6:7], 0, v[4:5]
	v_div_fixup_f64 v[0:1], v[0:1], v[2:3], 1.0
	v_fma_f64 v[2:3], v[4:5], 0, -1.0
	s_delay_alu instid0(VALU_DEP_2) | instskip(NEXT) | instid1(VALU_DEP_2)
	v_mul_f64_e32 v[4:5], v[6:7], v[0:1]
	v_mul_f64_e32 v[6:7], v[2:3], v[0:1]
                                        ; implicit-def: $vgpr0_vgpr1
.LBB217_10:                             ;   in Loop: Header=BB217_4 Depth=1
	s_and_not1_saveexec_b32 s17, s17
	s_cbranch_execz .LBB217_12
; %bb.11:                               ;   in Loop: Header=BB217_4 Depth=1
	v_div_scale_f64 v[4:5], null, v[0:1], v[0:1], v[2:3]
	v_div_scale_f64 v[18:19], vcc_lo, v[2:3], v[0:1], v[2:3]
	s_delay_alu instid0(VALU_DEP_2) | instskip(SKIP_1) | instid1(TRANS32_DEP_1)
	v_rcp_f64_e32 v[6:7], v[4:5]
	v_nop
	v_fma_f64 v[16:17], -v[4:5], v[6:7], 1.0
	s_delay_alu instid0(VALU_DEP_1) | instskip(NEXT) | instid1(VALU_DEP_1)
	v_fmac_f64_e32 v[6:7], v[6:7], v[16:17]
	v_fma_f64 v[16:17], -v[4:5], v[6:7], 1.0
	s_delay_alu instid0(VALU_DEP_1) | instskip(NEXT) | instid1(VALU_DEP_1)
	v_fmac_f64_e32 v[6:7], v[6:7], v[16:17]
	v_mul_f64_e32 v[16:17], v[18:19], v[6:7]
	s_delay_alu instid0(VALU_DEP_1) | instskip(NEXT) | instid1(VALU_DEP_1)
	v_fma_f64 v[4:5], -v[4:5], v[16:17], v[18:19]
	v_div_fmas_f64 v[4:5], v[4:5], v[6:7], v[16:17]
	s_delay_alu instid0(VALU_DEP_1) | instskip(NEXT) | instid1(VALU_DEP_1)
	v_div_fixup_f64 v[4:5], v[4:5], v[0:1], v[2:3]
	v_fmac_f64_e32 v[0:1], v[2:3], v[4:5]
	s_delay_alu instid0(VALU_DEP_1) | instskip(SKIP_1) | instid1(VALU_DEP_2)
	v_div_scale_f64 v[2:3], null, v[0:1], v[0:1], 1.0
	v_div_scale_f64 v[18:19], vcc_lo, 1.0, v[0:1], 1.0
	v_rcp_f64_e32 v[6:7], v[2:3]
	v_nop
	s_delay_alu instid0(TRANS32_DEP_1) | instskip(NEXT) | instid1(VALU_DEP_1)
	v_fma_f64 v[16:17], -v[2:3], v[6:7], 1.0
	v_fmac_f64_e32 v[6:7], v[6:7], v[16:17]
	s_delay_alu instid0(VALU_DEP_1) | instskip(NEXT) | instid1(VALU_DEP_1)
	v_fma_f64 v[16:17], -v[2:3], v[6:7], 1.0
	v_fmac_f64_e32 v[6:7], v[6:7], v[16:17]
	s_delay_alu instid0(VALU_DEP_1) | instskip(NEXT) | instid1(VALU_DEP_1)
	v_mul_f64_e32 v[16:17], v[18:19], v[6:7]
	v_fma_f64 v[2:3], -v[2:3], v[16:17], v[18:19]
	s_delay_alu instid0(VALU_DEP_1) | instskip(SKIP_1) | instid1(VALU_DEP_2)
	v_div_fmas_f64 v[2:3], v[2:3], v[6:7], v[16:17]
	v_fma_f64 v[6:7], v[4:5], 0, 1.0
	v_div_fixup_f64 v[0:1], v[2:3], v[0:1], 1.0
	v_add_f64_e64 v[2:3], -v[4:5], 0
	s_delay_alu instid0(VALU_DEP_2) | instskip(NEXT) | instid1(VALU_DEP_2)
	v_mul_f64_e32 v[4:5], v[6:7], v[0:1]
	v_mul_f64_e32 v[6:7], v[2:3], v[0:1]
.LBB217_12:                             ;   in Loop: Header=BB217_4 Depth=1
	s_or_b32 exec_lo, exec_lo, s17
	s_branch .LBB217_14
.LBB217_13:                             ;   in Loop: Header=BB217_4 Depth=1
	v_mov_b64_e32 v[6:7], 0
	v_mov_b64_e32 v[4:5], 1.0
.LBB217_14:                             ;   in Loop: Header=BB217_4 Depth=1
	ds_store_b128 v9, v[4:7]
.LBB217_15:                             ;   in Loop: Header=BB217_4 Depth=1
	s_or_b32 exec_lo, exec_lo, s16
	s_mov_b32 s16, -1
	s_or_b32 s39, s39, exec_lo
	s_wait_dscnt 0x0
	; wave barrier
	s_and_saveexec_b32 s40, s1
	s_cbranch_execz .LBB217_3
; %bb.16:                               ;   in Loop: Header=BB217_4 Depth=1
	s_mul_u64 s[16:17], s[24:25], s[20:21]
	s_and_not1_b32 vcc_lo, exec_lo, s34
	v_lshl_add_u64 v[4:5], s[16:17], 4, v[10:11]
	s_mul_u64 s[16:17], s[14:15], s[20:21]
	s_mov_b32 s18, -1
	s_cbranch_vccnz .LBB217_37
; %bb.17:                               ;   in Loop: Header=BB217_4 Depth=1
	v_add_nc_u64_e32 v[6:7], s[16:17], v[14:15]
	s_mov_b32 s21, 0
	s_mov_b32 s18, s31
	s_branch .LBB217_19
.LBB217_18:                             ;   in Loop: Header=BB217_19 Depth=2
	s_cmp_gt_i32 s18, -1
	s_cselect_b32 s19, -1, 0
	s_add_co_i32 s22, s21, 1
	s_cmp_lt_u32 s21, 2
	s_wait_xcnt 0x0
	s_cselect_b32 s21, -1, 0
	s_delay_alu instid0(SALU_CYCLE_1)
	s_and_b32 s19, s19, s21
	s_mov_b32 s21, s22
	s_and_b32 vcc_lo, exec_lo, s19
	s_cbranch_vccz .LBB217_36
.LBB217_19:                             ;   Parent Loop BB217_4 Depth=1
                                        ; =>  This Loop Header: Depth=2
                                        ;       Child Loop BB217_22 Depth 3
                                        ;         Child Loop BB217_23 Depth 4
                                        ;         Child Loop BB217_25 Depth 4
                                        ;           Child Loop BB217_26 Depth 5
                                        ;         Child Loop BB217_30 Depth 4
                                        ;           Child Loop BB217_32 Depth 5
	s_load_b32 s22, s[12:13], s21 offset:0x0 scale_offset
	s_wait_kmcnt 0x0
	s_add_co_i32 s41, s22, -1
	s_delay_alu instid0(SALU_CYCLE_1)
	s_cmp_lt_i32 s18, s41
	s_cbranch_scc1 .LBB217_18
; %bb.20:                               ;   in Loop: Header=BB217_19 Depth=2
	s_lshl_b32 s19, s18, 8
	s_lshl_b32 s26, s22, 8
	s_max_i32 s42, s22, 1
	s_add_co_i32 s43, s36, s19
	s_sub_co_i32 s44, 0, s26
	s_mul_i32 s45, s18, 0x110
	s_mul_i32 s46, s22, 0xfffffef0
	s_branch .LBB217_22
.LBB217_21:                             ;   in Loop: Header=BB217_22 Depth=3
	s_sub_co_i32 s18, s18, s22
	s_add_co_i32 s43, s43, s44
	s_add_co_i32 s45, s45, s46
	s_cmp_lt_i32 s18, s41
	s_cbranch_scc1 .LBB217_18
.LBB217_22:                             ;   Parent Loop BB217_4 Depth=1
                                        ;     Parent Loop BB217_19 Depth=2
                                        ; =>    This Loop Header: Depth=3
                                        ;         Child Loop BB217_23 Depth 4
                                        ;         Child Loop BB217_25 Depth 4
                                        ;           Child Loop BB217_26 Depth 5
                                        ;         Child Loop BB217_30 Depth 4
                                        ;           Child Loop BB217_32 Depth 5
	s_ashr_i32 s19, s18, 31
	s_mov_b32 s26, 8
	s_wait_xcnt 0x0
	v_lshl_add_u64 v[0:1], s[18:19], 4, v[6:7]
	s_mov_b32 s27, s42
.LBB217_23:                             ;   Parent Loop BB217_4 Depth=1
                                        ;     Parent Loop BB217_19 Depth=2
                                        ;       Parent Loop BB217_22 Depth=3
                                        ; =>      This Inner Loop Header: Depth=4
	global_load_b128 v[16:19], v[0:1], off offset:-8
	s_wait_xcnt 0x0
	v_add_nc_u64_e32 v[0:1], -16, v[0:1]
	s_add_co_i32 s27, s27, -1
	s_mov_b32 s28, s26
	s_add_co_i32 s26, s26, 16
	s_cmp_eq_u32 s27, 0
	s_wait_loadcnt 0x0
	v_mul_f64_e32 v[2:3], s[6:7], v[18:19]
	v_mul_f64_e32 v[20:21], s[4:5], v[18:19]
	s_delay_alu instid0(VALU_DEP_2) | instskip(NEXT) | instid1(VALU_DEP_2)
	v_fma_f64 v[18:19], s[4:5], v[16:17], -v[2:3]
	v_fmac_f64_e32 v[20:21], s[6:7], v[16:17]
	scratch_store_b128 off, v[18:21], s28 offset:-8
	s_cbranch_scc0 .LBB217_23
; %bb.24:                               ;   in Loop: Header=BB217_22 Depth=3
	s_cmp_le_i32 s31, s18
	s_wait_xcnt 0x0
	s_mov_b32 s28, s43
	s_mov_b32 s26, s31
	s_cbranch_scc1 .LBB217_28
.LBB217_25:                             ;   Parent Loop BB217_4 Depth=1
                                        ;     Parent Loop BB217_19 Depth=2
                                        ;       Parent Loop BB217_22 Depth=3
                                        ; =>      This Loop Header: Depth=4
                                        ;           Child Loop BB217_26 Depth 5
	s_ashr_i32 s27, s26, 31
	s_mov_b32 s29, s28
	v_lshl_add_u64 v[0:1], s[26:27], 4, v[4:5]
	s_mov_b32 s27, s35
	s_mov_b32 s47, s42
	global_load_b128 v[0:3], v[0:1], off
.LBB217_26:                             ;   Parent Loop BB217_4 Depth=1
                                        ;     Parent Loop BB217_19 Depth=2
                                        ;       Parent Loop BB217_22 Depth=3
                                        ;         Parent Loop BB217_25 Depth=4
                                        ; =>        This Inner Loop Header: Depth=5
	scratch_load_b128 v[16:19], off, s27 offset:-8
	v_mov_b32_e32 v20, s29
	s_add_co_i32 s47, s47, -1
	s_addk_co_i32 s29, 0xff00
	ds_load_b128 v[20:23], v20
	s_wait_loadcnt_dscnt 0x100
	v_mul_f64_e32 v[24:25], v[2:3], v[22:23]
	v_mul_f64_e32 v[22:23], v[0:1], v[22:23]
	s_delay_alu instid0(VALU_DEP_2) | instskip(NEXT) | instid1(VALU_DEP_2)
	v_fma_f64 v[24:25], v[0:1], v[20:21], -v[24:25]
	v_fmac_f64_e32 v[22:23], v[2:3], v[20:21]
	s_wait_loadcnt 0x0
	s_delay_alu instid0(VALU_DEP_2) | instskip(NEXT) | instid1(VALU_DEP_2)
	v_add_f64_e64 v[16:17], v[16:17], -v[24:25]
	v_add_f64_e64 v[18:19], v[18:19], -v[22:23]
	scratch_store_b128 off, v[16:19], s27 offset:-8
	s_wait_xcnt 0x0
	s_add_co_i32 s27, s27, 16
	s_cmp_eq_u32 s47, 0
	s_cbranch_scc0 .LBB217_26
; %bb.27:                               ;   in Loop: Header=BB217_25 Depth=4
	s_add_co_i32 s26, s26, -1
	s_add_co_i32 s28, s28, -16
	s_cmp_le_i32 s26, s18
	s_cbranch_scc0 .LBB217_25
.LBB217_28:                             ;   in Loop: Header=BB217_22 Depth=3
	s_mov_b32 s47, 0
	s_mov_b32 s48, s45
	s_branch .LBB217_30
.LBB217_29:                             ;   in Loop: Header=BB217_30 Depth=4
	s_wait_xcnt 0x1
	s_mulk_i32 s28, 0x110
	s_addk_co_i32 s48, 0xff00
	v_mov_b32_e32 v16, s28
	s_lshl_b32 s28, s47, 4
	s_add_co_i32 s47, s47, 1
	s_delay_alu instid0(SALU_CYCLE_1)
	s_cmp_eq_u32 s47, s42
	ds_load_b128 v[16:19], v16
	s_wait_loadcnt_dscnt 0x0
	s_wait_xcnt 0x0
	v_mul_f64_e32 v[20:21], v[18:19], v[2:3]
	v_mul_f64_e32 v[22:23], v[16:17], v[2:3]
	s_delay_alu instid0(VALU_DEP_2) | instskip(NEXT) | instid1(VALU_DEP_2)
	v_fma_f64 v[20:21], v[16:17], v[0:1], -v[20:21]
	v_fmac_f64_e32 v[22:23], v[18:19], v[0:1]
	v_lshl_add_u64 v[0:1], s[26:27], 4, v[4:5]
	scratch_store_b128 off, v[20:23], s28
	global_store_b128 v[0:1], v[20:23], off
	s_cbranch_scc1 .LBB217_21
.LBB217_30:                             ;   Parent Loop BB217_4 Depth=1
                                        ;     Parent Loop BB217_19 Depth=2
                                        ;       Parent Loop BB217_22 Depth=3
                                        ; =>      This Loop Header: Depth=4
                                        ;           Child Loop BB217_32 Depth 5
	s_cmp_lg_u32 s47, 0
	s_cbranch_scc0 .LBB217_34
; %bb.31:                               ;   in Loop: Header=BB217_30 Depth=4
	s_lshl_b32 s26, s47, 4
	s_mov_b32 s27, s35
	scratch_load_b128 v[0:3], off, s26
	s_mov_b32 s28, s48
	s_mov_b32 s29, s47
.LBB217_32:                             ;   Parent Loop BB217_4 Depth=1
                                        ;     Parent Loop BB217_19 Depth=2
                                        ;       Parent Loop BB217_22 Depth=3
                                        ;         Parent Loop BB217_30 Depth=4
                                        ; =>        This Inner Loop Header: Depth=5
	scratch_load_b128 v[16:19], off, s27 offset:-8
	v_mov_b32_e32 v20, s28
	s_add_co_i32 s29, s29, -1
	s_add_co_i32 s28, s28, -16
	s_wait_xcnt 0x0
	s_add_co_i32 s27, s27, 16
	s_cmp_eq_u32 s29, 0
	ds_load_b128 v[20:23], v20
	s_wait_loadcnt_dscnt 0x0
	v_mul_f64_e32 v[24:25], v[22:23], v[18:19]
	v_mul_f64_e32 v[18:19], v[20:21], v[18:19]
	s_delay_alu instid0(VALU_DEP_2) | instskip(NEXT) | instid1(VALU_DEP_2)
	v_fma_f64 v[20:21], v[20:21], v[16:17], -v[24:25]
	v_fmac_f64_e32 v[18:19], v[22:23], v[16:17]
	s_delay_alu instid0(VALU_DEP_2) | instskip(NEXT) | instid1(VALU_DEP_2)
	v_add_f64_e64 v[0:1], v[0:1], -v[20:21]
	v_add_f64_e64 v[2:3], v[2:3], -v[18:19]
	scratch_store_b128 off, v[0:3], s26
	s_cbranch_scc0 .LBB217_32
; %bb.33:                               ;   in Loop: Header=BB217_30 Depth=4
	s_sub_co_i32 s28, s18, s47
	s_delay_alu instid0(SALU_CYCLE_1)
	s_ashr_i32 s29, s28, 31
	s_wait_xcnt 0x0
	s_mov_b64 s[26:27], s[28:29]
	s_branch .LBB217_29
.LBB217_34:                             ;   in Loop: Header=BB217_30 Depth=4
                                        ; implicit-def: $vgpr0_vgpr1
                                        ; implicit-def: $sgpr28
                                        ; implicit-def: $sgpr26_sgpr27
	s_cbranch_execz .LBB217_29
; %bb.35:                               ;   in Loop: Header=BB217_30 Depth=4
	scratch_load_b128 v[0:3], off, off
	s_mov_b64 s[26:27], s[18:19]
	s_mov_b32 s28, s18
	s_branch .LBB217_29
.LBB217_36:                             ;   in Loop: Header=BB217_4 Depth=1
	s_mov_b32 s18, 0
.LBB217_37:                             ;   in Loop: Header=BB217_4 Depth=1
	s_delay_alu instid0(SALU_CYCLE_1)
	s_and_b32 vcc_lo, exec_lo, s18
	s_cbranch_vccz .LBB217_2
; %bb.38:                               ;   in Loop: Header=BB217_4 Depth=1
	v_add_nc_u64_e32 v[6:7], s[16:17], v[14:15]
	s_mov_b32 s16, 0
	s_mov_b32 s21, 0
	s_branch .LBB217_40
.LBB217_39:                             ;   in Loop: Header=BB217_40 Depth=2
	s_cmp_lt_i32 s16, s30
	s_cselect_b32 s17, -1, 0
	s_add_co_i32 s18, s21, 1
	s_cmp_lt_u32 s21, 2
	s_wait_xcnt 0x0
	s_mov_b32 s21, s18
	s_cselect_b32 s19, -1, 0
	s_delay_alu instid0(SALU_CYCLE_1) | instskip(NEXT) | instid1(SALU_CYCLE_1)
	s_and_b32 s17, s17, s19
	s_and_not1_b32 vcc_lo, exec_lo, s17
	s_cbranch_vccnz .LBB217_2
.LBB217_40:                             ;   Parent Loop BB217_4 Depth=1
                                        ; =>  This Loop Header: Depth=2
                                        ;       Child Loop BB217_43 Depth 3
                                        ;         Child Loop BB217_44 Depth 4
                                        ;         Child Loop BB217_47 Depth 4
                                        ;           Child Loop BB217_48 Depth 5
                                        ;         Child Loop BB217_52 Depth 4
                                        ;           Child Loop BB217_54 Depth 5
	s_load_b32 s18, s[12:13], s21 offset:0x0 scale_offset
	s_wait_kmcnt 0x0
	s_add_co_i32 s28, s18, -1
	s_delay_alu instid0(SALU_CYCLE_1) | instskip(NEXT) | instid1(SALU_CYCLE_1)
	s_add_co_i32 s17, s28, s16
	s_cmp_ge_i32 s17, s30
	s_cbranch_scc1 .LBB217_39
; %bb.41:                               ;   in Loop: Header=BB217_40 Depth=2
	s_ashr_i32 s17, s16, 31
	s_ashr_i32 s19, s18, 31
	v_lshl_add_u64 v[16:17], s[16:17], 4, v[6:7]
	s_max_i32 s29, s18, 1
	s_lshl_b64 s[26:27], s[18:19], 4
	s_lshl_b32 s17, s16, 4
	s_lshl_b32 s19, s18, 4
	s_mul_i32 s41, s16, 0x110
	s_mul_i32 s42, s18, 0x110
	s_branch .LBB217_43
.LBB217_42:                             ;   in Loop: Header=BB217_43 Depth=3
	v_add_nc_u64_e32 v[16:17], s[26:27], v[16:17]
	s_add_co_i32 s16, s16, s18
	s_add_co_i32 s17, s17, s19
	;; [unrolled: 1-line block ×4, first 2 shown]
	s_cmp_ge_i32 s22, s30
	s_cbranch_scc1 .LBB217_39
.LBB217_43:                             ;   Parent Loop BB217_4 Depth=1
                                        ;     Parent Loop BB217_40 Depth=2
                                        ; =>    This Loop Header: Depth=3
                                        ;         Child Loop BB217_44 Depth 4
                                        ;         Child Loop BB217_47 Depth 4
                                        ;           Child Loop BB217_48 Depth 5
                                        ;         Child Loop BB217_52 Depth 4
                                        ;           Child Loop BB217_54 Depth 5
	s_wait_xcnt 0x0
	v_mov_b64_e32 v[0:1], v[16:17]
	s_mov_b32 s22, 8
	s_mov_b32 s43, s29
.LBB217_44:                             ;   Parent Loop BB217_4 Depth=1
                                        ;     Parent Loop BB217_40 Depth=2
                                        ;       Parent Loop BB217_43 Depth=3
                                        ; =>      This Inner Loop Header: Depth=4
	global_load_b128 v[18:21], v[0:1], off offset:-8
	s_wait_xcnt 0x0
	v_add_nc_u64_e32 v[0:1], 16, v[0:1]
	s_add_co_i32 s43, s43, -1
	s_mov_b32 s44, s22
	s_add_co_i32 s22, s22, 16
	s_cmp_eq_u32 s43, 0
	s_wait_loadcnt 0x0
	v_mul_f64_e32 v[2:3], s[6:7], v[20:21]
	v_mul_f64_e32 v[22:23], s[4:5], v[20:21]
	s_delay_alu instid0(VALU_DEP_2) | instskip(NEXT) | instid1(VALU_DEP_2)
	v_fma_f64 v[20:21], s[4:5], v[18:19], -v[2:3]
	v_fmac_f64_e32 v[22:23], s[6:7], v[18:19]
	scratch_store_b128 off, v[20:23], s44 offset:-8
	s_cbranch_scc0 .LBB217_44
; %bb.45:                               ;   in Loop: Header=BB217_43 Depth=3
	s_cmp_lt_i32 s16, 1
	s_cbranch_scc1 .LBB217_50
; %bb.46:                               ;   in Loop: Header=BB217_43 Depth=3
	s_mov_b32 s22, 0
	s_mov_b32 s43, s17
.LBB217_47:                             ;   Parent Loop BB217_4 Depth=1
                                        ;     Parent Loop BB217_40 Depth=2
                                        ;       Parent Loop BB217_43 Depth=3
                                        ; =>      This Loop Header: Depth=4
                                        ;           Child Loop BB217_48 Depth 5
	v_lshl_add_u64 v[0:1], s[22:23], 4, v[4:5]
	s_wait_xcnt 0x0
	s_mov_b32 s44, s35
	s_mov_b32 s45, s43
	;; [unrolled: 1-line block ×3, first 2 shown]
	global_load_b128 v[0:3], v[0:1], off
.LBB217_48:                             ;   Parent Loop BB217_4 Depth=1
                                        ;     Parent Loop BB217_40 Depth=2
                                        ;       Parent Loop BB217_43 Depth=3
                                        ;         Parent Loop BB217_47 Depth=4
                                        ; =>        This Inner Loop Header: Depth=5
	scratch_load_b128 v[18:21], off, s44 offset:-8
	v_mov_b32_e32 v22, s45
	s_add_co_i32 s46, s46, -1
	s_add_co_i32 s45, s45, 16
	ds_load_b128 v[22:25], v22
	s_wait_loadcnt_dscnt 0x100
	v_mul_f64_e32 v[26:27], v[2:3], v[24:25]
	v_mul_f64_e32 v[24:25], v[0:1], v[24:25]
	s_delay_alu instid0(VALU_DEP_2) | instskip(NEXT) | instid1(VALU_DEP_2)
	v_fma_f64 v[26:27], v[0:1], v[22:23], -v[26:27]
	v_fmac_f64_e32 v[24:25], v[2:3], v[22:23]
	s_wait_loadcnt 0x0
	s_delay_alu instid0(VALU_DEP_2) | instskip(NEXT) | instid1(VALU_DEP_2)
	v_add_f64_e64 v[18:19], v[18:19], -v[26:27]
	v_add_f64_e64 v[20:21], v[20:21], -v[24:25]
	scratch_store_b128 off, v[18:21], s44 offset:-8
	s_wait_xcnt 0x0
	s_add_co_i32 s44, s44, 16
	s_cmp_eq_u32 s46, 0
	s_cbranch_scc0 .LBB217_48
; %bb.49:                               ;   in Loop: Header=BB217_47 Depth=4
	s_add_co_i32 s22, s22, 1
	s_addk_co_i32 s43, 0x100
	s_cmp_eq_u32 s22, s16
	s_cbranch_scc0 .LBB217_47
.LBB217_50:                             ;   in Loop: Header=BB217_43 Depth=3
	s_mov_b32 s22, 0
	s_mov_b32 s43, s41
	s_branch .LBB217_52
.LBB217_51:                             ;   in Loop: Header=BB217_52 Depth=4
	s_add_co_i32 s44, s22, s16
	s_lshl_b32 s46, s22, 4
	s_mul_i32 s45, s44, 0x110
	s_add_co_i32 s22, s22, 1
	v_mov_b32_e32 v18, s45
	s_ashr_i32 s45, s44, 31
	s_add_co_i32 s43, s43, 16
	s_cmp_eq_u32 s22, s29
	ds_load_b128 v[18:21], v18
	s_wait_loadcnt_dscnt 0x0
	v_mul_f64_e32 v[22:23], v[20:21], v[2:3]
	v_mul_f64_e32 v[24:25], v[18:19], v[2:3]
	s_delay_alu instid0(VALU_DEP_2) | instskip(NEXT) | instid1(VALU_DEP_2)
	v_fma_f64 v[22:23], v[18:19], v[0:1], -v[22:23]
	v_fmac_f64_e32 v[24:25], v[20:21], v[0:1]
	v_lshl_add_u64 v[0:1], s[44:45], 4, v[4:5]
	scratch_store_b128 off, v[22:25], s46
	global_store_b128 v[0:1], v[22:25], off
	s_cbranch_scc1 .LBB217_42
.LBB217_52:                             ;   Parent Loop BB217_4 Depth=1
                                        ;     Parent Loop BB217_40 Depth=2
                                        ;       Parent Loop BB217_43 Depth=3
                                        ; =>      This Loop Header: Depth=4
                                        ;           Child Loop BB217_54 Depth 5
	s_cmp_lg_u32 s22, 0
	s_cbranch_scc0 .LBB217_56
; %bb.53:                               ;   in Loop: Header=BB217_52 Depth=4
	s_wait_xcnt 0x0
	s_lshl_b32 s44, s22, 4
	s_mov_b32 s45, s35
	scratch_load_b128 v[0:3], off, s44
	s_mov_b32 s46, s43
	s_mov_b32 s47, s22
.LBB217_54:                             ;   Parent Loop BB217_4 Depth=1
                                        ;     Parent Loop BB217_40 Depth=2
                                        ;       Parent Loop BB217_43 Depth=3
                                        ;         Parent Loop BB217_52 Depth=4
                                        ; =>        This Inner Loop Header: Depth=5
	scratch_load_b128 v[18:21], off, s45 offset:-8
	v_mov_b32_e32 v22, s46
	s_add_co_i32 s47, s47, -1
	s_addk_co_i32 s46, 0x100
	s_wait_xcnt 0x0
	s_add_co_i32 s45, s45, 16
	s_cmp_eq_u32 s47, 0
	ds_load_b128 v[22:25], v22
	s_wait_loadcnt_dscnt 0x0
	v_mul_f64_e32 v[26:27], v[24:25], v[20:21]
	v_mul_f64_e32 v[20:21], v[22:23], v[20:21]
	s_delay_alu instid0(VALU_DEP_2) | instskip(NEXT) | instid1(VALU_DEP_2)
	v_fma_f64 v[22:23], v[22:23], v[18:19], -v[26:27]
	v_fmac_f64_e32 v[20:21], v[24:25], v[18:19]
	s_delay_alu instid0(VALU_DEP_2) | instskip(NEXT) | instid1(VALU_DEP_2)
	v_add_f64_e64 v[0:1], v[0:1], -v[22:23]
	v_add_f64_e64 v[2:3], v[2:3], -v[20:21]
	scratch_store_b128 off, v[0:3], s44
	s_cbranch_scc0 .LBB217_54
; %bb.55:                               ;   in Loop: Header=BB217_52 Depth=4
	s_wait_xcnt 0x0
	s_branch .LBB217_51
.LBB217_56:                             ;   in Loop: Header=BB217_52 Depth=4
	s_wait_xcnt 0x0
                                        ; implicit-def: $vgpr0_vgpr1
	s_cbranch_execz .LBB217_51
; %bb.57:                               ;   in Loop: Header=BB217_52 Depth=4
	scratch_load_b128 v[0:3], off, off
	s_branch .LBB217_51
.LBB217_58:
	s_or_b32 exec_lo, exec_lo, s37
	s_and_saveexec_b32 s0, s38
	s_delay_alu instid0(SALU_CYCLE_1)
	s_xor_b32 s0, exec_lo, s0
.LBB217_59:
	s_endpgm
	.section	.rodata,"a",@progbits
	.p2align	6, 0x0
	.amdhsa_kernel _ZL30rocblas_trsm_small_left_deviceILi16ELi16ELb1E19rocblas_complex_numIdES1_PKS1_PS1_Ev13rocblas_fill_18rocblas_operation_17rocblas_diagonal_iiT3_T4_lilT5_lili
		.amdhsa_group_segment_fixed_size 4096
		.amdhsa_private_segment_fixed_size 272
		.amdhsa_kernarg_size 368
		.amdhsa_user_sgpr_count 2
		.amdhsa_user_sgpr_dispatch_ptr 0
		.amdhsa_user_sgpr_queue_ptr 0
		.amdhsa_user_sgpr_kernarg_segment_ptr 1
		.amdhsa_user_sgpr_dispatch_id 0
		.amdhsa_user_sgpr_kernarg_preload_length 0
		.amdhsa_user_sgpr_kernarg_preload_offset 0
		.amdhsa_user_sgpr_private_segment_size 0
		.amdhsa_wavefront_size32 1
		.amdhsa_uses_dynamic_stack 0
		.amdhsa_enable_private_segment 1
		.amdhsa_system_sgpr_workgroup_id_x 1
		.amdhsa_system_sgpr_workgroup_id_y 0
		.amdhsa_system_sgpr_workgroup_id_z 1
		.amdhsa_system_sgpr_workgroup_info 0
		.amdhsa_system_vgpr_workitem_id 0
		.amdhsa_next_free_vgpr 28
		.amdhsa_next_free_sgpr 49
		.amdhsa_named_barrier_count 0
		.amdhsa_reserve_vcc 1
		.amdhsa_float_round_mode_32 0
		.amdhsa_float_round_mode_16_64 0
		.amdhsa_float_denorm_mode_32 3
		.amdhsa_float_denorm_mode_16_64 3
		.amdhsa_fp16_overflow 0
		.amdhsa_memory_ordered 1
		.amdhsa_forward_progress 1
		.amdhsa_inst_pref_size 21
		.amdhsa_round_robin_scheduling 0
		.amdhsa_exception_fp_ieee_invalid_op 0
		.amdhsa_exception_fp_denorm_src 0
		.amdhsa_exception_fp_ieee_div_zero 0
		.amdhsa_exception_fp_ieee_overflow 0
		.amdhsa_exception_fp_ieee_underflow 0
		.amdhsa_exception_fp_ieee_inexact 0
		.amdhsa_exception_int_div_zero 0
	.end_amdhsa_kernel
	.section	.text._ZL30rocblas_trsm_small_left_deviceILi16ELi16ELb1E19rocblas_complex_numIdES1_PKS1_PS1_Ev13rocblas_fill_18rocblas_operation_17rocblas_diagonal_iiT3_T4_lilT5_lili,"axG",@progbits,_ZL30rocblas_trsm_small_left_deviceILi16ELi16ELb1E19rocblas_complex_numIdES1_PKS1_PS1_Ev13rocblas_fill_18rocblas_operation_17rocblas_diagonal_iiT3_T4_lilT5_lili,comdat
.Lfunc_end217:
	.size	_ZL30rocblas_trsm_small_left_deviceILi16ELi16ELb1E19rocblas_complex_numIdES1_PKS1_PS1_Ev13rocblas_fill_18rocblas_operation_17rocblas_diagonal_iiT3_T4_lilT5_lili, .Lfunc_end217-_ZL30rocblas_trsm_small_left_deviceILi16ELi16ELb1E19rocblas_complex_numIdES1_PKS1_PS1_Ev13rocblas_fill_18rocblas_operation_17rocblas_diagonal_iiT3_T4_lilT5_lili
                                        ; -- End function
	.set _ZL30rocblas_trsm_small_left_deviceILi16ELi16ELb1E19rocblas_complex_numIdES1_PKS1_PS1_Ev13rocblas_fill_18rocblas_operation_17rocblas_diagonal_iiT3_T4_lilT5_lili.num_vgpr, 28
	.set _ZL30rocblas_trsm_small_left_deviceILi16ELi16ELb1E19rocblas_complex_numIdES1_PKS1_PS1_Ev13rocblas_fill_18rocblas_operation_17rocblas_diagonal_iiT3_T4_lilT5_lili.num_agpr, 0
	.set _ZL30rocblas_trsm_small_left_deviceILi16ELi16ELb1E19rocblas_complex_numIdES1_PKS1_PS1_Ev13rocblas_fill_18rocblas_operation_17rocblas_diagonal_iiT3_T4_lilT5_lili.numbered_sgpr, 49
	.set _ZL30rocblas_trsm_small_left_deviceILi16ELi16ELb1E19rocblas_complex_numIdES1_PKS1_PS1_Ev13rocblas_fill_18rocblas_operation_17rocblas_diagonal_iiT3_T4_lilT5_lili.num_named_barrier, 0
	.set _ZL30rocblas_trsm_small_left_deviceILi16ELi16ELb1E19rocblas_complex_numIdES1_PKS1_PS1_Ev13rocblas_fill_18rocblas_operation_17rocblas_diagonal_iiT3_T4_lilT5_lili.private_seg_size, 272
	.set _ZL30rocblas_trsm_small_left_deviceILi16ELi16ELb1E19rocblas_complex_numIdES1_PKS1_PS1_Ev13rocblas_fill_18rocblas_operation_17rocblas_diagonal_iiT3_T4_lilT5_lili.uses_vcc, 1
	.set _ZL30rocblas_trsm_small_left_deviceILi16ELi16ELb1E19rocblas_complex_numIdES1_PKS1_PS1_Ev13rocblas_fill_18rocblas_operation_17rocblas_diagonal_iiT3_T4_lilT5_lili.uses_flat_scratch, 0
	.set _ZL30rocblas_trsm_small_left_deviceILi16ELi16ELb1E19rocblas_complex_numIdES1_PKS1_PS1_Ev13rocblas_fill_18rocblas_operation_17rocblas_diagonal_iiT3_T4_lilT5_lili.has_dyn_sized_stack, 0
	.set _ZL30rocblas_trsm_small_left_deviceILi16ELi16ELb1E19rocblas_complex_numIdES1_PKS1_PS1_Ev13rocblas_fill_18rocblas_operation_17rocblas_diagonal_iiT3_T4_lilT5_lili.has_recursion, 0
	.set _ZL30rocblas_trsm_small_left_deviceILi16ELi16ELb1E19rocblas_complex_numIdES1_PKS1_PS1_Ev13rocblas_fill_18rocblas_operation_17rocblas_diagonal_iiT3_T4_lilT5_lili.has_indirect_call, 0
	.section	.AMDGPU.csdata,"",@progbits
; Kernel info:
; codeLenInByte = 2680
; TotalNumSgprs: 51
; NumVgprs: 28
; ScratchSize: 272
; MemoryBound: 0
; FloatMode: 240
; IeeeMode: 1
; LDSByteSize: 4096 bytes/workgroup (compile time only)
; SGPRBlocks: 0
; VGPRBlocks: 1
; NumSGPRsForWavesPerEU: 51
; NumVGPRsForWavesPerEU: 28
; NamedBarCnt: 0
; Occupancy: 16
; WaveLimiterHint : 0
; COMPUTE_PGM_RSRC2:SCRATCH_EN: 1
; COMPUTE_PGM_RSRC2:USER_SGPR: 2
; COMPUTE_PGM_RSRC2:TRAP_HANDLER: 0
; COMPUTE_PGM_RSRC2:TGID_X_EN: 1
; COMPUTE_PGM_RSRC2:TGID_Y_EN: 0
; COMPUTE_PGM_RSRC2:TGID_Z_EN: 1
; COMPUTE_PGM_RSRC2:TIDIG_COMP_CNT: 0
	.section	.text._ZL31rocblas_trsm_small_right_deviceI19rocblas_complex_numIdES1_PKS1_PS1_Li16EEv13rocblas_fill_18rocblas_operation_17rocblas_diagonal_iiT0_T1_lilT2_lili,"axG",@progbits,_ZL31rocblas_trsm_small_right_deviceI19rocblas_complex_numIdES1_PKS1_PS1_Li16EEv13rocblas_fill_18rocblas_operation_17rocblas_diagonal_iiT0_T1_lilT2_lili,comdat
	.globl	_ZL31rocblas_trsm_small_right_deviceI19rocblas_complex_numIdES1_PKS1_PS1_Li16EEv13rocblas_fill_18rocblas_operation_17rocblas_diagonal_iiT0_T1_lilT2_lili ; -- Begin function _ZL31rocblas_trsm_small_right_deviceI19rocblas_complex_numIdES1_PKS1_PS1_Li16EEv13rocblas_fill_18rocblas_operation_17rocblas_diagonal_iiT0_T1_lilT2_lili
	.p2align	8
	.type	_ZL31rocblas_trsm_small_right_deviceI19rocblas_complex_numIdES1_PKS1_PS1_Li16EEv13rocblas_fill_18rocblas_operation_17rocblas_diagonal_iiT0_T1_lilT2_lili,@function
_ZL31rocblas_trsm_small_right_deviceI19rocblas_complex_numIdES1_PKS1_PS1_Li16EEv13rocblas_fill_18rocblas_operation_17rocblas_diagonal_iiT0_T1_lilT2_lili: ; @_ZL31rocblas_trsm_small_right_deviceI19rocblas_complex_numIdES1_PKS1_PS1_Li16EEv13rocblas_fill_18rocblas_operation_17rocblas_diagonal_iiT0_T1_lilT2_lili
; %bb.0:
	s_load_b32 s3, s[0:1], 0x68
	s_bfe_u32 s2, ttmp6, 0x40014
	s_lshr_b32 s5, ttmp7, 16
	s_add_co_i32 s2, s2, 1
	s_bfe_u32 s6, ttmp6, 0x40008
	s_mul_i32 s2, s5, s2
	s_getreg_b32 s4, hwreg(HW_REG_IB_STS2, 6, 4)
	s_add_co_i32 s6, s6, s2
	s_cmp_eq_u32 s4, 0
	s_mov_b32 s25, 0
	s_cselect_b32 s24, s5, s6
	s_wait_kmcnt 0x0
	s_cmp_ge_u32 s24, s3
	s_cbranch_scc1 .LBB218_147
; %bb.1:
	s_clause 0x6
	s_load_b32 s26, s[0:1], 0x38
	s_load_b96 s[20:22], s[0:1], 0x50
	s_load_b128 s[16:19], s[0:1], 0x0
	s_load_b32 s30, s[0:1], 0x10
	s_load_b32 s5, s[0:1], 0x70
	s_load_b64 s[28:29], s[0:1], 0x60
	s_load_b128 s[12:15], s[0:1], 0x40
	v_dual_lshlrev_b32 v28, 4, v0 :: v_dual_lshlrev_b32 v3, 8, v0
	s_delay_alu instid0(VALU_DEP_1) | instskip(NEXT) | instid1(VALU_DEP_2)
	v_or_b32_e32 v34, 0x1000, v28
	v_dual_mov_b32 v3, 0x3ff00000 :: v_dual_add_nc_u32 v36, v28, v3
	s_wait_kmcnt 0x0
	s_ashr_i32 s27, s26, 31
	s_ashr_i32 s23, s22, 31
	s_cmp_lg_u32 s16, 0x7a
	s_cselect_b32 s34, -1, 0
	s_cmp_eq_u32 s17, 0x71
	s_cselect_b32 s2, -1, 0
	s_bfe_u32 s6, ttmp6, 0x4000c
	s_min_i32 s31, s30, 16
	s_add_co_i32 s6, s6, 1
	s_add_co_i32 s35, s5, -1
	s_and_b32 s5, ttmp6, 15
	s_mul_i32 s6, ttmp9, s6
	s_add_co_i32 s33, s31, -1
	s_add_co_i32 s36, s5, s6
	s_cmp_eq_u32 s4, 0
	s_load_b256 s[4:11], s[0:1], 0x18
	s_wait_xcnt 0x0
	s_cselect_b32 s0, ttmp9, s36
	s_mul_i32 s38, s31, 0x110
	s_lshl_b32 s1, s0, 4
	s_delay_alu instid0(SALU_CYCLE_1)
	s_sub_co_i32 s1, s19, s1
	s_cmp_ge_u32 s0, s35
	s_cselect_b32 s19, s1, 16
	s_ashr_i32 s1, s0, 31
	v_cmp_gt_i32_e32 vcc_lo, s19, v0
	s_lshl_b64 s[36:37], s[0:1], 8
	s_cmp_eq_u32 s18, 0x84
	v_cmp_gt_i32_e64 s0, s31, v0
	s_cselect_b32 s1, -1, 0
	s_cmp_gt_i32 s30, 0
	s_cselect_b32 s35, -1, 0
	s_cmp_lg_u32 s17, 0x6f
	s_cselect_b32 s17, -1, 0
	s_cmp_lg_u32 s16, 0x79
	s_cselect_b32 s16, -1, 0
	s_or_b32 s18, s34, s17
	s_or_b32 s19, s16, s17
	s_cmp_gt_i32 s30, 3
	v_cndmask_b32_e64 v35, 0, 1, s16
	s_cselect_b32 s34, -1, 0
	s_wait_kmcnt 0x0
	s_lshl_b64 s[16:17], s[10:11], 4
	s_lshl_b64 s[10:11], s[12:13], 4
	s_lshl_b64 s[12:13], s[26:27], 4
	s_lshl_b32 s26, s31, 8
	s_delay_alu instid0(SALU_CYCLE_1) | instskip(SKIP_3) | instid1(VALU_DEP_1)
	v_dual_mov_b32 v2, 0 :: v_dual_bitop2_b32 v6, s26, v28 bitop3:0x54
	s_lshl_b64 s[20:21], s[20:21], 4
	s_add_nc_u64 s[8:9], s[8:9], s[16:17]
	s_add_nc_u64 s[16:17], s[36:37], s[20:21]
	v_mov_b32_e32 v29, v2
	s_add_nc_u64 s[14:15], s[14:15], s[16:17]
	s_and_b32 s35, vcc_lo, s35
	s_add_co_i32 s20, s38, 0xfffffec0
	s_add_co_i32 s21, s26, 0xffffff00
	v_add_nc_u64_e32 v[4:5], s[8:9], v[28:29]
	v_add_nc_u64_e32 v[0:1], s[14:15], v[28:29]
	v_add_nc_u32_e32 v29, 0xf00, v6
	s_lshl_b64 s[14:15], s[22:23], 4
	s_lshl_b32 s23, s31, 4
	s_lshl_b64 s[8:9], s[28:29], 4
	s_add_co_i32 s22, s38, 0xfffffbf0
	v_add_nc_u64_e32 v[30:31], 8, v[4:5]
	v_add_nc_u64_e32 v[32:33], 8, v[0:1]
	s_add_co_i32 s23, s23, -16
	s_branch .LBB218_3
.LBB218_2:                              ;   in Loop: Header=BB218_3 Depth=1
	s_or_b32 exec_lo, exec_lo, s26
	s_add_co_i32 s24, s24, 0x10000
	s_delay_alu instid0(SALU_CYCLE_1)
	s_cmp_lt_u32 s24, s3
	s_cbranch_scc0 .LBB218_147
.LBB218_3:                              ; =>This Loop Header: Depth=1
                                        ;     Child Loop BB218_5 Depth 2
                                        ;     Child Loop BB218_10 Depth 2
	;; [unrolled: 1-line block ×3, first 2 shown]
                                        ;       Child Loop BB218_17 Depth 3
                                        ;     Child Loop BB218_39 Depth 2
                                        ;       Child Loop BB218_40 Depth 3
                                        ;     Child Loop BB218_48 Depth 2
	;; [unrolled: 2-line block ×8, first 2 shown]
	s_and_saveexec_b32 s16, s0
	s_cbranch_execz .LBB218_8
; %bb.4:                                ;   in Loop: Header=BB218_3 Depth=1
	s_delay_alu instid0(VALU_DEP_2) | instskip(SKIP_2) | instid1(VALU_DEP_2)
	v_mad_nc_u64_u32 v[4:5], s10, s24, v[30:31]
	v_mov_b32_e32 v6, v28
	s_mov_b32 s17, s31
	v_mad_u32 v5, s11, s24, v5
.LBB218_5:                              ;   Parent Loop BB218_3 Depth=1
                                        ; =>  This Inner Loop Header: Depth=2
	global_load_b128 v[8:11], v[4:5], off offset:-8
	s_wait_xcnt 0x0
	v_add_nc_u64_e32 v[4:5], s[12:13], v[4:5]
	s_add_co_i32 s17, s17, -1
	s_delay_alu instid0(SALU_CYCLE_1) | instskip(SKIP_2) | instid1(VALU_DEP_1)
	s_cmp_eq_u32 s17, 0
	s_wait_loadcnt 0x0
	v_xor_b32_e32 v7, 0x80000000, v11
	v_cndmask_b32_e64 v11, v11, v7, s2
	ds_store_b128 v6, v[8:11]
	v_add_nc_u32_e32 v6, 0x100, v6
	s_cbranch_scc0 .LBB218_5
; %bb.6:                                ;   in Loop: Header=BB218_3 Depth=1
	s_and_b32 vcc_lo, exec_lo, s1
	s_cbranch_vccz .LBB218_8
; %bb.7:                                ;   in Loop: Header=BB218_3 Depth=1
	v_dual_mov_b32 v4, v2 :: v_dual_mov_b32 v5, v2
	ds_store_b128 v36, v[2:5]
.LBB218_8:                              ;   in Loop: Header=BB218_3 Depth=1
	s_or_b32 exec_lo, exec_lo, s16
	s_mul_u64 s[16:17], s[8:9], s[24:25]
	s_and_saveexec_b32 s26, s35
	s_cbranch_execz .LBB218_11
; %bb.9:                                ;   in Loop: Header=BB218_3 Depth=1
	v_add_nc_u64_e32 v[4:5], s[16:17], v[32:33]
	v_mov_b32_e32 v6, v34
	s_mov_b32 s27, s30
.LBB218_10:                             ;   Parent Loop BB218_3 Depth=1
                                        ; =>  This Inner Loop Header: Depth=2
	global_load_b128 v[8:11], v[4:5], off offset:-8
	s_wait_xcnt 0x0
	v_add_nc_u64_e32 v[4:5], s[14:15], v[4:5]
	s_add_co_i32 s27, s27, -1
	s_delay_alu instid0(SALU_CYCLE_1) | instskip(SKIP_3) | instid1(VALU_DEP_2)
	s_cmp_lg_u32 s27, 0
	s_wait_loadcnt 0x0
	v_mul_f64_e32 v[14:15], s[6:7], v[10:11]
	v_mul_f64_e32 v[12:13], s[4:5], v[10:11]
	v_fma_f64 v[10:11], s[4:5], v[8:9], -v[14:15]
	s_delay_alu instid0(VALU_DEP_2)
	v_fmac_f64_e32 v[12:13], s[6:7], v[8:9]
	ds_store_b128 v6, v[10:13]
	v_add_nc_u32_e32 v6, 0x100, v6
	s_cbranch_scc1 .LBB218_10
.LBB218_11:                             ;   in Loop: Header=BB218_3 Depth=1
	s_or_b32 exec_lo, exec_lo, s26
	s_delay_alu instid0(SALU_CYCLE_1)
	s_and_b32 vcc_lo, exec_lo, s19
	s_mov_b32 s26, -1
	s_wait_dscnt 0x0
	; wave barrier
	s_cbranch_vccz .LBB218_112
; %bb.12:                               ;   in Loop: Header=BB218_3 Depth=1
	s_and_b32 vcc_lo, exec_lo, s18
	s_cbranch_vccz .LBB218_79
; %bb.13:                               ;   in Loop: Header=BB218_3 Depth=1
	v_cmp_ne_u32_e32 vcc_lo, 1, v35
	s_cbranch_vccnz .LBB218_46
; %bb.14:                               ;   in Loop: Header=BB218_3 Depth=1
	s_and_not1_b32 vcc_lo, exec_lo, s34
	s_mov_b32 s28, 0
	s_cbranch_vccnz .LBB218_36
; %bb.15:                               ;   in Loop: Header=BB218_3 Depth=1
	s_mov_b32 s26, 0
	s_mov_b32 s27, 0
.LBB218_16:                             ;   Parent Loop BB218_3 Depth=1
                                        ; =>  This Loop Header: Depth=2
                                        ;       Child Loop BB218_17 Depth 3
	s_delay_alu instid0(SALU_CYCLE_1) | instskip(SKIP_3) | instid1(SALU_CYCLE_1)
	s_lshl_b32 s36, s27, 8
	s_or_b32 s29, s27, 1
	s_or_b32 s38, s27, 2
	;; [unrolled: 1-line block ×3, first 2 shown]
	v_dual_add_nc_u32 v40, s36, v34 :: v_dual_add_nc_u32 v37, s28, v34
	v_lshl_add_u32 v39, s29, 8, v34
	v_lshl_add_u32 v38, s38, 8, v34
	ds_load_b128 v[20:23], v40
	ds_load_b128 v[16:19], v39
	;; [unrolled: 1-line block ×4, first 2 shown]
	v_mov_b32_e32 v12, v34
	s_cmp_eq_u32 s27, 0
	s_mov_b32 s28, s26
	s_mov_b32 s37, s27
	s_cbranch_scc1 .LBB218_18
.LBB218_17:                             ;   Parent Loop BB218_3 Depth=1
                                        ;     Parent Loop BB218_16 Depth=2
                                        ; =>    This Inner Loop Header: Depth=3
	v_mov_b32_e32 v13, s28
	s_add_co_i32 s37, s37, -1
	s_addk_co_i32 s28, 0x100
	s_cmp_eq_u32 s37, 0
	ds_load_b128 v[24:27], v12
	ds_load_b128 v[42:45], v13
	ds_load_b128 v[46:49], v13 offset:16
	ds_load_b128 v[50:53], v13 offset:32
	;; [unrolled: 1-line block ×3, first 2 shown]
	v_add_nc_u32_e32 v12, 0x100, v12
	s_wait_dscnt 0x3
	v_mul_f64_e32 v[14:15], v[26:27], v[44:45]
	v_mul_f64_e32 v[44:45], v[24:25], v[44:45]
	s_wait_dscnt 0x2
	v_mul_f64_e32 v[58:59], v[26:27], v[48:49]
	v_mul_f64_e32 v[48:49], v[24:25], v[48:49]
	;; [unrolled: 3-line block ×4, first 2 shown]
	v_fma_f64 v[14:15], v[24:25], v[42:43], -v[14:15]
	v_fmac_f64_e32 v[44:45], v[26:27], v[42:43]
	v_fma_f64 v[42:43], v[24:25], v[46:47], -v[58:59]
	v_fmac_f64_e32 v[48:49], v[26:27], v[46:47]
	;; [unrolled: 2-line block ×4, first 2 shown]
	v_add_f64_e64 v[20:21], v[20:21], -v[14:15]
	v_add_f64_e64 v[22:23], v[22:23], -v[44:45]
	;; [unrolled: 1-line block ×8, first 2 shown]
	s_cbranch_scc0 .LBB218_17
.LBB218_18:                             ;   in Loop: Header=BB218_16 Depth=2
	s_lshl_b32 s28, s27, 4
	s_lshl_b32 s37, s29, 4
	s_add_co_i32 s36, s28, s36
	s_lshl_b32 s29, s38, 4
	v_mov_b32_e32 v12, s36
	ds_load_b128 v[24:27], v12
                                        ; implicit-def: $vgpr14_vgpr15
	s_wait_dscnt 0x0
	v_cmp_ngt_f64_e64 s38, |v[24:25]|, |v[26:27]|
	s_and_b32 vcc_lo, exec_lo, s38
	s_mov_b32 s38, -1
	s_cbranch_vccz .LBB218_20
; %bb.19:                               ;   in Loop: Header=BB218_16 Depth=2
	v_div_scale_f64 v[12:13], null, v[26:27], v[26:27], v[24:25]
	v_div_scale_f64 v[44:45], vcc_lo, v[24:25], v[26:27], v[24:25]
	s_mov_b32 s38, 0
	v_rcp_f64_e32 v[14:15], v[12:13]
	v_nop
	s_delay_alu instid0(TRANS32_DEP_1) | instskip(NEXT) | instid1(VALU_DEP_1)
	v_fma_f64 v[42:43], -v[12:13], v[14:15], 1.0
	v_fmac_f64_e32 v[14:15], v[14:15], v[42:43]
	s_delay_alu instid0(VALU_DEP_1) | instskip(NEXT) | instid1(VALU_DEP_1)
	v_fma_f64 v[42:43], -v[12:13], v[14:15], 1.0
	v_fmac_f64_e32 v[14:15], v[14:15], v[42:43]
	s_delay_alu instid0(VALU_DEP_1) | instskip(NEXT) | instid1(VALU_DEP_1)
	v_mul_f64_e32 v[42:43], v[44:45], v[14:15]
	v_fma_f64 v[12:13], -v[12:13], v[42:43], v[44:45]
	s_delay_alu instid0(VALU_DEP_1) | instskip(NEXT) | instid1(VALU_DEP_1)
	v_div_fmas_f64 v[12:13], v[12:13], v[14:15], v[42:43]
	v_div_fixup_f64 v[12:13], v[12:13], v[26:27], v[24:25]
	s_delay_alu instid0(VALU_DEP_1) | instskip(NEXT) | instid1(VALU_DEP_1)
	v_fma_f64 v[14:15], v[24:25], v[12:13], v[26:27]
	v_div_scale_f64 v[42:43], null, v[14:15], v[14:15], 1.0
	v_div_scale_f64 v[48:49], vcc_lo, 1.0, v[14:15], 1.0
	s_delay_alu instid0(VALU_DEP_2) | instskip(SKIP_1) | instid1(TRANS32_DEP_1)
	v_rcp_f64_e32 v[44:45], v[42:43]
	v_nop
	v_fma_f64 v[46:47], -v[42:43], v[44:45], 1.0
	s_delay_alu instid0(VALU_DEP_1) | instskip(NEXT) | instid1(VALU_DEP_1)
	v_fmac_f64_e32 v[44:45], v[44:45], v[46:47]
	v_fma_f64 v[46:47], -v[42:43], v[44:45], 1.0
	s_delay_alu instid0(VALU_DEP_1) | instskip(NEXT) | instid1(VALU_DEP_1)
	v_fmac_f64_e32 v[44:45], v[44:45], v[46:47]
	v_mul_f64_e32 v[46:47], v[48:49], v[44:45]
	s_delay_alu instid0(VALU_DEP_1) | instskip(NEXT) | instid1(VALU_DEP_1)
	v_fma_f64 v[42:43], -v[42:43], v[46:47], v[48:49]
	v_div_fmas_f64 v[42:43], v[42:43], v[44:45], v[46:47]
	v_fma_f64 v[44:45], v[20:21], v[12:13], v[22:23]
	s_delay_alu instid0(VALU_DEP_2) | instskip(SKIP_1) | instid1(VALU_DEP_2)
	v_div_fixup_f64 v[14:15], v[42:43], v[14:15], 1.0
	v_fma_f64 v[42:43], v[22:23], v[12:13], -v[20:21]
	v_mul_f64_e32 v[12:13], v[44:45], v[14:15]
	s_delay_alu instid0(VALU_DEP_2)
	v_mul_f64_e32 v[14:15], v[42:43], v[14:15]
.LBB218_20:                             ;   in Loop: Header=BB218_16 Depth=2
	s_and_not1_b32 vcc_lo, exec_lo, s38
	s_cbranch_vccnz .LBB218_22
; %bb.21:                               ;   in Loop: Header=BB218_16 Depth=2
	v_div_scale_f64 v[12:13], null, v[24:25], v[24:25], v[26:27]
	v_div_scale_f64 v[44:45], vcc_lo, v[26:27], v[24:25], v[26:27]
	s_delay_alu instid0(VALU_DEP_2) | instskip(SKIP_1) | instid1(TRANS32_DEP_1)
	v_rcp_f64_e32 v[14:15], v[12:13]
	v_nop
	v_fma_f64 v[42:43], -v[12:13], v[14:15], 1.0
	s_delay_alu instid0(VALU_DEP_1) | instskip(NEXT) | instid1(VALU_DEP_1)
	v_fmac_f64_e32 v[14:15], v[14:15], v[42:43]
	v_fma_f64 v[42:43], -v[12:13], v[14:15], 1.0
	s_delay_alu instid0(VALU_DEP_1) | instskip(NEXT) | instid1(VALU_DEP_1)
	v_fmac_f64_e32 v[14:15], v[14:15], v[42:43]
	v_mul_f64_e32 v[42:43], v[44:45], v[14:15]
	s_delay_alu instid0(VALU_DEP_1) | instskip(NEXT) | instid1(VALU_DEP_1)
	v_fma_f64 v[12:13], -v[12:13], v[42:43], v[44:45]
	v_div_fmas_f64 v[12:13], v[12:13], v[14:15], v[42:43]
	s_delay_alu instid0(VALU_DEP_1) | instskip(NEXT) | instid1(VALU_DEP_1)
	v_div_fixup_f64 v[12:13], v[12:13], v[24:25], v[26:27]
	v_fmac_f64_e32 v[24:25], v[26:27], v[12:13]
	s_delay_alu instid0(VALU_DEP_1) | instskip(SKIP_1) | instid1(VALU_DEP_2)
	v_div_scale_f64 v[14:15], null, v[24:25], v[24:25], 1.0
	v_div_scale_f64 v[44:45], vcc_lo, 1.0, v[24:25], 1.0
	v_rcp_f64_e32 v[26:27], v[14:15]
	v_nop
	s_delay_alu instid0(TRANS32_DEP_1) | instskip(NEXT) | instid1(VALU_DEP_1)
	v_fma_f64 v[42:43], -v[14:15], v[26:27], 1.0
	v_fmac_f64_e32 v[26:27], v[26:27], v[42:43]
	s_delay_alu instid0(VALU_DEP_1) | instskip(NEXT) | instid1(VALU_DEP_1)
	v_fma_f64 v[42:43], -v[14:15], v[26:27], 1.0
	v_fmac_f64_e32 v[26:27], v[26:27], v[42:43]
	s_delay_alu instid0(VALU_DEP_1) | instskip(NEXT) | instid1(VALU_DEP_1)
	v_mul_f64_e32 v[42:43], v[44:45], v[26:27]
	v_fma_f64 v[14:15], -v[14:15], v[42:43], v[44:45]
	s_delay_alu instid0(VALU_DEP_1) | instskip(SKIP_2) | instid1(VALU_DEP_3)
	v_div_fmas_f64 v[14:15], v[14:15], v[26:27], v[42:43]
	v_fma_f64 v[26:27], v[22:23], v[12:13], v[20:21]
	v_fma_f64 v[20:21], -v[20:21], v[12:13], v[22:23]
	v_div_fixup_f64 v[14:15], v[14:15], v[24:25], 1.0
	s_delay_alu instid0(VALU_DEP_1) | instskip(NEXT) | instid1(VALU_DEP_3)
	v_mul_f64_e32 v[12:13], v[26:27], v[14:15]
	v_mul_f64_e32 v[14:15], v[20:21], v[14:15]
.LBB218_22:                             ;   in Loop: Header=BB218_16 Depth=2
	s_sub_co_i32 s36, s36, s28
	s_delay_alu instid0(SALU_CYCLE_1) | instskip(NEXT) | instid1(SALU_CYCLE_1)
	s_add_co_i32 s36, s36, s28
	v_mov_b32_e32 v20, s36
	ds_load_b128 v[24:27], v20 offset:16
	ds_load_b128 v[20:23], v20 offset:272
	ds_store_b128 v40, v[12:15]
	s_wait_dscnt 0x2
	v_mul_f64_e32 v[42:43], v[14:15], v[26:27]
	v_mul_f64_e32 v[26:27], v[12:13], v[26:27]
	s_wait_dscnt 0x1
	v_cmp_ngt_f64_e64 s38, |v[20:21]|, |v[22:23]|
	s_delay_alu instid0(VALU_DEP_3) | instskip(NEXT) | instid1(VALU_DEP_3)
	v_fma_f64 v[42:43], v[12:13], v[24:25], -v[42:43]
	v_fmac_f64_e32 v[26:27], v[14:15], v[24:25]
	s_and_b32 vcc_lo, exec_lo, s38
	s_mov_b32 s38, -1
	s_delay_alu instid0(VALU_DEP_2) | instskip(NEXT) | instid1(VALU_DEP_2)
	v_add_f64_e64 v[24:25], v[16:17], -v[42:43]
	v_add_f64_e64 v[26:27], v[18:19], -v[26:27]
                                        ; implicit-def: $vgpr18_vgpr19
	s_cbranch_vccz .LBB218_24
; %bb.23:                               ;   in Loop: Header=BB218_16 Depth=2
	v_div_scale_f64 v[16:17], null, v[22:23], v[22:23], v[20:21]
	v_div_scale_f64 v[42:43], vcc_lo, v[20:21], v[22:23], v[20:21]
	s_mov_b32 s38, 0
	v_rcp_f64_e32 v[18:19], v[16:17]
	v_nop
	s_delay_alu instid0(TRANS32_DEP_1) | instskip(NEXT) | instid1(VALU_DEP_1)
	v_fma_f64 v[40:41], -v[16:17], v[18:19], 1.0
	v_fmac_f64_e32 v[18:19], v[18:19], v[40:41]
	s_delay_alu instid0(VALU_DEP_1) | instskip(NEXT) | instid1(VALU_DEP_1)
	v_fma_f64 v[40:41], -v[16:17], v[18:19], 1.0
	v_fmac_f64_e32 v[18:19], v[18:19], v[40:41]
	s_delay_alu instid0(VALU_DEP_1) | instskip(NEXT) | instid1(VALU_DEP_1)
	v_mul_f64_e32 v[40:41], v[42:43], v[18:19]
	v_fma_f64 v[16:17], -v[16:17], v[40:41], v[42:43]
	s_delay_alu instid0(VALU_DEP_1) | instskip(NEXT) | instid1(VALU_DEP_1)
	v_div_fmas_f64 v[16:17], v[16:17], v[18:19], v[40:41]
	v_div_fixup_f64 v[16:17], v[16:17], v[22:23], v[20:21]
	s_delay_alu instid0(VALU_DEP_1) | instskip(NEXT) | instid1(VALU_DEP_1)
	v_fma_f64 v[18:19], v[20:21], v[16:17], v[22:23]
	v_div_scale_f64 v[40:41], null, v[18:19], v[18:19], 1.0
	v_div_scale_f64 v[46:47], vcc_lo, 1.0, v[18:19], 1.0
	s_delay_alu instid0(VALU_DEP_2) | instskip(SKIP_1) | instid1(TRANS32_DEP_1)
	v_rcp_f64_e32 v[42:43], v[40:41]
	v_nop
	v_fma_f64 v[44:45], -v[40:41], v[42:43], 1.0
	s_delay_alu instid0(VALU_DEP_1) | instskip(NEXT) | instid1(VALU_DEP_1)
	v_fmac_f64_e32 v[42:43], v[42:43], v[44:45]
	v_fma_f64 v[44:45], -v[40:41], v[42:43], 1.0
	s_delay_alu instid0(VALU_DEP_1) | instskip(NEXT) | instid1(VALU_DEP_1)
	v_fmac_f64_e32 v[42:43], v[42:43], v[44:45]
	v_mul_f64_e32 v[44:45], v[46:47], v[42:43]
	s_delay_alu instid0(VALU_DEP_1) | instskip(NEXT) | instid1(VALU_DEP_1)
	v_fma_f64 v[40:41], -v[40:41], v[44:45], v[46:47]
	v_div_fmas_f64 v[40:41], v[40:41], v[42:43], v[44:45]
	v_fma_f64 v[42:43], v[16:17], v[24:25], v[26:27]
	s_delay_alu instid0(VALU_DEP_2) | instskip(SKIP_1) | instid1(VALU_DEP_2)
	v_div_fixup_f64 v[18:19], v[40:41], v[18:19], 1.0
	v_fma_f64 v[40:41], v[16:17], v[26:27], -v[24:25]
	v_mul_f64_e32 v[16:17], v[42:43], v[18:19]
	s_delay_alu instid0(VALU_DEP_2)
	v_mul_f64_e32 v[18:19], v[40:41], v[18:19]
.LBB218_24:                             ;   in Loop: Header=BB218_16 Depth=2
	s_and_not1_b32 vcc_lo, exec_lo, s38
	s_cbranch_vccnz .LBB218_26
; %bb.25:                               ;   in Loop: Header=BB218_16 Depth=2
	v_div_scale_f64 v[16:17], null, v[20:21], v[20:21], v[22:23]
	v_div_scale_f64 v[42:43], vcc_lo, v[22:23], v[20:21], v[22:23]
	s_delay_alu instid0(VALU_DEP_2) | instskip(SKIP_1) | instid1(TRANS32_DEP_1)
	v_rcp_f64_e32 v[18:19], v[16:17]
	v_nop
	v_fma_f64 v[40:41], -v[16:17], v[18:19], 1.0
	s_delay_alu instid0(VALU_DEP_1) | instskip(NEXT) | instid1(VALU_DEP_1)
	v_fmac_f64_e32 v[18:19], v[18:19], v[40:41]
	v_fma_f64 v[40:41], -v[16:17], v[18:19], 1.0
	s_delay_alu instid0(VALU_DEP_1) | instskip(NEXT) | instid1(VALU_DEP_1)
	v_fmac_f64_e32 v[18:19], v[18:19], v[40:41]
	v_mul_f64_e32 v[40:41], v[42:43], v[18:19]
	s_delay_alu instid0(VALU_DEP_1) | instskip(NEXT) | instid1(VALU_DEP_1)
	v_fma_f64 v[16:17], -v[16:17], v[40:41], v[42:43]
	v_div_fmas_f64 v[16:17], v[16:17], v[18:19], v[40:41]
	s_delay_alu instid0(VALU_DEP_1) | instskip(NEXT) | instid1(VALU_DEP_1)
	v_div_fixup_f64 v[16:17], v[16:17], v[20:21], v[22:23]
	v_fmac_f64_e32 v[20:21], v[22:23], v[16:17]
	s_delay_alu instid0(VALU_DEP_1) | instskip(SKIP_1) | instid1(VALU_DEP_2)
	v_div_scale_f64 v[18:19], null, v[20:21], v[20:21], 1.0
	v_div_scale_f64 v[42:43], vcc_lo, 1.0, v[20:21], 1.0
	v_rcp_f64_e32 v[22:23], v[18:19]
	v_nop
	s_delay_alu instid0(TRANS32_DEP_1) | instskip(NEXT) | instid1(VALU_DEP_1)
	v_fma_f64 v[40:41], -v[18:19], v[22:23], 1.0
	v_fmac_f64_e32 v[22:23], v[22:23], v[40:41]
	s_delay_alu instid0(VALU_DEP_1) | instskip(NEXT) | instid1(VALU_DEP_1)
	v_fma_f64 v[40:41], -v[18:19], v[22:23], 1.0
	v_fmac_f64_e32 v[22:23], v[22:23], v[40:41]
	s_delay_alu instid0(VALU_DEP_1) | instskip(NEXT) | instid1(VALU_DEP_1)
	v_mul_f64_e32 v[40:41], v[42:43], v[22:23]
	v_fma_f64 v[18:19], -v[18:19], v[40:41], v[42:43]
	s_delay_alu instid0(VALU_DEP_1) | instskip(SKIP_1) | instid1(VALU_DEP_2)
	v_div_fmas_f64 v[18:19], v[18:19], v[22:23], v[40:41]
	v_fma_f64 v[22:23], v[16:17], v[26:27], v[24:25]
	v_div_fixup_f64 v[18:19], v[18:19], v[20:21], 1.0
	v_fma_f64 v[20:21], -v[16:17], v[24:25], v[26:27]
	s_delay_alu instid0(VALU_DEP_2) | instskip(NEXT) | instid1(VALU_DEP_2)
	v_mul_f64_e32 v[16:17], v[22:23], v[18:19]
	v_mul_f64_e32 v[18:19], v[20:21], v[18:19]
.LBB218_26:                             ;   in Loop: Header=BB218_16 Depth=2
	v_mov_b32_e32 v20, s36
	s_add_co_i32 s38, s36, 0x110
	ds_store_b128 v39, v[16:19]
	s_sub_co_i32 s37, s38, s37
	s_delay_alu instid0(SALU_CYCLE_1)
	s_add_co_i32 s37, s37, s28
	ds_load_b128 v[24:27], v20 offset:32
	v_mov_b32_e32 v40, s37
	ds_load_b128 v[40:43], v40 offset:32
	s_wait_dscnt 0x1
	v_mul_f64_e32 v[44:45], v[14:15], v[26:27]
	v_mul_f64_e32 v[26:27], v[12:13], v[26:27]
	ds_load_b128 v[20:23], v20 offset:544
	s_wait_dscnt 0x1
	v_mul_f64_e32 v[46:47], v[18:19], v[42:43]
	v_mul_f64_e32 v[42:43], v[16:17], v[42:43]
	s_wait_dscnt 0x0
	v_cmp_ngt_f64_e64 s39, |v[20:21]|, |v[22:23]|
	v_fma_f64 v[44:45], v[12:13], v[24:25], -v[44:45]
	v_fmac_f64_e32 v[26:27], v[14:15], v[24:25]
	v_fma_f64 v[24:25], v[16:17], v[40:41], -v[46:47]
	v_fmac_f64_e32 v[42:43], v[18:19], v[40:41]
	s_and_b32 vcc_lo, exec_lo, s39
	s_mov_b32 s39, -1
	s_delay_alu instid0(VALU_DEP_4) | instskip(NEXT) | instid1(VALU_DEP_4)
	v_add_f64_e64 v[8:9], v[8:9], -v[44:45]
	v_add_f64_e64 v[10:11], v[10:11], -v[26:27]
	s_delay_alu instid0(VALU_DEP_2) | instskip(NEXT) | instid1(VALU_DEP_2)
	v_add_f64_e64 v[8:9], v[8:9], -v[24:25]
	v_add_f64_e64 v[10:11], v[10:11], -v[42:43]
                                        ; implicit-def: $vgpr26_vgpr27
	s_cbranch_vccz .LBB218_28
; %bb.27:                               ;   in Loop: Header=BB218_16 Depth=2
	v_div_scale_f64 v[24:25], null, v[22:23], v[22:23], v[20:21]
	v_div_scale_f64 v[42:43], vcc_lo, v[20:21], v[22:23], v[20:21]
	s_mov_b32 s39, 0
	v_rcp_f64_e32 v[26:27], v[24:25]
	v_nop
	s_delay_alu instid0(TRANS32_DEP_1) | instskip(NEXT) | instid1(VALU_DEP_1)
	v_fma_f64 v[40:41], -v[24:25], v[26:27], 1.0
	v_fmac_f64_e32 v[26:27], v[26:27], v[40:41]
	s_delay_alu instid0(VALU_DEP_1) | instskip(NEXT) | instid1(VALU_DEP_1)
	v_fma_f64 v[40:41], -v[24:25], v[26:27], 1.0
	v_fmac_f64_e32 v[26:27], v[26:27], v[40:41]
	s_delay_alu instid0(VALU_DEP_1) | instskip(NEXT) | instid1(VALU_DEP_1)
	v_mul_f64_e32 v[40:41], v[42:43], v[26:27]
	v_fma_f64 v[24:25], -v[24:25], v[40:41], v[42:43]
	s_delay_alu instid0(VALU_DEP_1) | instskip(NEXT) | instid1(VALU_DEP_1)
	v_div_fmas_f64 v[24:25], v[24:25], v[26:27], v[40:41]
	v_div_fixup_f64 v[24:25], v[24:25], v[22:23], v[20:21]
	s_delay_alu instid0(VALU_DEP_1) | instskip(NEXT) | instid1(VALU_DEP_1)
	v_fma_f64 v[26:27], v[20:21], v[24:25], v[22:23]
	v_div_scale_f64 v[40:41], null, v[26:27], v[26:27], 1.0
	v_div_scale_f64 v[46:47], vcc_lo, 1.0, v[26:27], 1.0
	s_delay_alu instid0(VALU_DEP_2) | instskip(SKIP_1) | instid1(TRANS32_DEP_1)
	v_rcp_f64_e32 v[42:43], v[40:41]
	v_nop
	v_fma_f64 v[44:45], -v[40:41], v[42:43], 1.0
	s_delay_alu instid0(VALU_DEP_1) | instskip(NEXT) | instid1(VALU_DEP_1)
	v_fmac_f64_e32 v[42:43], v[42:43], v[44:45]
	v_fma_f64 v[44:45], -v[40:41], v[42:43], 1.0
	s_delay_alu instid0(VALU_DEP_1) | instskip(NEXT) | instid1(VALU_DEP_1)
	v_fmac_f64_e32 v[42:43], v[42:43], v[44:45]
	v_mul_f64_e32 v[44:45], v[46:47], v[42:43]
	s_delay_alu instid0(VALU_DEP_1) | instskip(NEXT) | instid1(VALU_DEP_1)
	v_fma_f64 v[40:41], -v[40:41], v[44:45], v[46:47]
	v_div_fmas_f64 v[40:41], v[40:41], v[42:43], v[44:45]
	v_fma_f64 v[42:43], v[24:25], v[8:9], v[10:11]
	s_delay_alu instid0(VALU_DEP_2) | instskip(SKIP_1) | instid1(VALU_DEP_2)
	v_div_fixup_f64 v[26:27], v[40:41], v[26:27], 1.0
	v_fma_f64 v[40:41], v[24:25], v[10:11], -v[8:9]
	v_mul_f64_e32 v[24:25], v[42:43], v[26:27]
	s_delay_alu instid0(VALU_DEP_2)
	v_mul_f64_e32 v[26:27], v[40:41], v[26:27]
.LBB218_28:                             ;   in Loop: Header=BB218_16 Depth=2
	s_and_not1_b32 vcc_lo, exec_lo, s39
	s_cbranch_vccnz .LBB218_30
; %bb.29:                               ;   in Loop: Header=BB218_16 Depth=2
	v_div_scale_f64 v[24:25], null, v[20:21], v[20:21], v[22:23]
	v_div_scale_f64 v[42:43], vcc_lo, v[22:23], v[20:21], v[22:23]
	s_delay_alu instid0(VALU_DEP_2) | instskip(SKIP_1) | instid1(TRANS32_DEP_1)
	v_rcp_f64_e32 v[26:27], v[24:25]
	v_nop
	v_fma_f64 v[40:41], -v[24:25], v[26:27], 1.0
	s_delay_alu instid0(VALU_DEP_1) | instskip(NEXT) | instid1(VALU_DEP_1)
	v_fmac_f64_e32 v[26:27], v[26:27], v[40:41]
	v_fma_f64 v[40:41], -v[24:25], v[26:27], 1.0
	s_delay_alu instid0(VALU_DEP_1) | instskip(NEXT) | instid1(VALU_DEP_1)
	v_fmac_f64_e32 v[26:27], v[26:27], v[40:41]
	v_mul_f64_e32 v[40:41], v[42:43], v[26:27]
	s_delay_alu instid0(VALU_DEP_1) | instskip(NEXT) | instid1(VALU_DEP_1)
	v_fma_f64 v[24:25], -v[24:25], v[40:41], v[42:43]
	v_div_fmas_f64 v[24:25], v[24:25], v[26:27], v[40:41]
	s_delay_alu instid0(VALU_DEP_1) | instskip(NEXT) | instid1(VALU_DEP_1)
	v_div_fixup_f64 v[24:25], v[24:25], v[20:21], v[22:23]
	v_fmac_f64_e32 v[20:21], v[22:23], v[24:25]
	s_delay_alu instid0(VALU_DEP_1) | instskip(SKIP_1) | instid1(VALU_DEP_2)
	v_div_scale_f64 v[22:23], null, v[20:21], v[20:21], 1.0
	v_div_scale_f64 v[42:43], vcc_lo, 1.0, v[20:21], 1.0
	v_rcp_f64_e32 v[26:27], v[22:23]
	v_nop
	s_delay_alu instid0(TRANS32_DEP_1) | instskip(NEXT) | instid1(VALU_DEP_1)
	v_fma_f64 v[40:41], -v[22:23], v[26:27], 1.0
	v_fmac_f64_e32 v[26:27], v[26:27], v[40:41]
	s_delay_alu instid0(VALU_DEP_1) | instskip(NEXT) | instid1(VALU_DEP_1)
	v_fma_f64 v[40:41], -v[22:23], v[26:27], 1.0
	v_fmac_f64_e32 v[26:27], v[26:27], v[40:41]
	s_delay_alu instid0(VALU_DEP_1) | instskip(NEXT) | instid1(VALU_DEP_1)
	v_mul_f64_e32 v[40:41], v[42:43], v[26:27]
	v_fma_f64 v[22:23], -v[22:23], v[40:41], v[42:43]
	s_delay_alu instid0(VALU_DEP_1) | instskip(SKIP_2) | instid1(VALU_DEP_3)
	v_div_fmas_f64 v[22:23], v[22:23], v[26:27], v[40:41]
	v_fma_f64 v[26:27], v[24:25], v[10:11], v[8:9]
	v_fma_f64 v[8:9], -v[24:25], v[8:9], v[10:11]
	v_div_fixup_f64 v[20:21], v[22:23], v[20:21], 1.0
	s_delay_alu instid0(VALU_DEP_1) | instskip(NEXT) | instid1(VALU_DEP_3)
	v_mul_f64_e32 v[24:25], v[26:27], v[20:21]
	v_mul_f64_e32 v[26:27], v[8:9], v[20:21]
.LBB218_30:                             ;   in Loop: Header=BB218_16 Depth=2
	v_mov_b32_e32 v8, s36
	s_sub_co_i32 s29, s38, s29
	ds_load_b128 v[20:23], v8 offset:48
	ds_load_b128 v[8:11], v8 offset:816
	s_add_co_i32 s28, s29, s28
	ds_store_b128 v38, v[24:27]
	v_mov_b32_e32 v39, s37
	ds_load_b128 v[40:43], v39 offset:48
	s_wait_dscnt 0x3
	v_dual_mul_f64 v[48:49], v[14:15], v[22:23] :: v_dual_mov_b32 v39, s28
	v_mul_f64_e32 v[22:23], v[12:13], v[22:23]
	s_wait_dscnt 0x2
	v_cmp_ngt_f64_e64 s28, |v[8:9]|, |v[10:11]|
	s_wait_dscnt 0x0
	v_mul_f64_e32 v[50:51], v[18:19], v[42:43]
	v_mul_f64_e32 v[42:43], v[16:17], v[42:43]
	ds_load_b128 v[44:47], v39 offset:320
	v_fma_f64 v[12:13], v[12:13], v[20:21], -v[48:49]
	v_fmac_f64_e32 v[22:23], v[14:15], v[20:21]
	s_and_b32 vcc_lo, exec_lo, s28
	s_mov_b32 s28, -1
	s_wait_dscnt 0x0
	v_mul_f64_e32 v[14:15], v[26:27], v[46:47]
	v_mul_f64_e32 v[20:21], v[24:25], v[46:47]
	v_fma_f64 v[16:17], v[16:17], v[40:41], -v[50:51]
	v_fmac_f64_e32 v[42:43], v[18:19], v[40:41]
	v_add_f64_e64 v[4:5], v[4:5], -v[12:13]
	v_add_f64_e64 v[6:7], v[6:7], -v[22:23]
	v_fma_f64 v[12:13], v[24:25], v[44:45], -v[14:15]
	v_fmac_f64_e32 v[20:21], v[26:27], v[44:45]
	s_delay_alu instid0(VALU_DEP_4) | instskip(NEXT) | instid1(VALU_DEP_4)
	v_add_f64_e64 v[4:5], v[4:5], -v[16:17]
	v_add_f64_e64 v[6:7], v[6:7], -v[42:43]
	s_delay_alu instid0(VALU_DEP_2) | instskip(NEXT) | instid1(VALU_DEP_2)
	v_add_f64_e64 v[12:13], v[4:5], -v[12:13]
	v_add_f64_e64 v[14:15], v[6:7], -v[20:21]
                                        ; implicit-def: $vgpr6_vgpr7
	s_cbranch_vccz .LBB218_32
; %bb.31:                               ;   in Loop: Header=BB218_16 Depth=2
	v_div_scale_f64 v[4:5], null, v[10:11], v[10:11], v[8:9]
	v_div_scale_f64 v[18:19], vcc_lo, v[8:9], v[10:11], v[8:9]
	s_mov_b32 s28, 0
	v_rcp_f64_e32 v[6:7], v[4:5]
	v_nop
	s_delay_alu instid0(TRANS32_DEP_1) | instskip(NEXT) | instid1(VALU_DEP_1)
	v_fma_f64 v[16:17], -v[4:5], v[6:7], 1.0
	v_fmac_f64_e32 v[6:7], v[6:7], v[16:17]
	s_delay_alu instid0(VALU_DEP_1) | instskip(NEXT) | instid1(VALU_DEP_1)
	v_fma_f64 v[16:17], -v[4:5], v[6:7], 1.0
	v_fmac_f64_e32 v[6:7], v[6:7], v[16:17]
	s_delay_alu instid0(VALU_DEP_1) | instskip(NEXT) | instid1(VALU_DEP_1)
	v_mul_f64_e32 v[16:17], v[18:19], v[6:7]
	v_fma_f64 v[4:5], -v[4:5], v[16:17], v[18:19]
	s_delay_alu instid0(VALU_DEP_1) | instskip(NEXT) | instid1(VALU_DEP_1)
	v_div_fmas_f64 v[4:5], v[4:5], v[6:7], v[16:17]
	v_div_fixup_f64 v[4:5], v[4:5], v[10:11], v[8:9]
	s_delay_alu instid0(VALU_DEP_1) | instskip(NEXT) | instid1(VALU_DEP_1)
	v_fma_f64 v[6:7], v[8:9], v[4:5], v[10:11]
	v_div_scale_f64 v[16:17], null, v[6:7], v[6:7], 1.0
	v_div_scale_f64 v[22:23], vcc_lo, 1.0, v[6:7], 1.0
	s_delay_alu instid0(VALU_DEP_2) | instskip(SKIP_1) | instid1(TRANS32_DEP_1)
	v_rcp_f64_e32 v[18:19], v[16:17]
	v_nop
	v_fma_f64 v[20:21], -v[16:17], v[18:19], 1.0
	s_delay_alu instid0(VALU_DEP_1) | instskip(NEXT) | instid1(VALU_DEP_1)
	v_fmac_f64_e32 v[18:19], v[18:19], v[20:21]
	v_fma_f64 v[20:21], -v[16:17], v[18:19], 1.0
	s_delay_alu instid0(VALU_DEP_1) | instskip(NEXT) | instid1(VALU_DEP_1)
	v_fmac_f64_e32 v[18:19], v[18:19], v[20:21]
	v_mul_f64_e32 v[20:21], v[22:23], v[18:19]
	s_delay_alu instid0(VALU_DEP_1) | instskip(NEXT) | instid1(VALU_DEP_1)
	v_fma_f64 v[16:17], -v[16:17], v[20:21], v[22:23]
	v_div_fmas_f64 v[16:17], v[16:17], v[18:19], v[20:21]
	v_fma_f64 v[18:19], v[4:5], v[12:13], v[14:15]
	s_delay_alu instid0(VALU_DEP_2) | instskip(SKIP_1) | instid1(VALU_DEP_2)
	v_div_fixup_f64 v[6:7], v[16:17], v[6:7], 1.0
	v_fma_f64 v[16:17], v[4:5], v[14:15], -v[12:13]
	v_mul_f64_e32 v[4:5], v[18:19], v[6:7]
	s_delay_alu instid0(VALU_DEP_2)
	v_mul_f64_e32 v[6:7], v[16:17], v[6:7]
.LBB218_32:                             ;   in Loop: Header=BB218_16 Depth=2
	s_and_not1_b32 vcc_lo, exec_lo, s28
	s_cbranch_vccnz .LBB218_34
; %bb.33:                               ;   in Loop: Header=BB218_16 Depth=2
	v_div_scale_f64 v[4:5], null, v[8:9], v[8:9], v[10:11]
	v_div_scale_f64 v[18:19], vcc_lo, v[10:11], v[8:9], v[10:11]
	s_delay_alu instid0(VALU_DEP_2) | instskip(SKIP_1) | instid1(TRANS32_DEP_1)
	v_rcp_f64_e32 v[6:7], v[4:5]
	v_nop
	v_fma_f64 v[16:17], -v[4:5], v[6:7], 1.0
	s_delay_alu instid0(VALU_DEP_1) | instskip(NEXT) | instid1(VALU_DEP_1)
	v_fmac_f64_e32 v[6:7], v[6:7], v[16:17]
	v_fma_f64 v[16:17], -v[4:5], v[6:7], 1.0
	s_delay_alu instid0(VALU_DEP_1) | instskip(NEXT) | instid1(VALU_DEP_1)
	v_fmac_f64_e32 v[6:7], v[6:7], v[16:17]
	v_mul_f64_e32 v[16:17], v[18:19], v[6:7]
	s_delay_alu instid0(VALU_DEP_1) | instskip(NEXT) | instid1(VALU_DEP_1)
	v_fma_f64 v[4:5], -v[4:5], v[16:17], v[18:19]
	v_div_fmas_f64 v[4:5], v[4:5], v[6:7], v[16:17]
	s_delay_alu instid0(VALU_DEP_1) | instskip(NEXT) | instid1(VALU_DEP_1)
	v_div_fixup_f64 v[4:5], v[4:5], v[8:9], v[10:11]
	v_fmac_f64_e32 v[8:9], v[10:11], v[4:5]
	s_delay_alu instid0(VALU_DEP_1) | instskip(SKIP_1) | instid1(VALU_DEP_2)
	v_div_scale_f64 v[6:7], null, v[8:9], v[8:9], 1.0
	v_div_scale_f64 v[18:19], vcc_lo, 1.0, v[8:9], 1.0
	v_rcp_f64_e32 v[10:11], v[6:7]
	v_nop
	s_delay_alu instid0(TRANS32_DEP_1) | instskip(NEXT) | instid1(VALU_DEP_1)
	v_fma_f64 v[16:17], -v[6:7], v[10:11], 1.0
	v_fmac_f64_e32 v[10:11], v[10:11], v[16:17]
	s_delay_alu instid0(VALU_DEP_1) | instskip(NEXT) | instid1(VALU_DEP_1)
	v_fma_f64 v[16:17], -v[6:7], v[10:11], 1.0
	v_fmac_f64_e32 v[10:11], v[10:11], v[16:17]
	s_delay_alu instid0(VALU_DEP_1) | instskip(NEXT) | instid1(VALU_DEP_1)
	v_mul_f64_e32 v[16:17], v[18:19], v[10:11]
	v_fma_f64 v[6:7], -v[6:7], v[16:17], v[18:19]
	s_delay_alu instid0(VALU_DEP_1) | instskip(SKIP_1) | instid1(VALU_DEP_2)
	v_div_fmas_f64 v[6:7], v[6:7], v[10:11], v[16:17]
	v_fma_f64 v[10:11], v[4:5], v[14:15], v[12:13]
	v_div_fixup_f64 v[6:7], v[6:7], v[8:9], 1.0
	v_fma_f64 v[8:9], -v[4:5], v[12:13], v[14:15]
	s_delay_alu instid0(VALU_DEP_2) | instskip(NEXT) | instid1(VALU_DEP_2)
	v_mul_f64_e32 v[4:5], v[10:11], v[6:7]
	v_mul_f64_e32 v[6:7], v[8:9], v[6:7]
.LBB218_34:                             ;   in Loop: Header=BB218_16 Depth=2
	s_add_co_i32 s28, s27, 4
	s_add_co_i32 s27, s27, 7
	;; [unrolled: 1-line block ×3, first 2 shown]
	s_cmp_ge_i32 s27, s31
	ds_store_b128 v37, v[4:7]
	s_cbranch_scc1 .LBB218_36
; %bb.35:                               ;   in Loop: Header=BB218_16 Depth=2
	s_mov_b32 s27, s28
	s_branch .LBB218_16
.LBB218_36:                             ;   in Loop: Header=BB218_3 Depth=1
	s_cmp_ge_i32 s28, s31
	s_cbranch_scc1 .LBB218_45
; %bb.37:                               ;   in Loop: Header=BB218_3 Depth=1
	s_lshl_b32 s26, s28, 4
	s_branch .LBB218_39
.LBB218_38:                             ;   in Loop: Header=BB218_39 Depth=2
	s_add_co_i32 s28, s28, 1
	s_add_co_i32 s26, s26, 16
	s_cmp_ge_i32 s28, s31
	ds_store_b128 v16, v[12:15]
	s_cbranch_scc1 .LBB218_45
.LBB218_39:                             ;   Parent Loop BB218_3 Depth=1
                                        ; =>  This Loop Header: Depth=2
                                        ;       Child Loop BB218_40 Depth 3
	s_lshl_b32 s27, s28, 8
	s_cmp_eq_u32 s28, 0
	v_dual_add_nc_u32 v16, s27, v34 :: v_dual_mov_b32 v8, v34
	s_mov_b32 s29, s26
	s_mov_b32 s36, s28
	ds_load_b128 v[4:7], v16
	s_cbranch_scc1 .LBB218_41
.LBB218_40:                             ;   Parent Loop BB218_3 Depth=1
                                        ;     Parent Loop BB218_39 Depth=2
                                        ; =>    This Inner Loop Header: Depth=3
	v_mov_b32_e32 v9, s29
	s_add_co_i32 s36, s36, -1
	s_addk_co_i32 s29, 0x100
	s_cmp_eq_u32 s36, 0
	ds_load_b128 v[10:13], v8
	ds_load_b128 v[18:21], v9
	v_add_nc_u32_e32 v8, 0x100, v8
	s_wait_dscnt 0x0
	v_mul_f64_e32 v[14:15], v[20:21], v[12:13]
	v_mul_f64_e32 v[12:13], v[18:19], v[12:13]
	s_delay_alu instid0(VALU_DEP_2) | instskip(NEXT) | instid1(VALU_DEP_2)
	v_fma_f64 v[14:15], v[18:19], v[10:11], -v[14:15]
	v_fmac_f64_e32 v[12:13], v[20:21], v[10:11]
	s_delay_alu instid0(VALU_DEP_2) | instskip(NEXT) | instid1(VALU_DEP_2)
	v_add_f64_e64 v[4:5], v[4:5], -v[14:15]
	v_add_f64_e64 v[6:7], v[6:7], -v[12:13]
	s_cbranch_scc0 .LBB218_40
.LBB218_41:                             ;   in Loop: Header=BB218_39 Depth=2
	s_lshl_b32 s29, s28, 4
                                        ; implicit-def: $vgpr12_vgpr13
	s_delay_alu instid0(SALU_CYCLE_1) | instskip(NEXT) | instid1(SALU_CYCLE_1)
	s_add_co_i32 s27, s29, s27
	v_mov_b32_e32 v8, s27
	ds_load_b128 v[8:11], v8
	s_wait_dscnt 0x0
	v_cmp_ngt_f64_e64 s27, |v[8:9]|, |v[10:11]|
	s_and_b32 vcc_lo, exec_lo, s27
	s_mov_b32 s27, -1
	s_cbranch_vccz .LBB218_43
; %bb.42:                               ;   in Loop: Header=BB218_39 Depth=2
	v_div_scale_f64 v[12:13], null, v[10:11], v[10:11], v[8:9]
	v_div_scale_f64 v[20:21], vcc_lo, v[8:9], v[10:11], v[8:9]
	s_mov_b32 s27, 0
	v_rcp_f64_e32 v[14:15], v[12:13]
	v_nop
	s_delay_alu instid0(TRANS32_DEP_1) | instskip(NEXT) | instid1(VALU_DEP_1)
	v_fma_f64 v[18:19], -v[12:13], v[14:15], 1.0
	v_fmac_f64_e32 v[14:15], v[14:15], v[18:19]
	s_delay_alu instid0(VALU_DEP_1) | instskip(NEXT) | instid1(VALU_DEP_1)
	v_fma_f64 v[18:19], -v[12:13], v[14:15], 1.0
	v_fmac_f64_e32 v[14:15], v[14:15], v[18:19]
	s_delay_alu instid0(VALU_DEP_1) | instskip(NEXT) | instid1(VALU_DEP_1)
	v_mul_f64_e32 v[18:19], v[20:21], v[14:15]
	v_fma_f64 v[12:13], -v[12:13], v[18:19], v[20:21]
	s_delay_alu instid0(VALU_DEP_1) | instskip(NEXT) | instid1(VALU_DEP_1)
	v_div_fmas_f64 v[12:13], v[12:13], v[14:15], v[18:19]
	v_div_fixup_f64 v[12:13], v[12:13], v[10:11], v[8:9]
	s_delay_alu instid0(VALU_DEP_1) | instskip(NEXT) | instid1(VALU_DEP_1)
	v_fma_f64 v[14:15], v[8:9], v[12:13], v[10:11]
	v_div_scale_f64 v[18:19], null, v[14:15], v[14:15], 1.0
	v_div_scale_f64 v[24:25], vcc_lo, 1.0, v[14:15], 1.0
	s_delay_alu instid0(VALU_DEP_2) | instskip(SKIP_1) | instid1(TRANS32_DEP_1)
	v_rcp_f64_e32 v[20:21], v[18:19]
	v_nop
	v_fma_f64 v[22:23], -v[18:19], v[20:21], 1.0
	s_delay_alu instid0(VALU_DEP_1) | instskip(NEXT) | instid1(VALU_DEP_1)
	v_fmac_f64_e32 v[20:21], v[20:21], v[22:23]
	v_fma_f64 v[22:23], -v[18:19], v[20:21], 1.0
	s_delay_alu instid0(VALU_DEP_1) | instskip(NEXT) | instid1(VALU_DEP_1)
	v_fmac_f64_e32 v[20:21], v[20:21], v[22:23]
	v_mul_f64_e32 v[22:23], v[24:25], v[20:21]
	s_delay_alu instid0(VALU_DEP_1) | instskip(NEXT) | instid1(VALU_DEP_1)
	v_fma_f64 v[18:19], -v[18:19], v[22:23], v[24:25]
	v_div_fmas_f64 v[18:19], v[18:19], v[20:21], v[22:23]
	v_fma_f64 v[20:21], v[4:5], v[12:13], v[6:7]
	s_delay_alu instid0(VALU_DEP_2) | instskip(SKIP_1) | instid1(VALU_DEP_2)
	v_div_fixup_f64 v[14:15], v[18:19], v[14:15], 1.0
	v_fma_f64 v[18:19], v[6:7], v[12:13], -v[4:5]
	v_mul_f64_e32 v[12:13], v[20:21], v[14:15]
	s_delay_alu instid0(VALU_DEP_2)
	v_mul_f64_e32 v[14:15], v[18:19], v[14:15]
.LBB218_43:                             ;   in Loop: Header=BB218_39 Depth=2
	s_and_not1_b32 vcc_lo, exec_lo, s27
	s_cbranch_vccnz .LBB218_38
; %bb.44:                               ;   in Loop: Header=BB218_39 Depth=2
	v_div_scale_f64 v[12:13], null, v[8:9], v[8:9], v[10:11]
	v_div_scale_f64 v[20:21], vcc_lo, v[10:11], v[8:9], v[10:11]
	s_delay_alu instid0(VALU_DEP_2) | instskip(SKIP_1) | instid1(TRANS32_DEP_1)
	v_rcp_f64_e32 v[14:15], v[12:13]
	v_nop
	v_fma_f64 v[18:19], -v[12:13], v[14:15], 1.0
	s_delay_alu instid0(VALU_DEP_1) | instskip(NEXT) | instid1(VALU_DEP_1)
	v_fmac_f64_e32 v[14:15], v[14:15], v[18:19]
	v_fma_f64 v[18:19], -v[12:13], v[14:15], 1.0
	s_delay_alu instid0(VALU_DEP_1) | instskip(NEXT) | instid1(VALU_DEP_1)
	v_fmac_f64_e32 v[14:15], v[14:15], v[18:19]
	v_mul_f64_e32 v[18:19], v[20:21], v[14:15]
	s_delay_alu instid0(VALU_DEP_1) | instskip(NEXT) | instid1(VALU_DEP_1)
	v_fma_f64 v[12:13], -v[12:13], v[18:19], v[20:21]
	v_div_fmas_f64 v[12:13], v[12:13], v[14:15], v[18:19]
	s_delay_alu instid0(VALU_DEP_1) | instskip(NEXT) | instid1(VALU_DEP_1)
	v_div_fixup_f64 v[12:13], v[12:13], v[8:9], v[10:11]
	v_fmac_f64_e32 v[8:9], v[10:11], v[12:13]
	s_delay_alu instid0(VALU_DEP_1) | instskip(SKIP_1) | instid1(VALU_DEP_2)
	v_div_scale_f64 v[10:11], null, v[8:9], v[8:9], 1.0
	v_div_scale_f64 v[20:21], vcc_lo, 1.0, v[8:9], 1.0
	v_rcp_f64_e32 v[14:15], v[10:11]
	v_nop
	s_delay_alu instid0(TRANS32_DEP_1) | instskip(NEXT) | instid1(VALU_DEP_1)
	v_fma_f64 v[18:19], -v[10:11], v[14:15], 1.0
	v_fmac_f64_e32 v[14:15], v[14:15], v[18:19]
	s_delay_alu instid0(VALU_DEP_1) | instskip(NEXT) | instid1(VALU_DEP_1)
	v_fma_f64 v[18:19], -v[10:11], v[14:15], 1.0
	v_fmac_f64_e32 v[14:15], v[14:15], v[18:19]
	s_delay_alu instid0(VALU_DEP_1) | instskip(NEXT) | instid1(VALU_DEP_1)
	v_mul_f64_e32 v[18:19], v[20:21], v[14:15]
	v_fma_f64 v[10:11], -v[10:11], v[18:19], v[20:21]
	s_delay_alu instid0(VALU_DEP_1) | instskip(SKIP_2) | instid1(VALU_DEP_3)
	v_div_fmas_f64 v[10:11], v[10:11], v[14:15], v[18:19]
	v_fma_f64 v[14:15], v[6:7], v[12:13], v[4:5]
	v_fma_f64 v[4:5], -v[4:5], v[12:13], v[6:7]
	v_div_fixup_f64 v[8:9], v[10:11], v[8:9], 1.0
	s_delay_alu instid0(VALU_DEP_1) | instskip(NEXT) | instid1(VALU_DEP_3)
	v_mul_f64_e32 v[12:13], v[14:15], v[8:9]
	v_mul_f64_e32 v[14:15], v[4:5], v[8:9]
	s_branch .LBB218_38
.LBB218_45:                             ;   in Loop: Header=BB218_3 Depth=1
	s_mov_b32 s26, 0
.LBB218_46:                             ;   in Loop: Header=BB218_3 Depth=1
	s_delay_alu instid0(SALU_CYCLE_1)
	s_and_b32 vcc_lo, exec_lo, s26
	s_cbranch_vccz .LBB218_78
; %bb.47:                               ;   in Loop: Header=BB218_3 Depth=1
	s_mov_b32 s28, s33
	s_and_not1_b32 vcc_lo, exec_lo, s34
	s_mov_b32 s26, s20
	s_mov_b32 s27, s33
	s_cbranch_vccnz .LBB218_69
.LBB218_48:                             ;   Parent Loop BB218_3 Depth=1
                                        ; =>  This Loop Header: Depth=2
                                        ;       Child Loop BB218_49 Depth 3
	s_add_co_i32 s38, s27, -1
	s_add_co_i32 s28, s27, -3
	v_lshl_add_u32 v40, s27, 8, v34
	s_add_co_i32 s36, s27, -2
	v_lshl_add_u32 v39, s38, 8, v34
	s_lshl_b32 s29, s28, 8
	v_lshl_add_u32 v38, s36, 8, v34
	v_dual_mov_b32 v12, v29 :: v_dual_add_nc_u32 v37, s29, v34
	ds_load_b128 v[20:23], v40
	ds_load_b128 v[16:19], v39
	;; [unrolled: 1-line block ×4, first 2 shown]
	s_cmp_le_i32 s33, s27
	s_mov_b32 s29, s26
	s_mov_b32 s37, s33
	s_cbranch_scc1 .LBB218_50
.LBB218_49:                             ;   Parent Loop BB218_3 Depth=1
                                        ;     Parent Loop BB218_48 Depth=2
                                        ; =>    This Inner Loop Header: Depth=3
	v_mov_b32_e32 v13, s29
	s_add_co_i32 s37, s37, -1
	s_addk_co_i32 s29, 0xff00
	s_cmp_le_i32 s37, s27
	ds_load_b128 v[24:27], v12
	ds_load_b128 v[42:45], v13 offset:48
	ds_load_b128 v[46:49], v13 offset:32
	;; [unrolled: 1-line block ×3, first 2 shown]
	ds_load_b128 v[54:57], v13
	v_add_nc_u32_e32 v12, 0xffffff00, v12
	s_wait_dscnt 0x3
	v_mul_f64_e32 v[14:15], v[26:27], v[44:45]
	v_mul_f64_e32 v[44:45], v[24:25], v[44:45]
	s_wait_dscnt 0x2
	v_mul_f64_e32 v[58:59], v[26:27], v[48:49]
	v_mul_f64_e32 v[48:49], v[24:25], v[48:49]
	;; [unrolled: 3-line block ×4, first 2 shown]
	v_fma_f64 v[14:15], v[24:25], v[42:43], -v[14:15]
	v_fmac_f64_e32 v[44:45], v[26:27], v[42:43]
	v_fma_f64 v[42:43], v[24:25], v[46:47], -v[58:59]
	v_fmac_f64_e32 v[48:49], v[26:27], v[46:47]
	;; [unrolled: 2-line block ×4, first 2 shown]
	v_add_f64_e64 v[20:21], v[20:21], -v[14:15]
	v_add_f64_e64 v[22:23], v[22:23], -v[44:45]
	;; [unrolled: 1-line block ×8, first 2 shown]
	s_cbranch_scc0 .LBB218_49
.LBB218_50:                             ;   in Loop: Header=BB218_48 Depth=2
	s_lshl_b32 s40, s38, 4
	s_lshl_b32 s29, s36, 4
; %bb.51:                               ;   in Loop: Header=BB218_48 Depth=2
	s_lshl_b32 s39, s27, 4
	s_lshl_b32 s37, s27, 8
	s_delay_alu instid0(SALU_CYCLE_1) | instskip(NEXT) | instid1(SALU_CYCLE_1)
	s_add_co_i32 s37, s39, s37
	v_mov_b32_e32 v12, s37
	ds_load_b128 v[24:27], v12
                                        ; implicit-def: $vgpr14_vgpr15
	s_wait_dscnt 0x0
	v_cmp_ngt_f64_e64 s41, |v[24:25]|, |v[26:27]|
	s_and_b32 vcc_lo, exec_lo, s41
	s_mov_b32 s41, -1
	s_cbranch_vccz .LBB218_53
; %bb.52:                               ;   in Loop: Header=BB218_48 Depth=2
	v_div_scale_f64 v[12:13], null, v[26:27], v[26:27], v[24:25]
	v_div_scale_f64 v[44:45], vcc_lo, v[24:25], v[26:27], v[24:25]
	s_mov_b32 s41, 0
	v_rcp_f64_e32 v[14:15], v[12:13]
	v_nop
	s_delay_alu instid0(TRANS32_DEP_1) | instskip(NEXT) | instid1(VALU_DEP_1)
	v_fma_f64 v[42:43], -v[12:13], v[14:15], 1.0
	v_fmac_f64_e32 v[14:15], v[14:15], v[42:43]
	s_delay_alu instid0(VALU_DEP_1) | instskip(NEXT) | instid1(VALU_DEP_1)
	v_fma_f64 v[42:43], -v[12:13], v[14:15], 1.0
	v_fmac_f64_e32 v[14:15], v[14:15], v[42:43]
	s_delay_alu instid0(VALU_DEP_1) | instskip(NEXT) | instid1(VALU_DEP_1)
	v_mul_f64_e32 v[42:43], v[44:45], v[14:15]
	v_fma_f64 v[12:13], -v[12:13], v[42:43], v[44:45]
	s_delay_alu instid0(VALU_DEP_1) | instskip(NEXT) | instid1(VALU_DEP_1)
	v_div_fmas_f64 v[12:13], v[12:13], v[14:15], v[42:43]
	v_div_fixup_f64 v[12:13], v[12:13], v[26:27], v[24:25]
	s_delay_alu instid0(VALU_DEP_1) | instskip(NEXT) | instid1(VALU_DEP_1)
	v_fma_f64 v[14:15], v[24:25], v[12:13], v[26:27]
	v_div_scale_f64 v[42:43], null, v[14:15], v[14:15], 1.0
	v_div_scale_f64 v[48:49], vcc_lo, 1.0, v[14:15], 1.0
	s_delay_alu instid0(VALU_DEP_2) | instskip(SKIP_1) | instid1(TRANS32_DEP_1)
	v_rcp_f64_e32 v[44:45], v[42:43]
	v_nop
	v_fma_f64 v[46:47], -v[42:43], v[44:45], 1.0
	s_delay_alu instid0(VALU_DEP_1) | instskip(NEXT) | instid1(VALU_DEP_1)
	v_fmac_f64_e32 v[44:45], v[44:45], v[46:47]
	v_fma_f64 v[46:47], -v[42:43], v[44:45], 1.0
	s_delay_alu instid0(VALU_DEP_1) | instskip(NEXT) | instid1(VALU_DEP_1)
	v_fmac_f64_e32 v[44:45], v[44:45], v[46:47]
	v_mul_f64_e32 v[46:47], v[48:49], v[44:45]
	s_delay_alu instid0(VALU_DEP_1) | instskip(NEXT) | instid1(VALU_DEP_1)
	v_fma_f64 v[42:43], -v[42:43], v[46:47], v[48:49]
	v_div_fmas_f64 v[42:43], v[42:43], v[44:45], v[46:47]
	v_fma_f64 v[44:45], v[20:21], v[12:13], v[22:23]
	s_delay_alu instid0(VALU_DEP_2) | instskip(SKIP_1) | instid1(VALU_DEP_2)
	v_div_fixup_f64 v[14:15], v[42:43], v[14:15], 1.0
	v_fma_f64 v[42:43], v[22:23], v[12:13], -v[20:21]
	v_mul_f64_e32 v[12:13], v[44:45], v[14:15]
	s_delay_alu instid0(VALU_DEP_2)
	v_mul_f64_e32 v[14:15], v[42:43], v[14:15]
.LBB218_53:                             ;   in Loop: Header=BB218_48 Depth=2
	s_and_not1_b32 vcc_lo, exec_lo, s41
	s_cbranch_vccnz .LBB218_55
; %bb.54:                               ;   in Loop: Header=BB218_48 Depth=2
	v_div_scale_f64 v[12:13], null, v[24:25], v[24:25], v[26:27]
	v_div_scale_f64 v[44:45], vcc_lo, v[26:27], v[24:25], v[26:27]
	s_delay_alu instid0(VALU_DEP_2) | instskip(SKIP_1) | instid1(TRANS32_DEP_1)
	v_rcp_f64_e32 v[14:15], v[12:13]
	v_nop
	v_fma_f64 v[42:43], -v[12:13], v[14:15], 1.0
	s_delay_alu instid0(VALU_DEP_1) | instskip(NEXT) | instid1(VALU_DEP_1)
	v_fmac_f64_e32 v[14:15], v[14:15], v[42:43]
	v_fma_f64 v[42:43], -v[12:13], v[14:15], 1.0
	s_delay_alu instid0(VALU_DEP_1) | instskip(NEXT) | instid1(VALU_DEP_1)
	v_fmac_f64_e32 v[14:15], v[14:15], v[42:43]
	v_mul_f64_e32 v[42:43], v[44:45], v[14:15]
	s_delay_alu instid0(VALU_DEP_1) | instskip(NEXT) | instid1(VALU_DEP_1)
	v_fma_f64 v[12:13], -v[12:13], v[42:43], v[44:45]
	v_div_fmas_f64 v[12:13], v[12:13], v[14:15], v[42:43]
	s_delay_alu instid0(VALU_DEP_1) | instskip(NEXT) | instid1(VALU_DEP_1)
	v_div_fixup_f64 v[12:13], v[12:13], v[24:25], v[26:27]
	v_fmac_f64_e32 v[24:25], v[26:27], v[12:13]
	s_delay_alu instid0(VALU_DEP_1) | instskip(SKIP_1) | instid1(VALU_DEP_2)
	v_div_scale_f64 v[14:15], null, v[24:25], v[24:25], 1.0
	v_div_scale_f64 v[44:45], vcc_lo, 1.0, v[24:25], 1.0
	v_rcp_f64_e32 v[26:27], v[14:15]
	v_nop
	s_delay_alu instid0(TRANS32_DEP_1) | instskip(NEXT) | instid1(VALU_DEP_1)
	v_fma_f64 v[42:43], -v[14:15], v[26:27], 1.0
	v_fmac_f64_e32 v[26:27], v[26:27], v[42:43]
	s_delay_alu instid0(VALU_DEP_1) | instskip(NEXT) | instid1(VALU_DEP_1)
	v_fma_f64 v[42:43], -v[14:15], v[26:27], 1.0
	v_fmac_f64_e32 v[26:27], v[26:27], v[42:43]
	s_delay_alu instid0(VALU_DEP_1) | instskip(NEXT) | instid1(VALU_DEP_1)
	v_mul_f64_e32 v[42:43], v[44:45], v[26:27]
	v_fma_f64 v[14:15], -v[14:15], v[42:43], v[44:45]
	s_delay_alu instid0(VALU_DEP_1) | instskip(SKIP_2) | instid1(VALU_DEP_3)
	v_div_fmas_f64 v[14:15], v[14:15], v[26:27], v[42:43]
	v_fma_f64 v[26:27], v[22:23], v[12:13], v[20:21]
	v_fma_f64 v[20:21], -v[20:21], v[12:13], v[22:23]
	v_div_fixup_f64 v[14:15], v[14:15], v[24:25], 1.0
	s_delay_alu instid0(VALU_DEP_1) | instskip(NEXT) | instid1(VALU_DEP_3)
	v_mul_f64_e32 v[12:13], v[26:27], v[14:15]
	v_mul_f64_e32 v[14:15], v[20:21], v[14:15]
.LBB218_55:                             ;   in Loop: Header=BB218_48 Depth=2
	s_add_co_i32 s41, s37, -16
	s_lshl_b32 s38, s38, 8
	v_mov_b32_e32 v20, s41
	s_add_co_i32 s38, s39, s38
	ds_store_b128 v40, v[12:15]
	s_add_co_i32 s38, s38, -16
	ds_load_b128 v[24:27], v20
	s_wait_dscnt 0x0
	v_dual_mul_f64 v[42:43], v[14:15], v[26:27] :: v_dual_mov_b32 v20, s38
	v_mul_f64_e32 v[26:27], v[12:13], v[26:27]
	ds_load_b128 v[20:23], v20
	s_wait_dscnt 0x0
	v_cmp_ngt_f64_e64 s41, |v[20:21]|, |v[22:23]|
	v_fma_f64 v[42:43], v[12:13], v[24:25], -v[42:43]
	v_fmac_f64_e32 v[26:27], v[14:15], v[24:25]
	s_and_b32 vcc_lo, exec_lo, s41
	s_mov_b32 s41, -1
	s_delay_alu instid0(VALU_DEP_2) | instskip(NEXT) | instid1(VALU_DEP_2)
	v_add_f64_e64 v[24:25], v[16:17], -v[42:43]
	v_add_f64_e64 v[26:27], v[18:19], -v[26:27]
                                        ; implicit-def: $vgpr18_vgpr19
	s_cbranch_vccz .LBB218_57
; %bb.56:                               ;   in Loop: Header=BB218_48 Depth=2
	v_div_scale_f64 v[16:17], null, v[22:23], v[22:23], v[20:21]
	v_div_scale_f64 v[42:43], vcc_lo, v[20:21], v[22:23], v[20:21]
	s_mov_b32 s41, 0
	v_rcp_f64_e32 v[18:19], v[16:17]
	v_nop
	s_delay_alu instid0(TRANS32_DEP_1) | instskip(NEXT) | instid1(VALU_DEP_1)
	v_fma_f64 v[40:41], -v[16:17], v[18:19], 1.0
	v_fmac_f64_e32 v[18:19], v[18:19], v[40:41]
	s_delay_alu instid0(VALU_DEP_1) | instskip(NEXT) | instid1(VALU_DEP_1)
	v_fma_f64 v[40:41], -v[16:17], v[18:19], 1.0
	v_fmac_f64_e32 v[18:19], v[18:19], v[40:41]
	s_delay_alu instid0(VALU_DEP_1) | instskip(NEXT) | instid1(VALU_DEP_1)
	v_mul_f64_e32 v[40:41], v[42:43], v[18:19]
	v_fma_f64 v[16:17], -v[16:17], v[40:41], v[42:43]
	s_delay_alu instid0(VALU_DEP_1) | instskip(NEXT) | instid1(VALU_DEP_1)
	v_div_fmas_f64 v[16:17], v[16:17], v[18:19], v[40:41]
	v_div_fixup_f64 v[16:17], v[16:17], v[22:23], v[20:21]
	s_delay_alu instid0(VALU_DEP_1) | instskip(NEXT) | instid1(VALU_DEP_1)
	v_fma_f64 v[18:19], v[20:21], v[16:17], v[22:23]
	v_div_scale_f64 v[40:41], null, v[18:19], v[18:19], 1.0
	v_div_scale_f64 v[46:47], vcc_lo, 1.0, v[18:19], 1.0
	s_delay_alu instid0(VALU_DEP_2) | instskip(SKIP_1) | instid1(TRANS32_DEP_1)
	v_rcp_f64_e32 v[42:43], v[40:41]
	v_nop
	v_fma_f64 v[44:45], -v[40:41], v[42:43], 1.0
	s_delay_alu instid0(VALU_DEP_1) | instskip(NEXT) | instid1(VALU_DEP_1)
	v_fmac_f64_e32 v[42:43], v[42:43], v[44:45]
	v_fma_f64 v[44:45], -v[40:41], v[42:43], 1.0
	s_delay_alu instid0(VALU_DEP_1) | instskip(NEXT) | instid1(VALU_DEP_1)
	v_fmac_f64_e32 v[42:43], v[42:43], v[44:45]
	v_mul_f64_e32 v[44:45], v[46:47], v[42:43]
	s_delay_alu instid0(VALU_DEP_1) | instskip(NEXT) | instid1(VALU_DEP_1)
	v_fma_f64 v[40:41], -v[40:41], v[44:45], v[46:47]
	v_div_fmas_f64 v[40:41], v[40:41], v[42:43], v[44:45]
	v_fma_f64 v[42:43], v[16:17], v[24:25], v[26:27]
	s_delay_alu instid0(VALU_DEP_2) | instskip(SKIP_1) | instid1(VALU_DEP_2)
	v_div_fixup_f64 v[18:19], v[40:41], v[18:19], 1.0
	v_fma_f64 v[40:41], v[16:17], v[26:27], -v[24:25]
	v_mul_f64_e32 v[16:17], v[42:43], v[18:19]
	s_delay_alu instid0(VALU_DEP_2)
	v_mul_f64_e32 v[18:19], v[40:41], v[18:19]
.LBB218_57:                             ;   in Loop: Header=BB218_48 Depth=2
	s_and_not1_b32 vcc_lo, exec_lo, s41
	s_cbranch_vccnz .LBB218_59
; %bb.58:                               ;   in Loop: Header=BB218_48 Depth=2
	v_div_scale_f64 v[16:17], null, v[20:21], v[20:21], v[22:23]
	v_div_scale_f64 v[42:43], vcc_lo, v[22:23], v[20:21], v[22:23]
	s_delay_alu instid0(VALU_DEP_2) | instskip(SKIP_1) | instid1(TRANS32_DEP_1)
	v_rcp_f64_e32 v[18:19], v[16:17]
	v_nop
	v_fma_f64 v[40:41], -v[16:17], v[18:19], 1.0
	s_delay_alu instid0(VALU_DEP_1) | instskip(NEXT) | instid1(VALU_DEP_1)
	v_fmac_f64_e32 v[18:19], v[18:19], v[40:41]
	v_fma_f64 v[40:41], -v[16:17], v[18:19], 1.0
	s_delay_alu instid0(VALU_DEP_1) | instskip(NEXT) | instid1(VALU_DEP_1)
	v_fmac_f64_e32 v[18:19], v[18:19], v[40:41]
	v_mul_f64_e32 v[40:41], v[42:43], v[18:19]
	s_delay_alu instid0(VALU_DEP_1) | instskip(NEXT) | instid1(VALU_DEP_1)
	v_fma_f64 v[16:17], -v[16:17], v[40:41], v[42:43]
	v_div_fmas_f64 v[16:17], v[16:17], v[18:19], v[40:41]
	s_delay_alu instid0(VALU_DEP_1) | instskip(NEXT) | instid1(VALU_DEP_1)
	v_div_fixup_f64 v[16:17], v[16:17], v[20:21], v[22:23]
	v_fmac_f64_e32 v[20:21], v[22:23], v[16:17]
	s_delay_alu instid0(VALU_DEP_1) | instskip(SKIP_1) | instid1(VALU_DEP_2)
	v_div_scale_f64 v[18:19], null, v[20:21], v[20:21], 1.0
	v_div_scale_f64 v[42:43], vcc_lo, 1.0, v[20:21], 1.0
	v_rcp_f64_e32 v[22:23], v[18:19]
	v_nop
	s_delay_alu instid0(TRANS32_DEP_1) | instskip(NEXT) | instid1(VALU_DEP_1)
	v_fma_f64 v[40:41], -v[18:19], v[22:23], 1.0
	v_fmac_f64_e32 v[22:23], v[22:23], v[40:41]
	s_delay_alu instid0(VALU_DEP_1) | instskip(NEXT) | instid1(VALU_DEP_1)
	v_fma_f64 v[40:41], -v[18:19], v[22:23], 1.0
	v_fmac_f64_e32 v[22:23], v[22:23], v[40:41]
	s_delay_alu instid0(VALU_DEP_1) | instskip(NEXT) | instid1(VALU_DEP_1)
	v_mul_f64_e32 v[40:41], v[42:43], v[22:23]
	v_fma_f64 v[18:19], -v[18:19], v[40:41], v[42:43]
	s_delay_alu instid0(VALU_DEP_1) | instskip(SKIP_1) | instid1(VALU_DEP_2)
	v_div_fmas_f64 v[18:19], v[18:19], v[22:23], v[40:41]
	v_fma_f64 v[22:23], v[16:17], v[26:27], v[24:25]
	v_div_fixup_f64 v[18:19], v[18:19], v[20:21], 1.0
	v_fma_f64 v[20:21], -v[16:17], v[24:25], v[26:27]
	s_delay_alu instid0(VALU_DEP_2) | instskip(NEXT) | instid1(VALU_DEP_2)
	v_mul_f64_e32 v[16:17], v[22:23], v[18:19]
	v_mul_f64_e32 v[18:19], v[20:21], v[18:19]
.LBB218_59:                             ;   in Loop: Header=BB218_48 Depth=2
	s_sub_co_i32 s41, s37, 32
	s_sub_co_i32 s38, s38, s40
	s_lshl_b32 s36, s36, 8
	s_add_co_i32 s40, s38, s29
	s_delay_alu instid0(SALU_CYCLE_1)
	v_dual_mov_b32 v20, s41 :: v_dual_mov_b32 v24, s40
	s_add_co_i32 s39, s39, s36
	ds_store_b128 v39, v[16:19]
	s_sub_co_i32 s36, s39, 32
	ds_load_b128 v[20:23], v20
	ds_load_b128 v[24:27], v24
	s_wait_dscnt 0x1
	v_mul_f64_e32 v[40:41], v[14:15], v[22:23]
	v_mul_f64_e32 v[22:23], v[12:13], v[22:23]
	s_wait_dscnt 0x0
	v_mul_f64_e32 v[42:43], v[18:19], v[26:27]
	v_mul_f64_e32 v[26:27], v[16:17], v[26:27]
	s_delay_alu instid0(VALU_DEP_4) | instskip(NEXT) | instid1(VALU_DEP_4)
	v_fma_f64 v[40:41], v[12:13], v[20:21], -v[40:41]
	v_fmac_f64_e32 v[22:23], v[14:15], v[20:21]
	s_delay_alu instid0(VALU_DEP_4) | instskip(NEXT) | instid1(VALU_DEP_4)
	v_fma_f64 v[20:21], v[16:17], v[24:25], -v[42:43]
	v_fmac_f64_e32 v[26:27], v[18:19], v[24:25]
	s_delay_alu instid0(VALU_DEP_4) | instskip(NEXT) | instid1(VALU_DEP_4)
	v_add_f64_e64 v[24:25], v[8:9], -v[40:41]
	v_dual_add_f64 v[22:23], v[10:11], -v[22:23] :: v_dual_mov_b32 v8, s36
	ds_load_b128 v[8:11], v8
	s_wait_dscnt 0x0
	v_cmp_ngt_f64_e64 s39, |v[8:9]|, |v[10:11]|
	v_add_f64_e64 v[24:25], v[24:25], -v[20:21]
	v_add_f64_e64 v[26:27], v[22:23], -v[26:27]
                                        ; implicit-def: $vgpr22_vgpr23
	s_and_b32 vcc_lo, exec_lo, s39
	s_mov_b32 s39, -1
	s_cbranch_vccz .LBB218_61
; %bb.60:                               ;   in Loop: Header=BB218_48 Depth=2
	v_div_scale_f64 v[20:21], null, v[10:11], v[10:11], v[8:9]
	v_div_scale_f64 v[42:43], vcc_lo, v[8:9], v[10:11], v[8:9]
	s_mov_b32 s39, 0
	v_rcp_f64_e32 v[22:23], v[20:21]
	v_nop
	s_delay_alu instid0(TRANS32_DEP_1) | instskip(NEXT) | instid1(VALU_DEP_1)
	v_fma_f64 v[40:41], -v[20:21], v[22:23], 1.0
	v_fmac_f64_e32 v[22:23], v[22:23], v[40:41]
	s_delay_alu instid0(VALU_DEP_1) | instskip(NEXT) | instid1(VALU_DEP_1)
	v_fma_f64 v[40:41], -v[20:21], v[22:23], 1.0
	v_fmac_f64_e32 v[22:23], v[22:23], v[40:41]
	s_delay_alu instid0(VALU_DEP_1) | instskip(NEXT) | instid1(VALU_DEP_1)
	v_mul_f64_e32 v[40:41], v[42:43], v[22:23]
	v_fma_f64 v[20:21], -v[20:21], v[40:41], v[42:43]
	s_delay_alu instid0(VALU_DEP_1) | instskip(NEXT) | instid1(VALU_DEP_1)
	v_div_fmas_f64 v[20:21], v[20:21], v[22:23], v[40:41]
	v_div_fixup_f64 v[20:21], v[20:21], v[10:11], v[8:9]
	s_delay_alu instid0(VALU_DEP_1) | instskip(NEXT) | instid1(VALU_DEP_1)
	v_fma_f64 v[22:23], v[8:9], v[20:21], v[10:11]
	v_div_scale_f64 v[40:41], null, v[22:23], v[22:23], 1.0
	v_div_scale_f64 v[46:47], vcc_lo, 1.0, v[22:23], 1.0
	s_delay_alu instid0(VALU_DEP_2) | instskip(SKIP_1) | instid1(TRANS32_DEP_1)
	v_rcp_f64_e32 v[42:43], v[40:41]
	v_nop
	v_fma_f64 v[44:45], -v[40:41], v[42:43], 1.0
	s_delay_alu instid0(VALU_DEP_1) | instskip(NEXT) | instid1(VALU_DEP_1)
	v_fmac_f64_e32 v[42:43], v[42:43], v[44:45]
	v_fma_f64 v[44:45], -v[40:41], v[42:43], 1.0
	s_delay_alu instid0(VALU_DEP_1) | instskip(NEXT) | instid1(VALU_DEP_1)
	v_fmac_f64_e32 v[42:43], v[42:43], v[44:45]
	v_mul_f64_e32 v[44:45], v[46:47], v[42:43]
	s_delay_alu instid0(VALU_DEP_1) | instskip(NEXT) | instid1(VALU_DEP_1)
	v_fma_f64 v[40:41], -v[40:41], v[44:45], v[46:47]
	v_div_fmas_f64 v[40:41], v[40:41], v[42:43], v[44:45]
	v_fma_f64 v[42:43], v[20:21], v[24:25], v[26:27]
	s_delay_alu instid0(VALU_DEP_2) | instskip(SKIP_1) | instid1(VALU_DEP_2)
	v_div_fixup_f64 v[22:23], v[40:41], v[22:23], 1.0
	v_fma_f64 v[40:41], v[20:21], v[26:27], -v[24:25]
	v_mul_f64_e32 v[20:21], v[42:43], v[22:23]
	s_delay_alu instid0(VALU_DEP_2)
	v_mul_f64_e32 v[22:23], v[40:41], v[22:23]
.LBB218_61:                             ;   in Loop: Header=BB218_48 Depth=2
	s_and_not1_b32 vcc_lo, exec_lo, s39
	s_cbranch_vccnz .LBB218_63
; %bb.62:                               ;   in Loop: Header=BB218_48 Depth=2
	v_div_scale_f64 v[20:21], null, v[8:9], v[8:9], v[10:11]
	v_div_scale_f64 v[42:43], vcc_lo, v[10:11], v[8:9], v[10:11]
	s_delay_alu instid0(VALU_DEP_2) | instskip(SKIP_1) | instid1(TRANS32_DEP_1)
	v_rcp_f64_e32 v[22:23], v[20:21]
	v_nop
	v_fma_f64 v[40:41], -v[20:21], v[22:23], 1.0
	s_delay_alu instid0(VALU_DEP_1) | instskip(NEXT) | instid1(VALU_DEP_1)
	v_fmac_f64_e32 v[22:23], v[22:23], v[40:41]
	v_fma_f64 v[40:41], -v[20:21], v[22:23], 1.0
	s_delay_alu instid0(VALU_DEP_1) | instskip(NEXT) | instid1(VALU_DEP_1)
	v_fmac_f64_e32 v[22:23], v[22:23], v[40:41]
	v_mul_f64_e32 v[40:41], v[42:43], v[22:23]
	s_delay_alu instid0(VALU_DEP_1) | instskip(NEXT) | instid1(VALU_DEP_1)
	v_fma_f64 v[20:21], -v[20:21], v[40:41], v[42:43]
	v_div_fmas_f64 v[20:21], v[20:21], v[22:23], v[40:41]
	s_delay_alu instid0(VALU_DEP_1) | instskip(NEXT) | instid1(VALU_DEP_1)
	v_div_fixup_f64 v[20:21], v[20:21], v[8:9], v[10:11]
	v_fmac_f64_e32 v[8:9], v[10:11], v[20:21]
	s_delay_alu instid0(VALU_DEP_1) | instskip(SKIP_1) | instid1(VALU_DEP_2)
	v_div_scale_f64 v[10:11], null, v[8:9], v[8:9], 1.0
	v_div_scale_f64 v[42:43], vcc_lo, 1.0, v[8:9], 1.0
	v_rcp_f64_e32 v[22:23], v[10:11]
	v_nop
	s_delay_alu instid0(TRANS32_DEP_1) | instskip(NEXT) | instid1(VALU_DEP_1)
	v_fma_f64 v[40:41], -v[10:11], v[22:23], 1.0
	v_fmac_f64_e32 v[22:23], v[22:23], v[40:41]
	s_delay_alu instid0(VALU_DEP_1) | instskip(NEXT) | instid1(VALU_DEP_1)
	v_fma_f64 v[40:41], -v[10:11], v[22:23], 1.0
	v_fmac_f64_e32 v[22:23], v[22:23], v[40:41]
	s_delay_alu instid0(VALU_DEP_1) | instskip(NEXT) | instid1(VALU_DEP_1)
	v_mul_f64_e32 v[40:41], v[42:43], v[22:23]
	v_fma_f64 v[10:11], -v[10:11], v[40:41], v[42:43]
	s_delay_alu instid0(VALU_DEP_1) | instskip(SKIP_1) | instid1(VALU_DEP_2)
	v_div_fmas_f64 v[10:11], v[10:11], v[22:23], v[40:41]
	v_fma_f64 v[22:23], v[20:21], v[26:27], v[24:25]
	v_div_fixup_f64 v[8:9], v[10:11], v[8:9], 1.0
	v_fma_f64 v[10:11], -v[20:21], v[24:25], v[26:27]
	s_delay_alu instid0(VALU_DEP_2) | instskip(NEXT) | instid1(VALU_DEP_2)
	v_mul_f64_e32 v[20:21], v[22:23], v[8:9]
	v_mul_f64_e32 v[22:23], v[10:11], v[8:9]
.LBB218_63:                             ;   in Loop: Header=BB218_48 Depth=2
	s_sub_co_i32 s37, s37, 48
	s_lshl_b32 s28, s28, 4
	v_mov_b32_e32 v8, s37
	s_add_co_i32 s37, s38, s28
	s_sub_co_i32 s29, s36, s29
	v_mov_b32_e32 v24, s37
	s_add_co_i32 s28, s29, s28
	ds_load_b128 v[8:11], v8
	ds_store_b128 v38, v[20:23]
	ds_load_b128 v[24:27], v24
	s_wait_dscnt 0x2
	v_mul_f64_e32 v[40:41], v[14:15], v[10:11]
	v_mul_f64_e32 v[42:43], v[12:13], v[10:11]
	s_wait_dscnt 0x0
	v_mul_f64_e32 v[44:45], v[18:19], v[26:27]
	v_mul_f64_e32 v[26:27], v[16:17], v[26:27]
	s_delay_alu instid0(VALU_DEP_4) | instskip(NEXT) | instid1(VALU_DEP_4)
	v_fma_f64 v[40:41], v[12:13], v[8:9], -v[40:41]
	v_fmac_f64_e32 v[42:43], v[14:15], v[8:9]
	s_delay_alu instid0(VALU_DEP_4) | instskip(NEXT) | instid1(VALU_DEP_4)
	v_dual_fma_f64 v[16:17], v[16:17], v[24:25], -v[44:45] :: v_dual_mov_b32 v8, s28
	v_fmac_f64_e32 v[26:27], v[18:19], v[24:25]
	s_add_co_i32 s28, s36, 0xfffffef0
	ds_load_b128 v[12:15], v8
	v_mov_b32_e32 v8, s28
	ds_load_b128 v[8:11], v8
	s_wait_dscnt 0x1
	v_mul_f64_e32 v[46:47], v[22:23], v[14:15]
	v_mul_f64_e32 v[14:15], v[20:21], v[14:15]
	v_add_f64_e64 v[4:5], v[4:5], -v[40:41]
	v_add_f64_e64 v[6:7], v[6:7], -v[42:43]
	s_wait_dscnt 0x0
	v_cmp_ngt_f64_e64 s28, |v[8:9]|, |v[10:11]|
	v_fma_f64 v[18:19], v[20:21], v[12:13], -v[46:47]
	v_fmac_f64_e32 v[14:15], v[22:23], v[12:13]
	v_add_f64_e64 v[4:5], v[4:5], -v[16:17]
	v_add_f64_e64 v[6:7], v[6:7], -v[26:27]
	s_and_b32 vcc_lo, exec_lo, s28
	s_mov_b32 s28, -1
	s_delay_alu instid0(VALU_DEP_2) | instskip(NEXT) | instid1(VALU_DEP_2)
	v_add_f64_e64 v[12:13], v[4:5], -v[18:19]
	v_add_f64_e64 v[14:15], v[6:7], -v[14:15]
                                        ; implicit-def: $vgpr6_vgpr7
	s_cbranch_vccz .LBB218_65
; %bb.64:                               ;   in Loop: Header=BB218_48 Depth=2
	v_div_scale_f64 v[4:5], null, v[10:11], v[10:11], v[8:9]
	v_div_scale_f64 v[18:19], vcc_lo, v[8:9], v[10:11], v[8:9]
	s_mov_b32 s28, 0
	v_rcp_f64_e32 v[6:7], v[4:5]
	v_nop
	s_delay_alu instid0(TRANS32_DEP_1) | instskip(NEXT) | instid1(VALU_DEP_1)
	v_fma_f64 v[16:17], -v[4:5], v[6:7], 1.0
	v_fmac_f64_e32 v[6:7], v[6:7], v[16:17]
	s_delay_alu instid0(VALU_DEP_1) | instskip(NEXT) | instid1(VALU_DEP_1)
	v_fma_f64 v[16:17], -v[4:5], v[6:7], 1.0
	v_fmac_f64_e32 v[6:7], v[6:7], v[16:17]
	s_delay_alu instid0(VALU_DEP_1) | instskip(NEXT) | instid1(VALU_DEP_1)
	v_mul_f64_e32 v[16:17], v[18:19], v[6:7]
	v_fma_f64 v[4:5], -v[4:5], v[16:17], v[18:19]
	s_delay_alu instid0(VALU_DEP_1) | instskip(NEXT) | instid1(VALU_DEP_1)
	v_div_fmas_f64 v[4:5], v[4:5], v[6:7], v[16:17]
	v_div_fixup_f64 v[4:5], v[4:5], v[10:11], v[8:9]
	s_delay_alu instid0(VALU_DEP_1) | instskip(NEXT) | instid1(VALU_DEP_1)
	v_fma_f64 v[6:7], v[8:9], v[4:5], v[10:11]
	v_div_scale_f64 v[16:17], null, v[6:7], v[6:7], 1.0
	v_div_scale_f64 v[22:23], vcc_lo, 1.0, v[6:7], 1.0
	s_delay_alu instid0(VALU_DEP_2) | instskip(SKIP_1) | instid1(TRANS32_DEP_1)
	v_rcp_f64_e32 v[18:19], v[16:17]
	v_nop
	v_fma_f64 v[20:21], -v[16:17], v[18:19], 1.0
	s_delay_alu instid0(VALU_DEP_1) | instskip(NEXT) | instid1(VALU_DEP_1)
	v_fmac_f64_e32 v[18:19], v[18:19], v[20:21]
	v_fma_f64 v[20:21], -v[16:17], v[18:19], 1.0
	s_delay_alu instid0(VALU_DEP_1) | instskip(NEXT) | instid1(VALU_DEP_1)
	v_fmac_f64_e32 v[18:19], v[18:19], v[20:21]
	v_mul_f64_e32 v[20:21], v[22:23], v[18:19]
	s_delay_alu instid0(VALU_DEP_1) | instskip(NEXT) | instid1(VALU_DEP_1)
	v_fma_f64 v[16:17], -v[16:17], v[20:21], v[22:23]
	v_div_fmas_f64 v[16:17], v[16:17], v[18:19], v[20:21]
	v_fma_f64 v[18:19], v[4:5], v[12:13], v[14:15]
	s_delay_alu instid0(VALU_DEP_2) | instskip(SKIP_1) | instid1(VALU_DEP_2)
	v_div_fixup_f64 v[6:7], v[16:17], v[6:7], 1.0
	v_fma_f64 v[16:17], v[4:5], v[14:15], -v[12:13]
	v_mul_f64_e32 v[4:5], v[18:19], v[6:7]
	s_delay_alu instid0(VALU_DEP_2)
	v_mul_f64_e32 v[6:7], v[16:17], v[6:7]
.LBB218_65:                             ;   in Loop: Header=BB218_48 Depth=2
	s_and_not1_b32 vcc_lo, exec_lo, s28
	s_cbranch_vccnz .LBB218_67
; %bb.66:                               ;   in Loop: Header=BB218_48 Depth=2
	v_div_scale_f64 v[4:5], null, v[8:9], v[8:9], v[10:11]
	v_div_scale_f64 v[18:19], vcc_lo, v[10:11], v[8:9], v[10:11]
	s_delay_alu instid0(VALU_DEP_2) | instskip(SKIP_1) | instid1(TRANS32_DEP_1)
	v_rcp_f64_e32 v[6:7], v[4:5]
	v_nop
	v_fma_f64 v[16:17], -v[4:5], v[6:7], 1.0
	s_delay_alu instid0(VALU_DEP_1) | instskip(NEXT) | instid1(VALU_DEP_1)
	v_fmac_f64_e32 v[6:7], v[6:7], v[16:17]
	v_fma_f64 v[16:17], -v[4:5], v[6:7], 1.0
	s_delay_alu instid0(VALU_DEP_1) | instskip(NEXT) | instid1(VALU_DEP_1)
	v_fmac_f64_e32 v[6:7], v[6:7], v[16:17]
	v_mul_f64_e32 v[16:17], v[18:19], v[6:7]
	s_delay_alu instid0(VALU_DEP_1) | instskip(NEXT) | instid1(VALU_DEP_1)
	v_fma_f64 v[4:5], -v[4:5], v[16:17], v[18:19]
	v_div_fmas_f64 v[4:5], v[4:5], v[6:7], v[16:17]
	s_delay_alu instid0(VALU_DEP_1) | instskip(NEXT) | instid1(VALU_DEP_1)
	v_div_fixup_f64 v[4:5], v[4:5], v[8:9], v[10:11]
	v_fmac_f64_e32 v[8:9], v[10:11], v[4:5]
	s_delay_alu instid0(VALU_DEP_1) | instskip(SKIP_1) | instid1(VALU_DEP_2)
	v_div_scale_f64 v[6:7], null, v[8:9], v[8:9], 1.0
	v_div_scale_f64 v[18:19], vcc_lo, 1.0, v[8:9], 1.0
	v_rcp_f64_e32 v[10:11], v[6:7]
	v_nop
	s_delay_alu instid0(TRANS32_DEP_1) | instskip(NEXT) | instid1(VALU_DEP_1)
	v_fma_f64 v[16:17], -v[6:7], v[10:11], 1.0
	v_fmac_f64_e32 v[10:11], v[10:11], v[16:17]
	s_delay_alu instid0(VALU_DEP_1) | instskip(NEXT) | instid1(VALU_DEP_1)
	v_fma_f64 v[16:17], -v[6:7], v[10:11], 1.0
	v_fmac_f64_e32 v[10:11], v[10:11], v[16:17]
	s_delay_alu instid0(VALU_DEP_1) | instskip(NEXT) | instid1(VALU_DEP_1)
	v_mul_f64_e32 v[16:17], v[18:19], v[10:11]
	v_fma_f64 v[6:7], -v[6:7], v[16:17], v[18:19]
	s_delay_alu instid0(VALU_DEP_1) | instskip(SKIP_1) | instid1(VALU_DEP_2)
	v_div_fmas_f64 v[6:7], v[6:7], v[10:11], v[16:17]
	v_fma_f64 v[10:11], v[4:5], v[14:15], v[12:13]
	v_div_fixup_f64 v[6:7], v[6:7], v[8:9], 1.0
	v_fma_f64 v[8:9], -v[4:5], v[12:13], v[14:15]
	s_delay_alu instid0(VALU_DEP_2) | instskip(NEXT) | instid1(VALU_DEP_2)
	v_mul_f64_e32 v[4:5], v[10:11], v[6:7]
	v_mul_f64_e32 v[6:7], v[8:9], v[6:7]
.LBB218_67:                             ;   in Loop: Header=BB218_48 Depth=2
	s_add_co_i32 s28, s27, -4
	s_sub_co_i32 s26, s26, 64
	s_cmp_lt_i32 s27, 7
	ds_store_b128 v37, v[4:7]
	s_cbranch_scc1 .LBB218_69
; %bb.68:                               ;   in Loop: Header=BB218_48 Depth=2
	s_mov_b32 s27, s28
	s_branch .LBB218_48
.LBB218_69:                             ;   in Loop: Header=BB218_3 Depth=1
	s_cmp_lt_i32 s28, 0
	s_cbranch_scc1 .LBB218_78
; %bb.70:                               ;   in Loop: Header=BB218_3 Depth=1
	s_lshl_b32 s26, s28, 4
	s_delay_alu instid0(SALU_CYCLE_1)
	s_add_co_i32 s26, s21, s26
	s_branch .LBB218_72
.LBB218_71:                             ;   in Loop: Header=BB218_72 Depth=2
	s_add_co_i32 s27, s28, -1
	s_add_co_i32 s26, s26, -16
	s_cmp_lt_i32 s28, 1
	s_mov_b32 s28, s27
	ds_store_b128 v16, v[12:15]
	s_cbranch_scc1 .LBB218_78
.LBB218_72:                             ;   Parent Loop BB218_3 Depth=1
                                        ; =>  This Loop Header: Depth=2
                                        ;       Child Loop BB218_73 Depth 3
	s_lshl_b32 s27, s28, 8
	s_cmp_le_i32 s33, s28
	v_dual_add_nc_u32 v16, s27, v34 :: v_dual_mov_b32 v8, v29
	s_mov_b32 s29, s26
	s_mov_b32 s36, s33
	ds_load_b128 v[4:7], v16
	s_cbranch_scc1 .LBB218_74
.LBB218_73:                             ;   Parent Loop BB218_3 Depth=1
                                        ;     Parent Loop BB218_72 Depth=2
                                        ; =>    This Inner Loop Header: Depth=3
	v_mov_b32_e32 v9, s29
	s_add_co_i32 s36, s36, -1
	s_addk_co_i32 s29, 0xff00
	s_cmp_le_i32 s36, s28
	ds_load_b128 v[10:13], v8
	ds_load_b128 v[18:21], v9
	v_add_nc_u32_e32 v8, 0xffffff00, v8
	s_wait_dscnt 0x0
	v_mul_f64_e32 v[14:15], v[20:21], v[12:13]
	v_mul_f64_e32 v[12:13], v[18:19], v[12:13]
	s_delay_alu instid0(VALU_DEP_2) | instskip(NEXT) | instid1(VALU_DEP_2)
	v_fma_f64 v[14:15], v[18:19], v[10:11], -v[14:15]
	v_fmac_f64_e32 v[12:13], v[20:21], v[10:11]
	s_delay_alu instid0(VALU_DEP_2) | instskip(NEXT) | instid1(VALU_DEP_2)
	v_add_f64_e64 v[4:5], v[4:5], -v[14:15]
	v_add_f64_e64 v[6:7], v[6:7], -v[12:13]
	s_cbranch_scc0 .LBB218_73
.LBB218_74:                             ;   in Loop: Header=BB218_72 Depth=2
	s_lshl_b32 s29, s28, 4
                                        ; implicit-def: $vgpr12_vgpr13
	s_delay_alu instid0(SALU_CYCLE_1) | instskip(NEXT) | instid1(SALU_CYCLE_1)
	s_add_co_i32 s27, s29, s27
	v_mov_b32_e32 v8, s27
	ds_load_b128 v[8:11], v8
	s_wait_dscnt 0x0
	v_cmp_ngt_f64_e64 s27, |v[8:9]|, |v[10:11]|
	s_and_b32 vcc_lo, exec_lo, s27
	s_mov_b32 s27, -1
	s_cbranch_vccz .LBB218_76
; %bb.75:                               ;   in Loop: Header=BB218_72 Depth=2
	v_div_scale_f64 v[12:13], null, v[10:11], v[10:11], v[8:9]
	v_div_scale_f64 v[20:21], vcc_lo, v[8:9], v[10:11], v[8:9]
	s_mov_b32 s27, 0
	v_rcp_f64_e32 v[14:15], v[12:13]
	v_nop
	s_delay_alu instid0(TRANS32_DEP_1) | instskip(NEXT) | instid1(VALU_DEP_1)
	v_fma_f64 v[18:19], -v[12:13], v[14:15], 1.0
	v_fmac_f64_e32 v[14:15], v[14:15], v[18:19]
	s_delay_alu instid0(VALU_DEP_1) | instskip(NEXT) | instid1(VALU_DEP_1)
	v_fma_f64 v[18:19], -v[12:13], v[14:15], 1.0
	v_fmac_f64_e32 v[14:15], v[14:15], v[18:19]
	s_delay_alu instid0(VALU_DEP_1) | instskip(NEXT) | instid1(VALU_DEP_1)
	v_mul_f64_e32 v[18:19], v[20:21], v[14:15]
	v_fma_f64 v[12:13], -v[12:13], v[18:19], v[20:21]
	s_delay_alu instid0(VALU_DEP_1) | instskip(NEXT) | instid1(VALU_DEP_1)
	v_div_fmas_f64 v[12:13], v[12:13], v[14:15], v[18:19]
	v_div_fixup_f64 v[12:13], v[12:13], v[10:11], v[8:9]
	s_delay_alu instid0(VALU_DEP_1) | instskip(NEXT) | instid1(VALU_DEP_1)
	v_fma_f64 v[14:15], v[8:9], v[12:13], v[10:11]
	v_div_scale_f64 v[18:19], null, v[14:15], v[14:15], 1.0
	v_div_scale_f64 v[24:25], vcc_lo, 1.0, v[14:15], 1.0
	s_delay_alu instid0(VALU_DEP_2) | instskip(SKIP_1) | instid1(TRANS32_DEP_1)
	v_rcp_f64_e32 v[20:21], v[18:19]
	v_nop
	v_fma_f64 v[22:23], -v[18:19], v[20:21], 1.0
	s_delay_alu instid0(VALU_DEP_1) | instskip(NEXT) | instid1(VALU_DEP_1)
	v_fmac_f64_e32 v[20:21], v[20:21], v[22:23]
	v_fma_f64 v[22:23], -v[18:19], v[20:21], 1.0
	s_delay_alu instid0(VALU_DEP_1) | instskip(NEXT) | instid1(VALU_DEP_1)
	v_fmac_f64_e32 v[20:21], v[20:21], v[22:23]
	v_mul_f64_e32 v[22:23], v[24:25], v[20:21]
	s_delay_alu instid0(VALU_DEP_1) | instskip(NEXT) | instid1(VALU_DEP_1)
	v_fma_f64 v[18:19], -v[18:19], v[22:23], v[24:25]
	v_div_fmas_f64 v[18:19], v[18:19], v[20:21], v[22:23]
	v_fma_f64 v[20:21], v[4:5], v[12:13], v[6:7]
	s_delay_alu instid0(VALU_DEP_2) | instskip(SKIP_1) | instid1(VALU_DEP_2)
	v_div_fixup_f64 v[14:15], v[18:19], v[14:15], 1.0
	v_fma_f64 v[18:19], v[6:7], v[12:13], -v[4:5]
	v_mul_f64_e32 v[12:13], v[20:21], v[14:15]
	s_delay_alu instid0(VALU_DEP_2)
	v_mul_f64_e32 v[14:15], v[18:19], v[14:15]
.LBB218_76:                             ;   in Loop: Header=BB218_72 Depth=2
	s_and_not1_b32 vcc_lo, exec_lo, s27
	s_cbranch_vccnz .LBB218_71
; %bb.77:                               ;   in Loop: Header=BB218_72 Depth=2
	v_div_scale_f64 v[12:13], null, v[8:9], v[8:9], v[10:11]
	v_div_scale_f64 v[20:21], vcc_lo, v[10:11], v[8:9], v[10:11]
	s_delay_alu instid0(VALU_DEP_2) | instskip(SKIP_1) | instid1(TRANS32_DEP_1)
	v_rcp_f64_e32 v[14:15], v[12:13]
	v_nop
	v_fma_f64 v[18:19], -v[12:13], v[14:15], 1.0
	s_delay_alu instid0(VALU_DEP_1) | instskip(NEXT) | instid1(VALU_DEP_1)
	v_fmac_f64_e32 v[14:15], v[14:15], v[18:19]
	v_fma_f64 v[18:19], -v[12:13], v[14:15], 1.0
	s_delay_alu instid0(VALU_DEP_1) | instskip(NEXT) | instid1(VALU_DEP_1)
	v_fmac_f64_e32 v[14:15], v[14:15], v[18:19]
	v_mul_f64_e32 v[18:19], v[20:21], v[14:15]
	s_delay_alu instid0(VALU_DEP_1) | instskip(NEXT) | instid1(VALU_DEP_1)
	v_fma_f64 v[12:13], -v[12:13], v[18:19], v[20:21]
	v_div_fmas_f64 v[12:13], v[12:13], v[14:15], v[18:19]
	s_delay_alu instid0(VALU_DEP_1) | instskip(NEXT) | instid1(VALU_DEP_1)
	v_div_fixup_f64 v[12:13], v[12:13], v[8:9], v[10:11]
	v_fmac_f64_e32 v[8:9], v[10:11], v[12:13]
	s_delay_alu instid0(VALU_DEP_1) | instskip(SKIP_1) | instid1(VALU_DEP_2)
	v_div_scale_f64 v[10:11], null, v[8:9], v[8:9], 1.0
	v_div_scale_f64 v[20:21], vcc_lo, 1.0, v[8:9], 1.0
	v_rcp_f64_e32 v[14:15], v[10:11]
	v_nop
	s_delay_alu instid0(TRANS32_DEP_1) | instskip(NEXT) | instid1(VALU_DEP_1)
	v_fma_f64 v[18:19], -v[10:11], v[14:15], 1.0
	v_fmac_f64_e32 v[14:15], v[14:15], v[18:19]
	s_delay_alu instid0(VALU_DEP_1) | instskip(NEXT) | instid1(VALU_DEP_1)
	v_fma_f64 v[18:19], -v[10:11], v[14:15], 1.0
	v_fmac_f64_e32 v[14:15], v[14:15], v[18:19]
	s_delay_alu instid0(VALU_DEP_1) | instskip(NEXT) | instid1(VALU_DEP_1)
	v_mul_f64_e32 v[18:19], v[20:21], v[14:15]
	v_fma_f64 v[10:11], -v[10:11], v[18:19], v[20:21]
	s_delay_alu instid0(VALU_DEP_1) | instskip(SKIP_2) | instid1(VALU_DEP_3)
	v_div_fmas_f64 v[10:11], v[10:11], v[14:15], v[18:19]
	v_fma_f64 v[14:15], v[6:7], v[12:13], v[4:5]
	v_fma_f64 v[4:5], -v[4:5], v[12:13], v[6:7]
	v_div_fixup_f64 v[8:9], v[10:11], v[8:9], 1.0
	s_delay_alu instid0(VALU_DEP_1) | instskip(NEXT) | instid1(VALU_DEP_3)
	v_mul_f64_e32 v[12:13], v[14:15], v[8:9]
	v_mul_f64_e32 v[14:15], v[4:5], v[8:9]
	s_branch .LBB218_71
.LBB218_78:                             ;   in Loop: Header=BB218_3 Depth=1
	s_mov_b32 s26, 0
.LBB218_79:                             ;   in Loop: Header=BB218_3 Depth=1
	s_delay_alu instid0(SALU_CYCLE_1)
	s_and_not1_b32 vcc_lo, exec_lo, s26
	s_cbranch_vccnz .LBB218_111
; %bb.80:                               ;   in Loop: Header=BB218_3 Depth=1
	s_mov_b32 s28, s33
	s_and_not1_b32 vcc_lo, exec_lo, s34
	s_mov_b32 s26, s22
	s_mov_b32 s27, s33
	s_cbranch_vccnz .LBB218_102
.LBB218_81:                             ;   Parent Loop BB218_3 Depth=1
                                        ; =>  This Loop Header: Depth=2
                                        ;       Child Loop BB218_82 Depth 3
	s_add_co_i32 s28, s27, -1
	v_lshl_add_u32 v40, s27, 8, v34
	s_add_co_i32 s29, s27, -2
	v_lshl_add_u32 v39, s28, 8, v34
	;; [unrolled: 2-line block ×3, first 2 shown]
	v_lshl_add_u32 v37, s37, 8, v34
	ds_load_b128 v[20:23], v40
	ds_load_b128 v[16:19], v39
	;; [unrolled: 1-line block ×4, first 2 shown]
	v_mov_b32_e32 v12, v29
	s_cmp_le_i32 s33, s27
	s_mov_b32 s36, s26
	s_mov_b32 s38, s33
	s_cbranch_scc1 .LBB218_83
.LBB218_82:                             ;   Parent Loop BB218_3 Depth=1
                                        ;     Parent Loop BB218_81 Depth=2
                                        ; =>    This Inner Loop Header: Depth=3
	v_mov_b32_e32 v13, s36
	s_add_co_i32 s38, s38, -1
	s_add_co_i32 s36, s36, -16
	s_cmp_le_i32 s38, s27
	ds_load_b128 v[24:27], v12
	ds_load_b128 v[42:45], v13 offset:768
	ds_load_b128 v[46:49], v13 offset:512
	;; [unrolled: 1-line block ×3, first 2 shown]
	ds_load_b128 v[54:57], v13
	v_add_nc_u32_e32 v12, 0xffffff00, v12
	s_wait_dscnt 0x3
	v_mul_f64_e32 v[14:15], v[26:27], v[44:45]
	v_mul_f64_e32 v[44:45], v[24:25], v[44:45]
	s_wait_dscnt 0x2
	v_mul_f64_e32 v[58:59], v[26:27], v[48:49]
	v_mul_f64_e32 v[48:49], v[24:25], v[48:49]
	;; [unrolled: 3-line block ×4, first 2 shown]
	v_fma_f64 v[14:15], v[24:25], v[42:43], -v[14:15]
	v_fmac_f64_e32 v[44:45], v[26:27], v[42:43]
	v_fma_f64 v[42:43], v[24:25], v[46:47], -v[58:59]
	v_fmac_f64_e32 v[48:49], v[26:27], v[46:47]
	;; [unrolled: 2-line block ×4, first 2 shown]
	v_add_f64_e64 v[20:21], v[20:21], -v[14:15]
	v_add_f64_e64 v[22:23], v[22:23], -v[44:45]
	;; [unrolled: 1-line block ×8, first 2 shown]
	s_cbranch_scc0 .LBB218_82
.LBB218_83:                             ;   in Loop: Header=BB218_81 Depth=2
	s_lshl_b32 s38, s28, 4
	s_lshl_b32 s36, s29, 4
	;; [unrolled: 1-line block ×3, first 2 shown]
; %bb.84:                               ;   in Loop: Header=BB218_81 Depth=2
	s_mul_i32 s29, s27, 0x110
	s_delay_alu instid0(SALU_CYCLE_1)
	v_mov_b32_e32 v12, s29
	ds_load_b128 v[24:27], v12
                                        ; implicit-def: $vgpr14_vgpr15
	s_wait_dscnt 0x0
	v_cmp_ngt_f64_e64 s29, |v[24:25]|, |v[26:27]|
	s_and_b32 vcc_lo, exec_lo, s29
	s_mov_b32 s29, -1
	s_cbranch_vccz .LBB218_86
; %bb.85:                               ;   in Loop: Header=BB218_81 Depth=2
	v_div_scale_f64 v[12:13], null, v[26:27], v[26:27], v[24:25]
	v_div_scale_f64 v[44:45], vcc_lo, v[24:25], v[26:27], v[24:25]
	s_mov_b32 s29, 0
	v_rcp_f64_e32 v[14:15], v[12:13]
	v_nop
	s_delay_alu instid0(TRANS32_DEP_1) | instskip(NEXT) | instid1(VALU_DEP_1)
	v_fma_f64 v[42:43], -v[12:13], v[14:15], 1.0
	v_fmac_f64_e32 v[14:15], v[14:15], v[42:43]
	s_delay_alu instid0(VALU_DEP_1) | instskip(NEXT) | instid1(VALU_DEP_1)
	v_fma_f64 v[42:43], -v[12:13], v[14:15], 1.0
	v_fmac_f64_e32 v[14:15], v[14:15], v[42:43]
	s_delay_alu instid0(VALU_DEP_1) | instskip(NEXT) | instid1(VALU_DEP_1)
	v_mul_f64_e32 v[42:43], v[44:45], v[14:15]
	v_fma_f64 v[12:13], -v[12:13], v[42:43], v[44:45]
	s_delay_alu instid0(VALU_DEP_1) | instskip(NEXT) | instid1(VALU_DEP_1)
	v_div_fmas_f64 v[12:13], v[12:13], v[14:15], v[42:43]
	v_div_fixup_f64 v[12:13], v[12:13], v[26:27], v[24:25]
	s_delay_alu instid0(VALU_DEP_1) | instskip(NEXT) | instid1(VALU_DEP_1)
	v_fma_f64 v[14:15], v[24:25], v[12:13], v[26:27]
	v_div_scale_f64 v[42:43], null, v[14:15], v[14:15], 1.0
	v_div_scale_f64 v[48:49], vcc_lo, 1.0, v[14:15], 1.0
	s_delay_alu instid0(VALU_DEP_2) | instskip(SKIP_1) | instid1(TRANS32_DEP_1)
	v_rcp_f64_e32 v[44:45], v[42:43]
	v_nop
	v_fma_f64 v[46:47], -v[42:43], v[44:45], 1.0
	s_delay_alu instid0(VALU_DEP_1) | instskip(NEXT) | instid1(VALU_DEP_1)
	v_fmac_f64_e32 v[44:45], v[44:45], v[46:47]
	v_fma_f64 v[46:47], -v[42:43], v[44:45], 1.0
	s_delay_alu instid0(VALU_DEP_1) | instskip(NEXT) | instid1(VALU_DEP_1)
	v_fmac_f64_e32 v[44:45], v[44:45], v[46:47]
	v_mul_f64_e32 v[46:47], v[48:49], v[44:45]
	s_delay_alu instid0(VALU_DEP_1) | instskip(NEXT) | instid1(VALU_DEP_1)
	v_fma_f64 v[42:43], -v[42:43], v[46:47], v[48:49]
	v_div_fmas_f64 v[42:43], v[42:43], v[44:45], v[46:47]
	v_fma_f64 v[44:45], v[20:21], v[12:13], v[22:23]
	s_delay_alu instid0(VALU_DEP_2) | instskip(SKIP_1) | instid1(VALU_DEP_2)
	v_div_fixup_f64 v[14:15], v[42:43], v[14:15], 1.0
	v_fma_f64 v[42:43], v[22:23], v[12:13], -v[20:21]
	v_mul_f64_e32 v[12:13], v[44:45], v[14:15]
	s_delay_alu instid0(VALU_DEP_2)
	v_mul_f64_e32 v[14:15], v[42:43], v[14:15]
.LBB218_86:                             ;   in Loop: Header=BB218_81 Depth=2
	s_and_not1_b32 vcc_lo, exec_lo, s29
	s_cbranch_vccnz .LBB218_88
; %bb.87:                               ;   in Loop: Header=BB218_81 Depth=2
	v_div_scale_f64 v[12:13], null, v[24:25], v[24:25], v[26:27]
	v_div_scale_f64 v[44:45], vcc_lo, v[26:27], v[24:25], v[26:27]
	s_delay_alu instid0(VALU_DEP_2) | instskip(SKIP_1) | instid1(TRANS32_DEP_1)
	v_rcp_f64_e32 v[14:15], v[12:13]
	v_nop
	v_fma_f64 v[42:43], -v[12:13], v[14:15], 1.0
	s_delay_alu instid0(VALU_DEP_1) | instskip(NEXT) | instid1(VALU_DEP_1)
	v_fmac_f64_e32 v[14:15], v[14:15], v[42:43]
	v_fma_f64 v[42:43], -v[12:13], v[14:15], 1.0
	s_delay_alu instid0(VALU_DEP_1) | instskip(NEXT) | instid1(VALU_DEP_1)
	v_fmac_f64_e32 v[14:15], v[14:15], v[42:43]
	v_mul_f64_e32 v[42:43], v[44:45], v[14:15]
	s_delay_alu instid0(VALU_DEP_1) | instskip(NEXT) | instid1(VALU_DEP_1)
	v_fma_f64 v[12:13], -v[12:13], v[42:43], v[44:45]
	v_div_fmas_f64 v[12:13], v[12:13], v[14:15], v[42:43]
	s_delay_alu instid0(VALU_DEP_1) | instskip(NEXT) | instid1(VALU_DEP_1)
	v_div_fixup_f64 v[12:13], v[12:13], v[24:25], v[26:27]
	v_fmac_f64_e32 v[24:25], v[26:27], v[12:13]
	s_delay_alu instid0(VALU_DEP_1) | instskip(SKIP_1) | instid1(VALU_DEP_2)
	v_div_scale_f64 v[14:15], null, v[24:25], v[24:25], 1.0
	v_div_scale_f64 v[44:45], vcc_lo, 1.0, v[24:25], 1.0
	v_rcp_f64_e32 v[26:27], v[14:15]
	v_nop
	s_delay_alu instid0(TRANS32_DEP_1) | instskip(NEXT) | instid1(VALU_DEP_1)
	v_fma_f64 v[42:43], -v[14:15], v[26:27], 1.0
	v_fmac_f64_e32 v[26:27], v[26:27], v[42:43]
	s_delay_alu instid0(VALU_DEP_1) | instskip(NEXT) | instid1(VALU_DEP_1)
	v_fma_f64 v[42:43], -v[14:15], v[26:27], 1.0
	v_fmac_f64_e32 v[26:27], v[26:27], v[42:43]
	s_delay_alu instid0(VALU_DEP_1) | instskip(NEXT) | instid1(VALU_DEP_1)
	v_mul_f64_e32 v[42:43], v[44:45], v[26:27]
	v_fma_f64 v[14:15], -v[14:15], v[42:43], v[44:45]
	s_delay_alu instid0(VALU_DEP_1) | instskip(SKIP_2) | instid1(VALU_DEP_3)
	v_div_fmas_f64 v[14:15], v[14:15], v[26:27], v[42:43]
	v_fma_f64 v[26:27], v[22:23], v[12:13], v[20:21]
	v_fma_f64 v[20:21], -v[20:21], v[12:13], v[22:23]
	v_div_fixup_f64 v[14:15], v[14:15], v[24:25], 1.0
	s_delay_alu instid0(VALU_DEP_1) | instskip(NEXT) | instid1(VALU_DEP_3)
	v_mul_f64_e32 v[12:13], v[26:27], v[14:15]
	v_mul_f64_e32 v[14:15], v[20:21], v[14:15]
.LBB218_88:                             ;   in Loop: Header=BB218_81 Depth=2
	s_lshl_b32 s37, s38, 4
	s_lshl_b32 s29, s27, 4
	ds_store_b128 v40, v[12:15]
	s_add_co_i32 s39, s37, s29
	s_add_co_i32 s37, s37, s38
	v_mov_b32_e32 v20, s39
	ds_load_b128 v[24:27], v20
	s_wait_dscnt 0x0
	v_dual_mul_f64 v[42:43], v[14:15], v[26:27] :: v_dual_mov_b32 v20, s37
	v_mul_f64_e32 v[26:27], v[12:13], v[26:27]
	ds_load_b128 v[20:23], v20
	s_wait_dscnt 0x0
	v_cmp_ngt_f64_e64 s37, |v[20:21]|, |v[22:23]|
	v_fma_f64 v[42:43], v[12:13], v[24:25], -v[42:43]
	v_fmac_f64_e32 v[26:27], v[14:15], v[24:25]
	s_and_b32 vcc_lo, exec_lo, s37
	s_mov_b32 s37, -1
	s_delay_alu instid0(VALU_DEP_2) | instskip(NEXT) | instid1(VALU_DEP_2)
	v_add_f64_e64 v[24:25], v[16:17], -v[42:43]
	v_add_f64_e64 v[26:27], v[18:19], -v[26:27]
                                        ; implicit-def: $vgpr18_vgpr19
	s_cbranch_vccz .LBB218_90
; %bb.89:                               ;   in Loop: Header=BB218_81 Depth=2
	v_div_scale_f64 v[16:17], null, v[22:23], v[22:23], v[20:21]
	v_div_scale_f64 v[42:43], vcc_lo, v[20:21], v[22:23], v[20:21]
	s_mov_b32 s37, 0
	v_rcp_f64_e32 v[18:19], v[16:17]
	v_nop
	s_delay_alu instid0(TRANS32_DEP_1) | instskip(NEXT) | instid1(VALU_DEP_1)
	v_fma_f64 v[40:41], -v[16:17], v[18:19], 1.0
	v_fmac_f64_e32 v[18:19], v[18:19], v[40:41]
	s_delay_alu instid0(VALU_DEP_1) | instskip(NEXT) | instid1(VALU_DEP_1)
	v_fma_f64 v[40:41], -v[16:17], v[18:19], 1.0
	v_fmac_f64_e32 v[18:19], v[18:19], v[40:41]
	s_delay_alu instid0(VALU_DEP_1) | instskip(NEXT) | instid1(VALU_DEP_1)
	v_mul_f64_e32 v[40:41], v[42:43], v[18:19]
	v_fma_f64 v[16:17], -v[16:17], v[40:41], v[42:43]
	s_delay_alu instid0(VALU_DEP_1) | instskip(NEXT) | instid1(VALU_DEP_1)
	v_div_fmas_f64 v[16:17], v[16:17], v[18:19], v[40:41]
	v_div_fixup_f64 v[16:17], v[16:17], v[22:23], v[20:21]
	s_delay_alu instid0(VALU_DEP_1) | instskip(NEXT) | instid1(VALU_DEP_1)
	v_fma_f64 v[18:19], v[20:21], v[16:17], v[22:23]
	v_div_scale_f64 v[40:41], null, v[18:19], v[18:19], 1.0
	v_div_scale_f64 v[46:47], vcc_lo, 1.0, v[18:19], 1.0
	s_delay_alu instid0(VALU_DEP_2) | instskip(SKIP_1) | instid1(TRANS32_DEP_1)
	v_rcp_f64_e32 v[42:43], v[40:41]
	v_nop
	v_fma_f64 v[44:45], -v[40:41], v[42:43], 1.0
	s_delay_alu instid0(VALU_DEP_1) | instskip(NEXT) | instid1(VALU_DEP_1)
	v_fmac_f64_e32 v[42:43], v[42:43], v[44:45]
	v_fma_f64 v[44:45], -v[40:41], v[42:43], 1.0
	s_delay_alu instid0(VALU_DEP_1) | instskip(NEXT) | instid1(VALU_DEP_1)
	v_fmac_f64_e32 v[42:43], v[42:43], v[44:45]
	v_mul_f64_e32 v[44:45], v[46:47], v[42:43]
	s_delay_alu instid0(VALU_DEP_1) | instskip(NEXT) | instid1(VALU_DEP_1)
	v_fma_f64 v[40:41], -v[40:41], v[44:45], v[46:47]
	v_div_fmas_f64 v[40:41], v[40:41], v[42:43], v[44:45]
	v_fma_f64 v[42:43], v[16:17], v[24:25], v[26:27]
	s_delay_alu instid0(VALU_DEP_2) | instskip(SKIP_1) | instid1(VALU_DEP_2)
	v_div_fixup_f64 v[18:19], v[40:41], v[18:19], 1.0
	v_fma_f64 v[40:41], v[16:17], v[26:27], -v[24:25]
	v_mul_f64_e32 v[16:17], v[42:43], v[18:19]
	s_delay_alu instid0(VALU_DEP_2)
	v_mul_f64_e32 v[18:19], v[40:41], v[18:19]
.LBB218_90:                             ;   in Loop: Header=BB218_81 Depth=2
	s_and_not1_b32 vcc_lo, exec_lo, s37
	s_cbranch_vccnz .LBB218_92
; %bb.91:                               ;   in Loop: Header=BB218_81 Depth=2
	v_div_scale_f64 v[16:17], null, v[20:21], v[20:21], v[22:23]
	v_div_scale_f64 v[42:43], vcc_lo, v[22:23], v[20:21], v[22:23]
	s_delay_alu instid0(VALU_DEP_2) | instskip(SKIP_1) | instid1(TRANS32_DEP_1)
	v_rcp_f64_e32 v[18:19], v[16:17]
	v_nop
	v_fma_f64 v[40:41], -v[16:17], v[18:19], 1.0
	s_delay_alu instid0(VALU_DEP_1) | instskip(NEXT) | instid1(VALU_DEP_1)
	v_fmac_f64_e32 v[18:19], v[18:19], v[40:41]
	v_fma_f64 v[40:41], -v[16:17], v[18:19], 1.0
	s_delay_alu instid0(VALU_DEP_1) | instskip(NEXT) | instid1(VALU_DEP_1)
	v_fmac_f64_e32 v[18:19], v[18:19], v[40:41]
	v_mul_f64_e32 v[40:41], v[42:43], v[18:19]
	s_delay_alu instid0(VALU_DEP_1) | instskip(NEXT) | instid1(VALU_DEP_1)
	v_fma_f64 v[16:17], -v[16:17], v[40:41], v[42:43]
	v_div_fmas_f64 v[16:17], v[16:17], v[18:19], v[40:41]
	s_delay_alu instid0(VALU_DEP_1) | instskip(NEXT) | instid1(VALU_DEP_1)
	v_div_fixup_f64 v[16:17], v[16:17], v[20:21], v[22:23]
	v_fmac_f64_e32 v[20:21], v[22:23], v[16:17]
	s_delay_alu instid0(VALU_DEP_1) | instskip(SKIP_1) | instid1(VALU_DEP_2)
	v_div_scale_f64 v[18:19], null, v[20:21], v[20:21], 1.0
	v_div_scale_f64 v[42:43], vcc_lo, 1.0, v[20:21], 1.0
	v_rcp_f64_e32 v[22:23], v[18:19]
	v_nop
	s_delay_alu instid0(TRANS32_DEP_1) | instskip(NEXT) | instid1(VALU_DEP_1)
	v_fma_f64 v[40:41], -v[18:19], v[22:23], 1.0
	v_fmac_f64_e32 v[22:23], v[22:23], v[40:41]
	s_delay_alu instid0(VALU_DEP_1) | instskip(NEXT) | instid1(VALU_DEP_1)
	v_fma_f64 v[40:41], -v[18:19], v[22:23], 1.0
	v_fmac_f64_e32 v[22:23], v[22:23], v[40:41]
	s_delay_alu instid0(VALU_DEP_1) | instskip(NEXT) | instid1(VALU_DEP_1)
	v_mul_f64_e32 v[40:41], v[42:43], v[22:23]
	v_fma_f64 v[18:19], -v[18:19], v[40:41], v[42:43]
	s_delay_alu instid0(VALU_DEP_1) | instskip(SKIP_1) | instid1(VALU_DEP_2)
	v_div_fmas_f64 v[18:19], v[18:19], v[22:23], v[40:41]
	v_fma_f64 v[22:23], v[16:17], v[26:27], v[24:25]
	v_div_fixup_f64 v[18:19], v[18:19], v[20:21], 1.0
	v_fma_f64 v[20:21], -v[16:17], v[24:25], v[26:27]
	s_delay_alu instid0(VALU_DEP_2) | instskip(NEXT) | instid1(VALU_DEP_2)
	v_mul_f64_e32 v[16:17], v[22:23], v[18:19]
	v_mul_f64_e32 v[18:19], v[20:21], v[18:19]
.LBB218_92:                             ;   in Loop: Header=BB218_81 Depth=2
	s_lshl_b32 s37, s36, 4
	ds_store_b128 v39, v[16:19]
	s_add_co_i32 s38, s37, s29
	s_add_co_i32 s36, s37, s36
	v_mov_b32_e32 v20, s38
	s_add_co_i32 s38, s38, -16
	s_delay_alu instid0(SALU_CYCLE_1)
	v_mov_b32_e32 v24, s38
	ds_load_b128 v[20:23], v20
	ds_load_b128 v[24:27], v24
	s_wait_dscnt 0x1
	v_mul_f64_e32 v[40:41], v[14:15], v[22:23]
	v_mul_f64_e32 v[22:23], v[12:13], v[22:23]
	s_wait_dscnt 0x0
	v_mul_f64_e32 v[42:43], v[18:19], v[26:27]
	v_mul_f64_e32 v[26:27], v[16:17], v[26:27]
	s_delay_alu instid0(VALU_DEP_4) | instskip(NEXT) | instid1(VALU_DEP_4)
	v_fma_f64 v[40:41], v[12:13], v[20:21], -v[40:41]
	v_fmac_f64_e32 v[22:23], v[14:15], v[20:21]
	s_delay_alu instid0(VALU_DEP_4) | instskip(NEXT) | instid1(VALU_DEP_4)
	v_fma_f64 v[20:21], v[16:17], v[24:25], -v[42:43]
	v_fmac_f64_e32 v[26:27], v[18:19], v[24:25]
	s_delay_alu instid0(VALU_DEP_4) | instskip(NEXT) | instid1(VALU_DEP_4)
	v_add_f64_e64 v[24:25], v[8:9], -v[40:41]
	v_dual_add_f64 v[22:23], v[10:11], -v[22:23] :: v_dual_mov_b32 v8, s36
	ds_load_b128 v[8:11], v8
	s_wait_dscnt 0x0
	v_cmp_ngt_f64_e64 s36, |v[8:9]|, |v[10:11]|
	v_add_f64_e64 v[24:25], v[24:25], -v[20:21]
	v_add_f64_e64 v[26:27], v[22:23], -v[26:27]
                                        ; implicit-def: $vgpr22_vgpr23
	s_and_b32 vcc_lo, exec_lo, s36
	s_mov_b32 s36, -1
	s_cbranch_vccz .LBB218_94
; %bb.93:                               ;   in Loop: Header=BB218_81 Depth=2
	v_div_scale_f64 v[20:21], null, v[10:11], v[10:11], v[8:9]
	v_div_scale_f64 v[42:43], vcc_lo, v[8:9], v[10:11], v[8:9]
	s_mov_b32 s36, 0
	v_rcp_f64_e32 v[22:23], v[20:21]
	v_nop
	s_delay_alu instid0(TRANS32_DEP_1) | instskip(NEXT) | instid1(VALU_DEP_1)
	v_fma_f64 v[40:41], -v[20:21], v[22:23], 1.0
	v_fmac_f64_e32 v[22:23], v[22:23], v[40:41]
	s_delay_alu instid0(VALU_DEP_1) | instskip(NEXT) | instid1(VALU_DEP_1)
	v_fma_f64 v[40:41], -v[20:21], v[22:23], 1.0
	v_fmac_f64_e32 v[22:23], v[22:23], v[40:41]
	s_delay_alu instid0(VALU_DEP_1) | instskip(NEXT) | instid1(VALU_DEP_1)
	v_mul_f64_e32 v[40:41], v[42:43], v[22:23]
	v_fma_f64 v[20:21], -v[20:21], v[40:41], v[42:43]
	s_delay_alu instid0(VALU_DEP_1) | instskip(NEXT) | instid1(VALU_DEP_1)
	v_div_fmas_f64 v[20:21], v[20:21], v[22:23], v[40:41]
	v_div_fixup_f64 v[20:21], v[20:21], v[10:11], v[8:9]
	s_delay_alu instid0(VALU_DEP_1) | instskip(NEXT) | instid1(VALU_DEP_1)
	v_fma_f64 v[22:23], v[8:9], v[20:21], v[10:11]
	v_div_scale_f64 v[40:41], null, v[22:23], v[22:23], 1.0
	v_div_scale_f64 v[46:47], vcc_lo, 1.0, v[22:23], 1.0
	s_delay_alu instid0(VALU_DEP_2) | instskip(SKIP_1) | instid1(TRANS32_DEP_1)
	v_rcp_f64_e32 v[42:43], v[40:41]
	v_nop
	v_fma_f64 v[44:45], -v[40:41], v[42:43], 1.0
	s_delay_alu instid0(VALU_DEP_1) | instskip(NEXT) | instid1(VALU_DEP_1)
	v_fmac_f64_e32 v[42:43], v[42:43], v[44:45]
	v_fma_f64 v[44:45], -v[40:41], v[42:43], 1.0
	s_delay_alu instid0(VALU_DEP_1) | instskip(NEXT) | instid1(VALU_DEP_1)
	v_fmac_f64_e32 v[42:43], v[42:43], v[44:45]
	v_mul_f64_e32 v[44:45], v[46:47], v[42:43]
	s_delay_alu instid0(VALU_DEP_1) | instskip(NEXT) | instid1(VALU_DEP_1)
	v_fma_f64 v[40:41], -v[40:41], v[44:45], v[46:47]
	v_div_fmas_f64 v[40:41], v[40:41], v[42:43], v[44:45]
	v_fma_f64 v[42:43], v[20:21], v[24:25], v[26:27]
	s_delay_alu instid0(VALU_DEP_2) | instskip(SKIP_1) | instid1(VALU_DEP_2)
	v_div_fixup_f64 v[22:23], v[40:41], v[22:23], 1.0
	v_fma_f64 v[40:41], v[20:21], v[26:27], -v[24:25]
	v_mul_f64_e32 v[20:21], v[42:43], v[22:23]
	s_delay_alu instid0(VALU_DEP_2)
	v_mul_f64_e32 v[22:23], v[40:41], v[22:23]
.LBB218_94:                             ;   in Loop: Header=BB218_81 Depth=2
	s_and_not1_b32 vcc_lo, exec_lo, s36
	s_cbranch_vccnz .LBB218_96
; %bb.95:                               ;   in Loop: Header=BB218_81 Depth=2
	v_div_scale_f64 v[20:21], null, v[8:9], v[8:9], v[10:11]
	v_div_scale_f64 v[42:43], vcc_lo, v[10:11], v[8:9], v[10:11]
	s_delay_alu instid0(VALU_DEP_2) | instskip(SKIP_1) | instid1(TRANS32_DEP_1)
	v_rcp_f64_e32 v[22:23], v[20:21]
	v_nop
	v_fma_f64 v[40:41], -v[20:21], v[22:23], 1.0
	s_delay_alu instid0(VALU_DEP_1) | instskip(NEXT) | instid1(VALU_DEP_1)
	v_fmac_f64_e32 v[22:23], v[22:23], v[40:41]
	v_fma_f64 v[40:41], -v[20:21], v[22:23], 1.0
	s_delay_alu instid0(VALU_DEP_1) | instskip(NEXT) | instid1(VALU_DEP_1)
	v_fmac_f64_e32 v[22:23], v[22:23], v[40:41]
	v_mul_f64_e32 v[40:41], v[42:43], v[22:23]
	s_delay_alu instid0(VALU_DEP_1) | instskip(NEXT) | instid1(VALU_DEP_1)
	v_fma_f64 v[20:21], -v[20:21], v[40:41], v[42:43]
	v_div_fmas_f64 v[20:21], v[20:21], v[22:23], v[40:41]
	s_delay_alu instid0(VALU_DEP_1) | instskip(NEXT) | instid1(VALU_DEP_1)
	v_div_fixup_f64 v[20:21], v[20:21], v[8:9], v[10:11]
	v_fmac_f64_e32 v[8:9], v[10:11], v[20:21]
	s_delay_alu instid0(VALU_DEP_1) | instskip(SKIP_1) | instid1(VALU_DEP_2)
	v_div_scale_f64 v[10:11], null, v[8:9], v[8:9], 1.0
	v_div_scale_f64 v[42:43], vcc_lo, 1.0, v[8:9], 1.0
	v_rcp_f64_e32 v[22:23], v[10:11]
	v_nop
	s_delay_alu instid0(TRANS32_DEP_1) | instskip(NEXT) | instid1(VALU_DEP_1)
	v_fma_f64 v[40:41], -v[10:11], v[22:23], 1.0
	v_fmac_f64_e32 v[22:23], v[22:23], v[40:41]
	s_delay_alu instid0(VALU_DEP_1) | instskip(NEXT) | instid1(VALU_DEP_1)
	v_fma_f64 v[40:41], -v[10:11], v[22:23], 1.0
	v_fmac_f64_e32 v[22:23], v[22:23], v[40:41]
	s_delay_alu instid0(VALU_DEP_1) | instskip(NEXT) | instid1(VALU_DEP_1)
	v_mul_f64_e32 v[40:41], v[42:43], v[22:23]
	v_fma_f64 v[10:11], -v[10:11], v[40:41], v[42:43]
	s_delay_alu instid0(VALU_DEP_1) | instskip(SKIP_1) | instid1(VALU_DEP_2)
	v_div_fmas_f64 v[10:11], v[10:11], v[22:23], v[40:41]
	v_fma_f64 v[22:23], v[20:21], v[26:27], v[24:25]
	v_div_fixup_f64 v[8:9], v[10:11], v[8:9], 1.0
	v_fma_f64 v[10:11], -v[20:21], v[24:25], v[26:27]
	s_delay_alu instid0(VALU_DEP_2) | instskip(NEXT) | instid1(VALU_DEP_2)
	v_mul_f64_e32 v[20:21], v[22:23], v[8:9]
	v_mul_f64_e32 v[22:23], v[10:11], v[8:9]
.LBB218_96:                             ;   in Loop: Header=BB218_81 Depth=2
	s_lshl_b32 s36, s28, 4
	ds_store_b128 v38, v[20:23]
	s_add_co_i32 s29, s36, s29
	s_add_co_i32 s28, s36, s28
	s_add_co_i32 s37, s29, -16
	s_delay_alu instid0(SALU_CYCLE_1)
	v_dual_mov_b32 v8, s29 :: v_dual_mov_b32 v24, s37
	s_sub_co_i32 s29, s29, 32
	ds_load_b128 v[8:11], v8
	ds_load_b128 v[24:27], v24
	s_wait_dscnt 0x1
	v_mul_f64_e32 v[40:41], v[14:15], v[10:11]
	v_mul_f64_e32 v[42:43], v[12:13], v[10:11]
	s_wait_dscnt 0x0
	v_mul_f64_e32 v[44:45], v[18:19], v[26:27]
	v_mul_f64_e32 v[26:27], v[16:17], v[26:27]
	s_delay_alu instid0(VALU_DEP_4) | instskip(NEXT) | instid1(VALU_DEP_4)
	v_fma_f64 v[40:41], v[12:13], v[8:9], -v[40:41]
	v_fmac_f64_e32 v[42:43], v[14:15], v[8:9]
	s_delay_alu instid0(VALU_DEP_4) | instskip(NEXT) | instid1(VALU_DEP_4)
	v_dual_fma_f64 v[16:17], v[16:17], v[24:25], -v[44:45] :: v_dual_mov_b32 v8, s29
	v_fmac_f64_e32 v[26:27], v[18:19], v[24:25]
	ds_load_b128 v[12:15], v8
	v_mov_b32_e32 v8, s28
	ds_load_b128 v[8:11], v8
	s_wait_dscnt 0x1
	v_mul_f64_e32 v[46:47], v[22:23], v[14:15]
	v_mul_f64_e32 v[14:15], v[20:21], v[14:15]
	v_add_f64_e64 v[4:5], v[4:5], -v[40:41]
	v_add_f64_e64 v[6:7], v[6:7], -v[42:43]
	s_wait_dscnt 0x0
	v_cmp_ngt_f64_e64 s28, |v[8:9]|, |v[10:11]|
	v_fma_f64 v[18:19], v[20:21], v[12:13], -v[46:47]
	v_fmac_f64_e32 v[14:15], v[22:23], v[12:13]
	v_add_f64_e64 v[4:5], v[4:5], -v[16:17]
	v_add_f64_e64 v[6:7], v[6:7], -v[26:27]
	s_and_b32 vcc_lo, exec_lo, s28
	s_mov_b32 s28, -1
	s_delay_alu instid0(VALU_DEP_2) | instskip(NEXT) | instid1(VALU_DEP_2)
	v_add_f64_e64 v[12:13], v[4:5], -v[18:19]
	v_add_f64_e64 v[14:15], v[6:7], -v[14:15]
                                        ; implicit-def: $vgpr6_vgpr7
	s_cbranch_vccz .LBB218_98
; %bb.97:                               ;   in Loop: Header=BB218_81 Depth=2
	v_div_scale_f64 v[4:5], null, v[10:11], v[10:11], v[8:9]
	v_div_scale_f64 v[18:19], vcc_lo, v[8:9], v[10:11], v[8:9]
	s_mov_b32 s28, 0
	v_rcp_f64_e32 v[6:7], v[4:5]
	v_nop
	s_delay_alu instid0(TRANS32_DEP_1) | instskip(NEXT) | instid1(VALU_DEP_1)
	v_fma_f64 v[16:17], -v[4:5], v[6:7], 1.0
	v_fmac_f64_e32 v[6:7], v[6:7], v[16:17]
	s_delay_alu instid0(VALU_DEP_1) | instskip(NEXT) | instid1(VALU_DEP_1)
	v_fma_f64 v[16:17], -v[4:5], v[6:7], 1.0
	v_fmac_f64_e32 v[6:7], v[6:7], v[16:17]
	s_delay_alu instid0(VALU_DEP_1) | instskip(NEXT) | instid1(VALU_DEP_1)
	v_mul_f64_e32 v[16:17], v[18:19], v[6:7]
	v_fma_f64 v[4:5], -v[4:5], v[16:17], v[18:19]
	s_delay_alu instid0(VALU_DEP_1) | instskip(NEXT) | instid1(VALU_DEP_1)
	v_div_fmas_f64 v[4:5], v[4:5], v[6:7], v[16:17]
	v_div_fixup_f64 v[4:5], v[4:5], v[10:11], v[8:9]
	s_delay_alu instid0(VALU_DEP_1) | instskip(NEXT) | instid1(VALU_DEP_1)
	v_fma_f64 v[6:7], v[8:9], v[4:5], v[10:11]
	v_div_scale_f64 v[16:17], null, v[6:7], v[6:7], 1.0
	v_div_scale_f64 v[22:23], vcc_lo, 1.0, v[6:7], 1.0
	s_delay_alu instid0(VALU_DEP_2) | instskip(SKIP_1) | instid1(TRANS32_DEP_1)
	v_rcp_f64_e32 v[18:19], v[16:17]
	v_nop
	v_fma_f64 v[20:21], -v[16:17], v[18:19], 1.0
	s_delay_alu instid0(VALU_DEP_1) | instskip(NEXT) | instid1(VALU_DEP_1)
	v_fmac_f64_e32 v[18:19], v[18:19], v[20:21]
	v_fma_f64 v[20:21], -v[16:17], v[18:19], 1.0
	s_delay_alu instid0(VALU_DEP_1) | instskip(NEXT) | instid1(VALU_DEP_1)
	v_fmac_f64_e32 v[18:19], v[18:19], v[20:21]
	v_mul_f64_e32 v[20:21], v[22:23], v[18:19]
	s_delay_alu instid0(VALU_DEP_1) | instskip(NEXT) | instid1(VALU_DEP_1)
	v_fma_f64 v[16:17], -v[16:17], v[20:21], v[22:23]
	v_div_fmas_f64 v[16:17], v[16:17], v[18:19], v[20:21]
	v_fma_f64 v[18:19], v[4:5], v[12:13], v[14:15]
	s_delay_alu instid0(VALU_DEP_2) | instskip(SKIP_1) | instid1(VALU_DEP_2)
	v_div_fixup_f64 v[6:7], v[16:17], v[6:7], 1.0
	v_fma_f64 v[16:17], v[4:5], v[14:15], -v[12:13]
	v_mul_f64_e32 v[4:5], v[18:19], v[6:7]
	s_delay_alu instid0(VALU_DEP_2)
	v_mul_f64_e32 v[6:7], v[16:17], v[6:7]
.LBB218_98:                             ;   in Loop: Header=BB218_81 Depth=2
	s_and_not1_b32 vcc_lo, exec_lo, s28
	s_cbranch_vccnz .LBB218_100
; %bb.99:                               ;   in Loop: Header=BB218_81 Depth=2
	v_div_scale_f64 v[4:5], null, v[8:9], v[8:9], v[10:11]
	v_div_scale_f64 v[18:19], vcc_lo, v[10:11], v[8:9], v[10:11]
	s_delay_alu instid0(VALU_DEP_2) | instskip(SKIP_1) | instid1(TRANS32_DEP_1)
	v_rcp_f64_e32 v[6:7], v[4:5]
	v_nop
	v_fma_f64 v[16:17], -v[4:5], v[6:7], 1.0
	s_delay_alu instid0(VALU_DEP_1) | instskip(NEXT) | instid1(VALU_DEP_1)
	v_fmac_f64_e32 v[6:7], v[6:7], v[16:17]
	v_fma_f64 v[16:17], -v[4:5], v[6:7], 1.0
	s_delay_alu instid0(VALU_DEP_1) | instskip(NEXT) | instid1(VALU_DEP_1)
	v_fmac_f64_e32 v[6:7], v[6:7], v[16:17]
	v_mul_f64_e32 v[16:17], v[18:19], v[6:7]
	s_delay_alu instid0(VALU_DEP_1) | instskip(NEXT) | instid1(VALU_DEP_1)
	v_fma_f64 v[4:5], -v[4:5], v[16:17], v[18:19]
	v_div_fmas_f64 v[4:5], v[4:5], v[6:7], v[16:17]
	s_delay_alu instid0(VALU_DEP_1) | instskip(NEXT) | instid1(VALU_DEP_1)
	v_div_fixup_f64 v[4:5], v[4:5], v[8:9], v[10:11]
	v_fmac_f64_e32 v[8:9], v[10:11], v[4:5]
	s_delay_alu instid0(VALU_DEP_1) | instskip(SKIP_1) | instid1(VALU_DEP_2)
	v_div_scale_f64 v[6:7], null, v[8:9], v[8:9], 1.0
	v_div_scale_f64 v[18:19], vcc_lo, 1.0, v[8:9], 1.0
	v_rcp_f64_e32 v[10:11], v[6:7]
	v_nop
	s_delay_alu instid0(TRANS32_DEP_1) | instskip(NEXT) | instid1(VALU_DEP_1)
	v_fma_f64 v[16:17], -v[6:7], v[10:11], 1.0
	v_fmac_f64_e32 v[10:11], v[10:11], v[16:17]
	s_delay_alu instid0(VALU_DEP_1) | instskip(NEXT) | instid1(VALU_DEP_1)
	v_fma_f64 v[16:17], -v[6:7], v[10:11], 1.0
	v_fmac_f64_e32 v[10:11], v[10:11], v[16:17]
	s_delay_alu instid0(VALU_DEP_1) | instskip(NEXT) | instid1(VALU_DEP_1)
	v_mul_f64_e32 v[16:17], v[18:19], v[10:11]
	v_fma_f64 v[6:7], -v[6:7], v[16:17], v[18:19]
	s_delay_alu instid0(VALU_DEP_1) | instskip(SKIP_1) | instid1(VALU_DEP_2)
	v_div_fmas_f64 v[6:7], v[6:7], v[10:11], v[16:17]
	v_fma_f64 v[10:11], v[4:5], v[14:15], v[12:13]
	v_div_fixup_f64 v[6:7], v[6:7], v[8:9], 1.0
	v_fma_f64 v[8:9], -v[4:5], v[12:13], v[14:15]
	s_delay_alu instid0(VALU_DEP_2) | instskip(NEXT) | instid1(VALU_DEP_2)
	v_mul_f64_e32 v[4:5], v[10:11], v[6:7]
	v_mul_f64_e32 v[6:7], v[8:9], v[6:7]
.LBB218_100:                            ;   in Loop: Header=BB218_81 Depth=2
	s_add_co_i32 s28, s27, -4
	s_addk_co_i32 s26, 0xfc00
	s_cmp_lt_i32 s27, 7
	ds_store_b128 v37, v[4:7]
	s_cbranch_scc1 .LBB218_102
; %bb.101:                              ;   in Loop: Header=BB218_81 Depth=2
	s_mov_b32 s27, s28
	s_branch .LBB218_81
.LBB218_102:                            ;   in Loop: Header=BB218_3 Depth=1
	s_cmp_lt_i32 s28, 0
	s_cbranch_scc1 .LBB218_111
; %bb.103:                              ;   in Loop: Header=BB218_3 Depth=1
	s_lshl_b32 s26, s28, 8
	s_delay_alu instid0(SALU_CYCLE_1)
	s_add_co_i32 s26, s23, s26
	s_branch .LBB218_105
.LBB218_104:                            ;   in Loop: Header=BB218_105 Depth=2
	v_sub_co_u32 v4, s27, s28, 1
	s_and_b32 vcc_lo, exec_lo, s27
	s_addk_co_i32 s26, 0xff00
	ds_store_b128 v16, v[12:15]
	v_readfirstlane_b32 s28, v4
	s_cbranch_vccnz .LBB218_111
.LBB218_105:                            ;   Parent Loop BB218_3 Depth=1
                                        ; =>  This Loop Header: Depth=2
                                        ;       Child Loop BB218_106 Depth 3
	v_lshl_add_u32 v16, s28, 8, v34
	v_mov_b32_e32 v8, v29
	s_cmp_le_i32 s33, s28
	s_mov_b32 s27, s26
	s_mov_b32 s29, s33
	ds_load_b128 v[4:7], v16
	s_cbranch_scc1 .LBB218_107
.LBB218_106:                            ;   Parent Loop BB218_3 Depth=1
                                        ;     Parent Loop BB218_105 Depth=2
                                        ; =>    This Inner Loop Header: Depth=3
	v_mov_b32_e32 v9, s27
	s_add_co_i32 s29, s29, -1
	s_add_co_i32 s27, s27, -16
	s_cmp_le_u32 s29, s28
	ds_load_b128 v[10:13], v8
	ds_load_b128 v[18:21], v9
	v_add_nc_u32_e32 v8, 0xffffff00, v8
	s_wait_dscnt 0x0
	v_mul_f64_e32 v[14:15], v[20:21], v[12:13]
	v_mul_f64_e32 v[12:13], v[18:19], v[12:13]
	s_delay_alu instid0(VALU_DEP_2) | instskip(NEXT) | instid1(VALU_DEP_2)
	v_fma_f64 v[14:15], v[18:19], v[10:11], -v[14:15]
	v_fmac_f64_e32 v[12:13], v[20:21], v[10:11]
	s_delay_alu instid0(VALU_DEP_2) | instskip(NEXT) | instid1(VALU_DEP_2)
	v_add_f64_e64 v[4:5], v[4:5], -v[14:15]
	v_add_f64_e64 v[6:7], v[6:7], -v[12:13]
	s_cbranch_scc0 .LBB218_106
.LBB218_107:                            ;   in Loop: Header=BB218_105 Depth=2
	s_mul_i32 s27, s28, 0x110
                                        ; implicit-def: $vgpr12_vgpr13
	s_delay_alu instid0(SALU_CYCLE_1)
	v_mov_b32_e32 v8, s27
	ds_load_b128 v[8:11], v8
	s_wait_dscnt 0x0
	v_cmp_ngt_f64_e64 s27, |v[8:9]|, |v[10:11]|
	s_and_b32 vcc_lo, exec_lo, s27
	s_mov_b32 s27, -1
	s_cbranch_vccz .LBB218_109
; %bb.108:                              ;   in Loop: Header=BB218_105 Depth=2
	v_div_scale_f64 v[12:13], null, v[10:11], v[10:11], v[8:9]
	v_div_scale_f64 v[20:21], vcc_lo, v[8:9], v[10:11], v[8:9]
	s_mov_b32 s27, 0
	v_rcp_f64_e32 v[14:15], v[12:13]
	v_nop
	s_delay_alu instid0(TRANS32_DEP_1) | instskip(NEXT) | instid1(VALU_DEP_1)
	v_fma_f64 v[18:19], -v[12:13], v[14:15], 1.0
	v_fmac_f64_e32 v[14:15], v[14:15], v[18:19]
	s_delay_alu instid0(VALU_DEP_1) | instskip(NEXT) | instid1(VALU_DEP_1)
	v_fma_f64 v[18:19], -v[12:13], v[14:15], 1.0
	v_fmac_f64_e32 v[14:15], v[14:15], v[18:19]
	s_delay_alu instid0(VALU_DEP_1) | instskip(NEXT) | instid1(VALU_DEP_1)
	v_mul_f64_e32 v[18:19], v[20:21], v[14:15]
	v_fma_f64 v[12:13], -v[12:13], v[18:19], v[20:21]
	s_delay_alu instid0(VALU_DEP_1) | instskip(NEXT) | instid1(VALU_DEP_1)
	v_div_fmas_f64 v[12:13], v[12:13], v[14:15], v[18:19]
	v_div_fixup_f64 v[12:13], v[12:13], v[10:11], v[8:9]
	s_delay_alu instid0(VALU_DEP_1) | instskip(NEXT) | instid1(VALU_DEP_1)
	v_fma_f64 v[14:15], v[8:9], v[12:13], v[10:11]
	v_div_scale_f64 v[18:19], null, v[14:15], v[14:15], 1.0
	v_div_scale_f64 v[24:25], vcc_lo, 1.0, v[14:15], 1.0
	s_delay_alu instid0(VALU_DEP_2) | instskip(SKIP_1) | instid1(TRANS32_DEP_1)
	v_rcp_f64_e32 v[20:21], v[18:19]
	v_nop
	v_fma_f64 v[22:23], -v[18:19], v[20:21], 1.0
	s_delay_alu instid0(VALU_DEP_1) | instskip(NEXT) | instid1(VALU_DEP_1)
	v_fmac_f64_e32 v[20:21], v[20:21], v[22:23]
	v_fma_f64 v[22:23], -v[18:19], v[20:21], 1.0
	s_delay_alu instid0(VALU_DEP_1) | instskip(NEXT) | instid1(VALU_DEP_1)
	v_fmac_f64_e32 v[20:21], v[20:21], v[22:23]
	v_mul_f64_e32 v[22:23], v[24:25], v[20:21]
	s_delay_alu instid0(VALU_DEP_1) | instskip(NEXT) | instid1(VALU_DEP_1)
	v_fma_f64 v[18:19], -v[18:19], v[22:23], v[24:25]
	v_div_fmas_f64 v[18:19], v[18:19], v[20:21], v[22:23]
	v_fma_f64 v[20:21], v[4:5], v[12:13], v[6:7]
	s_delay_alu instid0(VALU_DEP_2) | instskip(SKIP_1) | instid1(VALU_DEP_2)
	v_div_fixup_f64 v[14:15], v[18:19], v[14:15], 1.0
	v_fma_f64 v[18:19], v[6:7], v[12:13], -v[4:5]
	v_mul_f64_e32 v[12:13], v[20:21], v[14:15]
	s_delay_alu instid0(VALU_DEP_2)
	v_mul_f64_e32 v[14:15], v[18:19], v[14:15]
.LBB218_109:                            ;   in Loop: Header=BB218_105 Depth=2
	s_and_not1_b32 vcc_lo, exec_lo, s27
	s_cbranch_vccnz .LBB218_104
; %bb.110:                              ;   in Loop: Header=BB218_105 Depth=2
	v_div_scale_f64 v[12:13], null, v[8:9], v[8:9], v[10:11]
	v_div_scale_f64 v[20:21], vcc_lo, v[10:11], v[8:9], v[10:11]
	s_delay_alu instid0(VALU_DEP_2) | instskip(SKIP_1) | instid1(TRANS32_DEP_1)
	v_rcp_f64_e32 v[14:15], v[12:13]
	v_nop
	v_fma_f64 v[18:19], -v[12:13], v[14:15], 1.0
	s_delay_alu instid0(VALU_DEP_1) | instskip(NEXT) | instid1(VALU_DEP_1)
	v_fmac_f64_e32 v[14:15], v[14:15], v[18:19]
	v_fma_f64 v[18:19], -v[12:13], v[14:15], 1.0
	s_delay_alu instid0(VALU_DEP_1) | instskip(NEXT) | instid1(VALU_DEP_1)
	v_fmac_f64_e32 v[14:15], v[14:15], v[18:19]
	v_mul_f64_e32 v[18:19], v[20:21], v[14:15]
	s_delay_alu instid0(VALU_DEP_1) | instskip(NEXT) | instid1(VALU_DEP_1)
	v_fma_f64 v[12:13], -v[12:13], v[18:19], v[20:21]
	v_div_fmas_f64 v[12:13], v[12:13], v[14:15], v[18:19]
	s_delay_alu instid0(VALU_DEP_1) | instskip(NEXT) | instid1(VALU_DEP_1)
	v_div_fixup_f64 v[12:13], v[12:13], v[8:9], v[10:11]
	v_fmac_f64_e32 v[8:9], v[10:11], v[12:13]
	s_delay_alu instid0(VALU_DEP_1) | instskip(SKIP_1) | instid1(VALU_DEP_2)
	v_div_scale_f64 v[10:11], null, v[8:9], v[8:9], 1.0
	v_div_scale_f64 v[20:21], vcc_lo, 1.0, v[8:9], 1.0
	v_rcp_f64_e32 v[14:15], v[10:11]
	v_nop
	s_delay_alu instid0(TRANS32_DEP_1) | instskip(NEXT) | instid1(VALU_DEP_1)
	v_fma_f64 v[18:19], -v[10:11], v[14:15], 1.0
	v_fmac_f64_e32 v[14:15], v[14:15], v[18:19]
	s_delay_alu instid0(VALU_DEP_1) | instskip(NEXT) | instid1(VALU_DEP_1)
	v_fma_f64 v[18:19], -v[10:11], v[14:15], 1.0
	v_fmac_f64_e32 v[14:15], v[14:15], v[18:19]
	s_delay_alu instid0(VALU_DEP_1) | instskip(NEXT) | instid1(VALU_DEP_1)
	v_mul_f64_e32 v[18:19], v[20:21], v[14:15]
	v_fma_f64 v[10:11], -v[10:11], v[18:19], v[20:21]
	s_delay_alu instid0(VALU_DEP_1) | instskip(SKIP_2) | instid1(VALU_DEP_3)
	v_div_fmas_f64 v[10:11], v[10:11], v[14:15], v[18:19]
	v_fma_f64 v[14:15], v[6:7], v[12:13], v[4:5]
	v_fma_f64 v[4:5], -v[4:5], v[12:13], v[6:7]
	v_div_fixup_f64 v[8:9], v[10:11], v[8:9], 1.0
	s_delay_alu instid0(VALU_DEP_1) | instskip(NEXT) | instid1(VALU_DEP_3)
	v_mul_f64_e32 v[12:13], v[14:15], v[8:9]
	v_mul_f64_e32 v[14:15], v[4:5], v[8:9]
	s_branch .LBB218_104
.LBB218_111:                            ;   in Loop: Header=BB218_3 Depth=1
	s_mov_b32 s26, 0
.LBB218_112:                            ;   in Loop: Header=BB218_3 Depth=1
	s_delay_alu instid0(SALU_CYCLE_1)
	s_and_not1_b32 vcc_lo, exec_lo, s26
	s_cbranch_vccnz .LBB218_144
; %bb.113:                              ;   in Loop: Header=BB218_3 Depth=1
	s_and_not1_b32 vcc_lo, exec_lo, s34
	s_mov_b32 s28, 0
	s_cbranch_vccnz .LBB218_135
; %bb.114:                              ;   in Loop: Header=BB218_3 Depth=1
	s_mov_b32 s26, 0
	s_mov_b32 s27, 0
.LBB218_115:                            ;   Parent Loop BB218_3 Depth=1
                                        ; =>  This Loop Header: Depth=2
                                        ;       Child Loop BB218_116 Depth 3
	s_delay_alu instid0(SALU_CYCLE_1)
	s_or_b32 s29, s27, 1
	v_lshl_add_u32 v40, s27, 8, v34
	s_or_b32 s36, s27, 2
	s_or_b32 s28, s27, 3
	v_lshl_add_u32 v39, s29, 8, v34
	v_lshl_add_u32 v38, s36, 8, v34
	;; [unrolled: 1-line block ×3, first 2 shown]
	ds_load_b128 v[20:23], v40
	ds_load_b128 v[16:19], v39
	;; [unrolled: 1-line block ×4, first 2 shown]
	v_mov_b32_e32 v12, v34
	s_cmp_eq_u32 s27, 0
	s_mov_b32 s37, s26
	s_mov_b32 s38, s27
	s_cbranch_scc1 .LBB218_117
.LBB218_116:                            ;   Parent Loop BB218_3 Depth=1
                                        ;     Parent Loop BB218_115 Depth=2
                                        ; =>    This Inner Loop Header: Depth=3
	v_mov_b32_e32 v13, s37
	s_add_co_i32 s38, s38, -1
	s_add_co_i32 s37, s37, 16
	s_cmp_eq_u32 s38, 0
	ds_load_b128 v[24:27], v12
	ds_load_b128 v[42:45], v13
	ds_load_b128 v[46:49], v13 offset:256
	ds_load_b128 v[50:53], v13 offset:512
	;; [unrolled: 1-line block ×3, first 2 shown]
	v_add_nc_u32_e32 v12, 0x100, v12
	s_wait_dscnt 0x3
	v_mul_f64_e32 v[14:15], v[26:27], v[44:45]
	v_mul_f64_e32 v[44:45], v[24:25], v[44:45]
	s_wait_dscnt 0x2
	v_mul_f64_e32 v[58:59], v[26:27], v[48:49]
	v_mul_f64_e32 v[48:49], v[24:25], v[48:49]
	;; [unrolled: 3-line block ×4, first 2 shown]
	v_fma_f64 v[14:15], v[24:25], v[42:43], -v[14:15]
	v_fmac_f64_e32 v[44:45], v[26:27], v[42:43]
	v_fma_f64 v[42:43], v[24:25], v[46:47], -v[58:59]
	v_fmac_f64_e32 v[48:49], v[26:27], v[46:47]
	v_fma_f64 v[46:47], v[24:25], v[50:51], -v[60:61]
	v_fmac_f64_e32 v[52:53], v[26:27], v[50:51]
	v_fma_f64 v[24:25], v[24:25], v[54:55], -v[62:63]
	v_fmac_f64_e32 v[56:57], v[26:27], v[54:55]
	v_add_f64_e64 v[20:21], v[20:21], -v[14:15]
	v_add_f64_e64 v[22:23], v[22:23], -v[44:45]
	;; [unrolled: 1-line block ×8, first 2 shown]
	s_cbranch_scc0 .LBB218_116
.LBB218_117:                            ;   in Loop: Header=BB218_115 Depth=2
	s_lshl_b32 s37, s29, 4
	s_mul_i32 s29, s27, 0x110
	s_lshl_b32 s36, s36, 4
	v_mov_b32_e32 v12, s29
	s_lshl_b32 s28, s28, 4
	ds_load_b128 v[24:27], v12
                                        ; implicit-def: $vgpr14_vgpr15
	s_wait_dscnt 0x0
	v_cmp_ngt_f64_e64 s29, |v[24:25]|, |v[26:27]|
	s_and_b32 vcc_lo, exec_lo, s29
	s_mov_b32 s29, -1
	s_cbranch_vccz .LBB218_119
; %bb.118:                              ;   in Loop: Header=BB218_115 Depth=2
	v_div_scale_f64 v[12:13], null, v[26:27], v[26:27], v[24:25]
	v_div_scale_f64 v[44:45], vcc_lo, v[24:25], v[26:27], v[24:25]
	s_mov_b32 s29, 0
	v_rcp_f64_e32 v[14:15], v[12:13]
	v_nop
	s_delay_alu instid0(TRANS32_DEP_1) | instskip(NEXT) | instid1(VALU_DEP_1)
	v_fma_f64 v[42:43], -v[12:13], v[14:15], 1.0
	v_fmac_f64_e32 v[14:15], v[14:15], v[42:43]
	s_delay_alu instid0(VALU_DEP_1) | instskip(NEXT) | instid1(VALU_DEP_1)
	v_fma_f64 v[42:43], -v[12:13], v[14:15], 1.0
	v_fmac_f64_e32 v[14:15], v[14:15], v[42:43]
	s_delay_alu instid0(VALU_DEP_1) | instskip(NEXT) | instid1(VALU_DEP_1)
	v_mul_f64_e32 v[42:43], v[44:45], v[14:15]
	v_fma_f64 v[12:13], -v[12:13], v[42:43], v[44:45]
	s_delay_alu instid0(VALU_DEP_1) | instskip(NEXT) | instid1(VALU_DEP_1)
	v_div_fmas_f64 v[12:13], v[12:13], v[14:15], v[42:43]
	v_div_fixup_f64 v[12:13], v[12:13], v[26:27], v[24:25]
	s_delay_alu instid0(VALU_DEP_1) | instskip(NEXT) | instid1(VALU_DEP_1)
	v_fma_f64 v[14:15], v[24:25], v[12:13], v[26:27]
	v_div_scale_f64 v[42:43], null, v[14:15], v[14:15], 1.0
	v_div_scale_f64 v[48:49], vcc_lo, 1.0, v[14:15], 1.0
	s_delay_alu instid0(VALU_DEP_2) | instskip(SKIP_1) | instid1(TRANS32_DEP_1)
	v_rcp_f64_e32 v[44:45], v[42:43]
	v_nop
	v_fma_f64 v[46:47], -v[42:43], v[44:45], 1.0
	s_delay_alu instid0(VALU_DEP_1) | instskip(NEXT) | instid1(VALU_DEP_1)
	v_fmac_f64_e32 v[44:45], v[44:45], v[46:47]
	v_fma_f64 v[46:47], -v[42:43], v[44:45], 1.0
	s_delay_alu instid0(VALU_DEP_1) | instskip(NEXT) | instid1(VALU_DEP_1)
	v_fmac_f64_e32 v[44:45], v[44:45], v[46:47]
	v_mul_f64_e32 v[46:47], v[48:49], v[44:45]
	s_delay_alu instid0(VALU_DEP_1) | instskip(NEXT) | instid1(VALU_DEP_1)
	v_fma_f64 v[42:43], -v[42:43], v[46:47], v[48:49]
	v_div_fmas_f64 v[42:43], v[42:43], v[44:45], v[46:47]
	v_fma_f64 v[44:45], v[20:21], v[12:13], v[22:23]
	s_delay_alu instid0(VALU_DEP_2) | instskip(SKIP_1) | instid1(VALU_DEP_2)
	v_div_fixup_f64 v[14:15], v[42:43], v[14:15], 1.0
	v_fma_f64 v[42:43], v[22:23], v[12:13], -v[20:21]
	v_mul_f64_e32 v[12:13], v[44:45], v[14:15]
	s_delay_alu instid0(VALU_DEP_2)
	v_mul_f64_e32 v[14:15], v[42:43], v[14:15]
.LBB218_119:                            ;   in Loop: Header=BB218_115 Depth=2
	s_and_not1_b32 vcc_lo, exec_lo, s29
	s_cbranch_vccnz .LBB218_121
; %bb.120:                              ;   in Loop: Header=BB218_115 Depth=2
	v_div_scale_f64 v[12:13], null, v[24:25], v[24:25], v[26:27]
	v_div_scale_f64 v[44:45], vcc_lo, v[26:27], v[24:25], v[26:27]
	s_delay_alu instid0(VALU_DEP_2) | instskip(SKIP_1) | instid1(TRANS32_DEP_1)
	v_rcp_f64_e32 v[14:15], v[12:13]
	v_nop
	v_fma_f64 v[42:43], -v[12:13], v[14:15], 1.0
	s_delay_alu instid0(VALU_DEP_1) | instskip(NEXT) | instid1(VALU_DEP_1)
	v_fmac_f64_e32 v[14:15], v[14:15], v[42:43]
	v_fma_f64 v[42:43], -v[12:13], v[14:15], 1.0
	s_delay_alu instid0(VALU_DEP_1) | instskip(NEXT) | instid1(VALU_DEP_1)
	v_fmac_f64_e32 v[14:15], v[14:15], v[42:43]
	v_mul_f64_e32 v[42:43], v[44:45], v[14:15]
	s_delay_alu instid0(VALU_DEP_1) | instskip(NEXT) | instid1(VALU_DEP_1)
	v_fma_f64 v[12:13], -v[12:13], v[42:43], v[44:45]
	v_div_fmas_f64 v[12:13], v[12:13], v[14:15], v[42:43]
	s_delay_alu instid0(VALU_DEP_1) | instskip(NEXT) | instid1(VALU_DEP_1)
	v_div_fixup_f64 v[12:13], v[12:13], v[24:25], v[26:27]
	v_fmac_f64_e32 v[24:25], v[26:27], v[12:13]
	s_delay_alu instid0(VALU_DEP_1) | instskip(SKIP_1) | instid1(VALU_DEP_2)
	v_div_scale_f64 v[14:15], null, v[24:25], v[24:25], 1.0
	v_div_scale_f64 v[44:45], vcc_lo, 1.0, v[24:25], 1.0
	v_rcp_f64_e32 v[26:27], v[14:15]
	v_nop
	s_delay_alu instid0(TRANS32_DEP_1) | instskip(NEXT) | instid1(VALU_DEP_1)
	v_fma_f64 v[42:43], -v[14:15], v[26:27], 1.0
	v_fmac_f64_e32 v[26:27], v[26:27], v[42:43]
	s_delay_alu instid0(VALU_DEP_1) | instskip(NEXT) | instid1(VALU_DEP_1)
	v_fma_f64 v[42:43], -v[14:15], v[26:27], 1.0
	v_fmac_f64_e32 v[26:27], v[26:27], v[42:43]
	s_delay_alu instid0(VALU_DEP_1) | instskip(NEXT) | instid1(VALU_DEP_1)
	v_mul_f64_e32 v[42:43], v[44:45], v[26:27]
	v_fma_f64 v[14:15], -v[14:15], v[42:43], v[44:45]
	s_delay_alu instid0(VALU_DEP_1) | instskip(SKIP_2) | instid1(VALU_DEP_3)
	v_div_fmas_f64 v[14:15], v[14:15], v[26:27], v[42:43]
	v_fma_f64 v[26:27], v[22:23], v[12:13], v[20:21]
	v_fma_f64 v[20:21], -v[20:21], v[12:13], v[22:23]
	v_div_fixup_f64 v[14:15], v[14:15], v[24:25], 1.0
	s_delay_alu instid0(VALU_DEP_1) | instskip(NEXT) | instid1(VALU_DEP_3)
	v_mul_f64_e32 v[12:13], v[26:27], v[14:15]
	v_mul_f64_e32 v[14:15], v[20:21], v[14:15]
.LBB218_121:                            ;   in Loop: Header=BB218_115 Depth=2
	s_lshl_b32 s38, s37, 4
	s_lshl_b32 s29, s27, 4
	s_add_co_i32 s37, s38, s37
	s_add_co_i32 s39, s38, s29
	ds_store_b128 v40, v[12:15]
	v_mov_b32_e32 v20, s39
	ds_load_b128 v[24:27], v20
	s_wait_dscnt 0x0
	v_dual_mul_f64 v[42:43], v[14:15], v[26:27] :: v_dual_mov_b32 v20, s37
	v_mul_f64_e32 v[26:27], v[12:13], v[26:27]
	ds_load_b128 v[20:23], v20
	s_wait_dscnt 0x0
	v_cmp_ngt_f64_e64 s37, |v[20:21]|, |v[22:23]|
	v_fma_f64 v[42:43], v[12:13], v[24:25], -v[42:43]
	v_fmac_f64_e32 v[26:27], v[14:15], v[24:25]
	s_and_b32 vcc_lo, exec_lo, s37
	s_mov_b32 s37, -1
	s_delay_alu instid0(VALU_DEP_2) | instskip(NEXT) | instid1(VALU_DEP_2)
	v_add_f64_e64 v[24:25], v[16:17], -v[42:43]
	v_add_f64_e64 v[26:27], v[18:19], -v[26:27]
                                        ; implicit-def: $vgpr18_vgpr19
	s_cbranch_vccz .LBB218_123
; %bb.122:                              ;   in Loop: Header=BB218_115 Depth=2
	v_div_scale_f64 v[16:17], null, v[22:23], v[22:23], v[20:21]
	v_div_scale_f64 v[42:43], vcc_lo, v[20:21], v[22:23], v[20:21]
	s_mov_b32 s37, 0
	v_rcp_f64_e32 v[18:19], v[16:17]
	v_nop
	s_delay_alu instid0(TRANS32_DEP_1) | instskip(NEXT) | instid1(VALU_DEP_1)
	v_fma_f64 v[40:41], -v[16:17], v[18:19], 1.0
	v_fmac_f64_e32 v[18:19], v[18:19], v[40:41]
	s_delay_alu instid0(VALU_DEP_1) | instskip(NEXT) | instid1(VALU_DEP_1)
	v_fma_f64 v[40:41], -v[16:17], v[18:19], 1.0
	v_fmac_f64_e32 v[18:19], v[18:19], v[40:41]
	s_delay_alu instid0(VALU_DEP_1) | instskip(NEXT) | instid1(VALU_DEP_1)
	v_mul_f64_e32 v[40:41], v[42:43], v[18:19]
	v_fma_f64 v[16:17], -v[16:17], v[40:41], v[42:43]
	s_delay_alu instid0(VALU_DEP_1) | instskip(NEXT) | instid1(VALU_DEP_1)
	v_div_fmas_f64 v[16:17], v[16:17], v[18:19], v[40:41]
	v_div_fixup_f64 v[16:17], v[16:17], v[22:23], v[20:21]
	s_delay_alu instid0(VALU_DEP_1) | instskip(NEXT) | instid1(VALU_DEP_1)
	v_fma_f64 v[18:19], v[20:21], v[16:17], v[22:23]
	v_div_scale_f64 v[40:41], null, v[18:19], v[18:19], 1.0
	v_div_scale_f64 v[46:47], vcc_lo, 1.0, v[18:19], 1.0
	s_delay_alu instid0(VALU_DEP_2) | instskip(SKIP_1) | instid1(TRANS32_DEP_1)
	v_rcp_f64_e32 v[42:43], v[40:41]
	v_nop
	v_fma_f64 v[44:45], -v[40:41], v[42:43], 1.0
	s_delay_alu instid0(VALU_DEP_1) | instskip(NEXT) | instid1(VALU_DEP_1)
	v_fmac_f64_e32 v[42:43], v[42:43], v[44:45]
	v_fma_f64 v[44:45], -v[40:41], v[42:43], 1.0
	s_delay_alu instid0(VALU_DEP_1) | instskip(NEXT) | instid1(VALU_DEP_1)
	v_fmac_f64_e32 v[42:43], v[42:43], v[44:45]
	v_mul_f64_e32 v[44:45], v[46:47], v[42:43]
	s_delay_alu instid0(VALU_DEP_1) | instskip(NEXT) | instid1(VALU_DEP_1)
	v_fma_f64 v[40:41], -v[40:41], v[44:45], v[46:47]
	v_div_fmas_f64 v[40:41], v[40:41], v[42:43], v[44:45]
	v_fma_f64 v[42:43], v[16:17], v[24:25], v[26:27]
	s_delay_alu instid0(VALU_DEP_2) | instskip(SKIP_1) | instid1(VALU_DEP_2)
	v_div_fixup_f64 v[18:19], v[40:41], v[18:19], 1.0
	v_fma_f64 v[40:41], v[16:17], v[26:27], -v[24:25]
	v_mul_f64_e32 v[16:17], v[42:43], v[18:19]
	s_delay_alu instid0(VALU_DEP_2)
	v_mul_f64_e32 v[18:19], v[40:41], v[18:19]
.LBB218_123:                            ;   in Loop: Header=BB218_115 Depth=2
	s_and_not1_b32 vcc_lo, exec_lo, s37
	s_cbranch_vccnz .LBB218_125
; %bb.124:                              ;   in Loop: Header=BB218_115 Depth=2
	v_div_scale_f64 v[16:17], null, v[20:21], v[20:21], v[22:23]
	v_div_scale_f64 v[42:43], vcc_lo, v[22:23], v[20:21], v[22:23]
	s_delay_alu instid0(VALU_DEP_2) | instskip(SKIP_1) | instid1(TRANS32_DEP_1)
	v_rcp_f64_e32 v[18:19], v[16:17]
	v_nop
	v_fma_f64 v[40:41], -v[16:17], v[18:19], 1.0
	s_delay_alu instid0(VALU_DEP_1) | instskip(NEXT) | instid1(VALU_DEP_1)
	v_fmac_f64_e32 v[18:19], v[18:19], v[40:41]
	v_fma_f64 v[40:41], -v[16:17], v[18:19], 1.0
	s_delay_alu instid0(VALU_DEP_1) | instskip(NEXT) | instid1(VALU_DEP_1)
	v_fmac_f64_e32 v[18:19], v[18:19], v[40:41]
	v_mul_f64_e32 v[40:41], v[42:43], v[18:19]
	s_delay_alu instid0(VALU_DEP_1) | instskip(NEXT) | instid1(VALU_DEP_1)
	v_fma_f64 v[16:17], -v[16:17], v[40:41], v[42:43]
	v_div_fmas_f64 v[16:17], v[16:17], v[18:19], v[40:41]
	s_delay_alu instid0(VALU_DEP_1) | instskip(NEXT) | instid1(VALU_DEP_1)
	v_div_fixup_f64 v[16:17], v[16:17], v[20:21], v[22:23]
	v_fmac_f64_e32 v[20:21], v[22:23], v[16:17]
	s_delay_alu instid0(VALU_DEP_1) | instskip(SKIP_1) | instid1(VALU_DEP_2)
	v_div_scale_f64 v[18:19], null, v[20:21], v[20:21], 1.0
	v_div_scale_f64 v[42:43], vcc_lo, 1.0, v[20:21], 1.0
	v_rcp_f64_e32 v[22:23], v[18:19]
	v_nop
	s_delay_alu instid0(TRANS32_DEP_1) | instskip(NEXT) | instid1(VALU_DEP_1)
	v_fma_f64 v[40:41], -v[18:19], v[22:23], 1.0
	v_fmac_f64_e32 v[22:23], v[22:23], v[40:41]
	s_delay_alu instid0(VALU_DEP_1) | instskip(NEXT) | instid1(VALU_DEP_1)
	v_fma_f64 v[40:41], -v[18:19], v[22:23], 1.0
	v_fmac_f64_e32 v[22:23], v[22:23], v[40:41]
	s_delay_alu instid0(VALU_DEP_1) | instskip(NEXT) | instid1(VALU_DEP_1)
	v_mul_f64_e32 v[40:41], v[42:43], v[22:23]
	v_fma_f64 v[18:19], -v[18:19], v[40:41], v[42:43]
	s_delay_alu instid0(VALU_DEP_1) | instskip(SKIP_1) | instid1(VALU_DEP_2)
	v_div_fmas_f64 v[18:19], v[18:19], v[22:23], v[40:41]
	v_fma_f64 v[22:23], v[16:17], v[26:27], v[24:25]
	v_div_fixup_f64 v[18:19], v[18:19], v[20:21], 1.0
	v_fma_f64 v[20:21], -v[16:17], v[24:25], v[26:27]
	s_delay_alu instid0(VALU_DEP_2) | instskip(NEXT) | instid1(VALU_DEP_2)
	v_mul_f64_e32 v[16:17], v[22:23], v[18:19]
	v_mul_f64_e32 v[18:19], v[20:21], v[18:19]
.LBB218_125:                            ;   in Loop: Header=BB218_115 Depth=2
	s_lshl_b32 s37, s36, 4
	s_delay_alu instid0(SALU_CYCLE_1)
	s_add_co_i32 s38, s37, s29
	s_add_co_i32 s36, s37, s36
	v_mov_b32_e32 v24, s38
	ds_load_b128 v[20:23], v24
	ds_load_b128 v[24:27], v24 offset:16
	ds_store_b128 v39, v[16:19]
	s_wait_dscnt 0x2
	v_mul_f64_e32 v[40:41], v[14:15], v[22:23]
	v_mul_f64_e32 v[22:23], v[12:13], v[22:23]
	s_wait_dscnt 0x1
	v_mul_f64_e32 v[42:43], v[18:19], v[26:27]
	v_mul_f64_e32 v[26:27], v[16:17], v[26:27]
	s_delay_alu instid0(VALU_DEP_4) | instskip(NEXT) | instid1(VALU_DEP_4)
	v_fma_f64 v[40:41], v[12:13], v[20:21], -v[40:41]
	v_fmac_f64_e32 v[22:23], v[14:15], v[20:21]
	s_delay_alu instid0(VALU_DEP_4) | instskip(NEXT) | instid1(VALU_DEP_4)
	v_fma_f64 v[20:21], v[16:17], v[24:25], -v[42:43]
	v_fmac_f64_e32 v[26:27], v[18:19], v[24:25]
	s_delay_alu instid0(VALU_DEP_4) | instskip(NEXT) | instid1(VALU_DEP_4)
	v_add_f64_e64 v[24:25], v[8:9], -v[40:41]
	v_dual_add_f64 v[22:23], v[10:11], -v[22:23] :: v_dual_mov_b32 v8, s36
	ds_load_b128 v[8:11], v8
	s_wait_dscnt 0x0
	v_cmp_ngt_f64_e64 s36, |v[8:9]|, |v[10:11]|
	v_add_f64_e64 v[24:25], v[24:25], -v[20:21]
	v_add_f64_e64 v[26:27], v[22:23], -v[26:27]
                                        ; implicit-def: $vgpr22_vgpr23
	s_and_b32 vcc_lo, exec_lo, s36
	s_mov_b32 s36, -1
	s_cbranch_vccz .LBB218_127
; %bb.126:                              ;   in Loop: Header=BB218_115 Depth=2
	v_div_scale_f64 v[20:21], null, v[10:11], v[10:11], v[8:9]
	v_div_scale_f64 v[42:43], vcc_lo, v[8:9], v[10:11], v[8:9]
	s_mov_b32 s36, 0
	v_rcp_f64_e32 v[22:23], v[20:21]
	v_nop
	s_delay_alu instid0(TRANS32_DEP_1) | instskip(NEXT) | instid1(VALU_DEP_1)
	v_fma_f64 v[40:41], -v[20:21], v[22:23], 1.0
	v_fmac_f64_e32 v[22:23], v[22:23], v[40:41]
	s_delay_alu instid0(VALU_DEP_1) | instskip(NEXT) | instid1(VALU_DEP_1)
	v_fma_f64 v[40:41], -v[20:21], v[22:23], 1.0
	v_fmac_f64_e32 v[22:23], v[22:23], v[40:41]
	s_delay_alu instid0(VALU_DEP_1) | instskip(NEXT) | instid1(VALU_DEP_1)
	v_mul_f64_e32 v[40:41], v[42:43], v[22:23]
	v_fma_f64 v[20:21], -v[20:21], v[40:41], v[42:43]
	s_delay_alu instid0(VALU_DEP_1) | instskip(NEXT) | instid1(VALU_DEP_1)
	v_div_fmas_f64 v[20:21], v[20:21], v[22:23], v[40:41]
	v_div_fixup_f64 v[20:21], v[20:21], v[10:11], v[8:9]
	s_delay_alu instid0(VALU_DEP_1) | instskip(NEXT) | instid1(VALU_DEP_1)
	v_fma_f64 v[22:23], v[8:9], v[20:21], v[10:11]
	v_div_scale_f64 v[40:41], null, v[22:23], v[22:23], 1.0
	v_div_scale_f64 v[46:47], vcc_lo, 1.0, v[22:23], 1.0
	s_delay_alu instid0(VALU_DEP_2) | instskip(SKIP_1) | instid1(TRANS32_DEP_1)
	v_rcp_f64_e32 v[42:43], v[40:41]
	v_nop
	v_fma_f64 v[44:45], -v[40:41], v[42:43], 1.0
	s_delay_alu instid0(VALU_DEP_1) | instskip(NEXT) | instid1(VALU_DEP_1)
	v_fmac_f64_e32 v[42:43], v[42:43], v[44:45]
	v_fma_f64 v[44:45], -v[40:41], v[42:43], 1.0
	s_delay_alu instid0(VALU_DEP_1) | instskip(NEXT) | instid1(VALU_DEP_1)
	v_fmac_f64_e32 v[42:43], v[42:43], v[44:45]
	v_mul_f64_e32 v[44:45], v[46:47], v[42:43]
	s_delay_alu instid0(VALU_DEP_1) | instskip(NEXT) | instid1(VALU_DEP_1)
	v_fma_f64 v[40:41], -v[40:41], v[44:45], v[46:47]
	v_div_fmas_f64 v[40:41], v[40:41], v[42:43], v[44:45]
	v_fma_f64 v[42:43], v[20:21], v[24:25], v[26:27]
	s_delay_alu instid0(VALU_DEP_2) | instskip(SKIP_1) | instid1(VALU_DEP_2)
	v_div_fixup_f64 v[22:23], v[40:41], v[22:23], 1.0
	v_fma_f64 v[40:41], v[20:21], v[26:27], -v[24:25]
	v_mul_f64_e32 v[20:21], v[42:43], v[22:23]
	s_delay_alu instid0(VALU_DEP_2)
	v_mul_f64_e32 v[22:23], v[40:41], v[22:23]
.LBB218_127:                            ;   in Loop: Header=BB218_115 Depth=2
	s_and_not1_b32 vcc_lo, exec_lo, s36
	s_cbranch_vccnz .LBB218_129
; %bb.128:                              ;   in Loop: Header=BB218_115 Depth=2
	v_div_scale_f64 v[20:21], null, v[8:9], v[8:9], v[10:11]
	v_div_scale_f64 v[42:43], vcc_lo, v[10:11], v[8:9], v[10:11]
	s_delay_alu instid0(VALU_DEP_2) | instskip(SKIP_1) | instid1(TRANS32_DEP_1)
	v_rcp_f64_e32 v[22:23], v[20:21]
	v_nop
	v_fma_f64 v[40:41], -v[20:21], v[22:23], 1.0
	s_delay_alu instid0(VALU_DEP_1) | instskip(NEXT) | instid1(VALU_DEP_1)
	v_fmac_f64_e32 v[22:23], v[22:23], v[40:41]
	v_fma_f64 v[40:41], -v[20:21], v[22:23], 1.0
	s_delay_alu instid0(VALU_DEP_1) | instskip(NEXT) | instid1(VALU_DEP_1)
	v_fmac_f64_e32 v[22:23], v[22:23], v[40:41]
	v_mul_f64_e32 v[40:41], v[42:43], v[22:23]
	s_delay_alu instid0(VALU_DEP_1) | instskip(NEXT) | instid1(VALU_DEP_1)
	v_fma_f64 v[20:21], -v[20:21], v[40:41], v[42:43]
	v_div_fmas_f64 v[20:21], v[20:21], v[22:23], v[40:41]
	s_delay_alu instid0(VALU_DEP_1) | instskip(NEXT) | instid1(VALU_DEP_1)
	v_div_fixup_f64 v[20:21], v[20:21], v[8:9], v[10:11]
	v_fmac_f64_e32 v[8:9], v[10:11], v[20:21]
	s_delay_alu instid0(VALU_DEP_1) | instskip(SKIP_1) | instid1(VALU_DEP_2)
	v_div_scale_f64 v[10:11], null, v[8:9], v[8:9], 1.0
	v_div_scale_f64 v[42:43], vcc_lo, 1.0, v[8:9], 1.0
	v_rcp_f64_e32 v[22:23], v[10:11]
	v_nop
	s_delay_alu instid0(TRANS32_DEP_1) | instskip(NEXT) | instid1(VALU_DEP_1)
	v_fma_f64 v[40:41], -v[10:11], v[22:23], 1.0
	v_fmac_f64_e32 v[22:23], v[22:23], v[40:41]
	s_delay_alu instid0(VALU_DEP_1) | instskip(NEXT) | instid1(VALU_DEP_1)
	v_fma_f64 v[40:41], -v[10:11], v[22:23], 1.0
	v_fmac_f64_e32 v[22:23], v[22:23], v[40:41]
	s_delay_alu instid0(VALU_DEP_1) | instskip(NEXT) | instid1(VALU_DEP_1)
	v_mul_f64_e32 v[40:41], v[42:43], v[22:23]
	v_fma_f64 v[10:11], -v[10:11], v[40:41], v[42:43]
	s_delay_alu instid0(VALU_DEP_1) | instskip(SKIP_1) | instid1(VALU_DEP_2)
	v_div_fmas_f64 v[10:11], v[10:11], v[22:23], v[40:41]
	v_fma_f64 v[22:23], v[20:21], v[26:27], v[24:25]
	v_div_fixup_f64 v[8:9], v[10:11], v[8:9], 1.0
	v_fma_f64 v[10:11], -v[20:21], v[24:25], v[26:27]
	s_delay_alu instid0(VALU_DEP_2) | instskip(NEXT) | instid1(VALU_DEP_2)
	v_mul_f64_e32 v[20:21], v[22:23], v[8:9]
	v_mul_f64_e32 v[22:23], v[10:11], v[8:9]
.LBB218_129:                            ;   in Loop: Header=BB218_115 Depth=2
	s_lshl_b32 s36, s28, 4
	s_delay_alu instid0(SALU_CYCLE_1)
	s_add_co_i32 s29, s36, s29
	s_add_co_i32 s28, s36, s28
	v_mov_b32_e32 v39, s29
	ds_load_b128 v[8:11], v39
	ds_load_b128 v[24:27], v39 offset:16
	ds_store_b128 v38, v[20:23]
	s_wait_dscnt 0x2
	v_mul_f64_e32 v[40:41], v[14:15], v[10:11]
	v_mul_f64_e32 v[42:43], v[12:13], v[10:11]
	s_wait_dscnt 0x1
	v_mul_f64_e32 v[44:45], v[18:19], v[26:27]
	v_mul_f64_e32 v[26:27], v[16:17], v[26:27]
	s_delay_alu instid0(VALU_DEP_4) | instskip(NEXT) | instid1(VALU_DEP_4)
	v_fma_f64 v[40:41], v[12:13], v[8:9], -v[40:41]
	v_fmac_f64_e32 v[42:43], v[14:15], v[8:9]
	ds_load_b128 v[12:15], v39 offset:32
	v_dual_fma_f64 v[16:17], v[16:17], v[24:25], -v[44:45] :: v_dual_mov_b32 v8, s28
	v_fmac_f64_e32 v[26:27], v[18:19], v[24:25]
	ds_load_b128 v[8:11], v8
	s_wait_dscnt 0x1
	v_mul_f64_e32 v[46:47], v[22:23], v[14:15]
	v_mul_f64_e32 v[14:15], v[20:21], v[14:15]
	s_wait_dscnt 0x0
	v_cmp_ngt_f64_e64 s28, |v[8:9]|, |v[10:11]|
	v_add_f64_e64 v[4:5], v[4:5], -v[40:41]
	v_add_f64_e64 v[6:7], v[6:7], -v[42:43]
	v_fma_f64 v[18:19], v[20:21], v[12:13], -v[46:47]
	v_fmac_f64_e32 v[14:15], v[22:23], v[12:13]
	s_and_b32 vcc_lo, exec_lo, s28
	s_mov_b32 s28, -1
	s_delay_alu instid0(VALU_DEP_4) | instskip(NEXT) | instid1(VALU_DEP_4)
	v_add_f64_e64 v[4:5], v[4:5], -v[16:17]
	v_add_f64_e64 v[6:7], v[6:7], -v[26:27]
	s_delay_alu instid0(VALU_DEP_2) | instskip(NEXT) | instid1(VALU_DEP_2)
	v_add_f64_e64 v[12:13], v[4:5], -v[18:19]
	v_add_f64_e64 v[14:15], v[6:7], -v[14:15]
                                        ; implicit-def: $vgpr6_vgpr7
	s_cbranch_vccz .LBB218_131
; %bb.130:                              ;   in Loop: Header=BB218_115 Depth=2
	v_div_scale_f64 v[4:5], null, v[10:11], v[10:11], v[8:9]
	v_div_scale_f64 v[18:19], vcc_lo, v[8:9], v[10:11], v[8:9]
	s_mov_b32 s28, 0
	v_rcp_f64_e32 v[6:7], v[4:5]
	v_nop
	s_delay_alu instid0(TRANS32_DEP_1) | instskip(NEXT) | instid1(VALU_DEP_1)
	v_fma_f64 v[16:17], -v[4:5], v[6:7], 1.0
	v_fmac_f64_e32 v[6:7], v[6:7], v[16:17]
	s_delay_alu instid0(VALU_DEP_1) | instskip(NEXT) | instid1(VALU_DEP_1)
	v_fma_f64 v[16:17], -v[4:5], v[6:7], 1.0
	v_fmac_f64_e32 v[6:7], v[6:7], v[16:17]
	s_delay_alu instid0(VALU_DEP_1) | instskip(NEXT) | instid1(VALU_DEP_1)
	v_mul_f64_e32 v[16:17], v[18:19], v[6:7]
	v_fma_f64 v[4:5], -v[4:5], v[16:17], v[18:19]
	s_delay_alu instid0(VALU_DEP_1) | instskip(NEXT) | instid1(VALU_DEP_1)
	v_div_fmas_f64 v[4:5], v[4:5], v[6:7], v[16:17]
	v_div_fixup_f64 v[4:5], v[4:5], v[10:11], v[8:9]
	s_delay_alu instid0(VALU_DEP_1) | instskip(NEXT) | instid1(VALU_DEP_1)
	v_fma_f64 v[6:7], v[8:9], v[4:5], v[10:11]
	v_div_scale_f64 v[16:17], null, v[6:7], v[6:7], 1.0
	v_div_scale_f64 v[22:23], vcc_lo, 1.0, v[6:7], 1.0
	s_delay_alu instid0(VALU_DEP_2) | instskip(SKIP_1) | instid1(TRANS32_DEP_1)
	v_rcp_f64_e32 v[18:19], v[16:17]
	v_nop
	v_fma_f64 v[20:21], -v[16:17], v[18:19], 1.0
	s_delay_alu instid0(VALU_DEP_1) | instskip(NEXT) | instid1(VALU_DEP_1)
	v_fmac_f64_e32 v[18:19], v[18:19], v[20:21]
	v_fma_f64 v[20:21], -v[16:17], v[18:19], 1.0
	s_delay_alu instid0(VALU_DEP_1) | instskip(NEXT) | instid1(VALU_DEP_1)
	v_fmac_f64_e32 v[18:19], v[18:19], v[20:21]
	v_mul_f64_e32 v[20:21], v[22:23], v[18:19]
	s_delay_alu instid0(VALU_DEP_1) | instskip(NEXT) | instid1(VALU_DEP_1)
	v_fma_f64 v[16:17], -v[16:17], v[20:21], v[22:23]
	v_div_fmas_f64 v[16:17], v[16:17], v[18:19], v[20:21]
	v_fma_f64 v[18:19], v[4:5], v[12:13], v[14:15]
	s_delay_alu instid0(VALU_DEP_2) | instskip(SKIP_1) | instid1(VALU_DEP_2)
	v_div_fixup_f64 v[6:7], v[16:17], v[6:7], 1.0
	v_fma_f64 v[16:17], v[4:5], v[14:15], -v[12:13]
	v_mul_f64_e32 v[4:5], v[18:19], v[6:7]
	s_delay_alu instid0(VALU_DEP_2)
	v_mul_f64_e32 v[6:7], v[16:17], v[6:7]
.LBB218_131:                            ;   in Loop: Header=BB218_115 Depth=2
	s_and_not1_b32 vcc_lo, exec_lo, s28
	s_cbranch_vccnz .LBB218_133
; %bb.132:                              ;   in Loop: Header=BB218_115 Depth=2
	v_div_scale_f64 v[4:5], null, v[8:9], v[8:9], v[10:11]
	v_div_scale_f64 v[18:19], vcc_lo, v[10:11], v[8:9], v[10:11]
	s_delay_alu instid0(VALU_DEP_2) | instskip(SKIP_1) | instid1(TRANS32_DEP_1)
	v_rcp_f64_e32 v[6:7], v[4:5]
	v_nop
	v_fma_f64 v[16:17], -v[4:5], v[6:7], 1.0
	s_delay_alu instid0(VALU_DEP_1) | instskip(NEXT) | instid1(VALU_DEP_1)
	v_fmac_f64_e32 v[6:7], v[6:7], v[16:17]
	v_fma_f64 v[16:17], -v[4:5], v[6:7], 1.0
	s_delay_alu instid0(VALU_DEP_1) | instskip(NEXT) | instid1(VALU_DEP_1)
	v_fmac_f64_e32 v[6:7], v[6:7], v[16:17]
	v_mul_f64_e32 v[16:17], v[18:19], v[6:7]
	s_delay_alu instid0(VALU_DEP_1) | instskip(NEXT) | instid1(VALU_DEP_1)
	v_fma_f64 v[4:5], -v[4:5], v[16:17], v[18:19]
	v_div_fmas_f64 v[4:5], v[4:5], v[6:7], v[16:17]
	s_delay_alu instid0(VALU_DEP_1) | instskip(NEXT) | instid1(VALU_DEP_1)
	v_div_fixup_f64 v[4:5], v[4:5], v[8:9], v[10:11]
	v_fmac_f64_e32 v[8:9], v[10:11], v[4:5]
	s_delay_alu instid0(VALU_DEP_1) | instskip(SKIP_1) | instid1(VALU_DEP_2)
	v_div_scale_f64 v[6:7], null, v[8:9], v[8:9], 1.0
	v_div_scale_f64 v[18:19], vcc_lo, 1.0, v[8:9], 1.0
	v_rcp_f64_e32 v[10:11], v[6:7]
	v_nop
	s_delay_alu instid0(TRANS32_DEP_1) | instskip(NEXT) | instid1(VALU_DEP_1)
	v_fma_f64 v[16:17], -v[6:7], v[10:11], 1.0
	v_fmac_f64_e32 v[10:11], v[10:11], v[16:17]
	s_delay_alu instid0(VALU_DEP_1) | instskip(NEXT) | instid1(VALU_DEP_1)
	v_fma_f64 v[16:17], -v[6:7], v[10:11], 1.0
	v_fmac_f64_e32 v[10:11], v[10:11], v[16:17]
	s_delay_alu instid0(VALU_DEP_1) | instskip(NEXT) | instid1(VALU_DEP_1)
	v_mul_f64_e32 v[16:17], v[18:19], v[10:11]
	v_fma_f64 v[6:7], -v[6:7], v[16:17], v[18:19]
	s_delay_alu instid0(VALU_DEP_1) | instskip(SKIP_1) | instid1(VALU_DEP_2)
	v_div_fmas_f64 v[6:7], v[6:7], v[10:11], v[16:17]
	v_fma_f64 v[10:11], v[4:5], v[14:15], v[12:13]
	v_div_fixup_f64 v[6:7], v[6:7], v[8:9], 1.0
	v_fma_f64 v[8:9], -v[4:5], v[12:13], v[14:15]
	s_delay_alu instid0(VALU_DEP_2) | instskip(NEXT) | instid1(VALU_DEP_2)
	v_mul_f64_e32 v[4:5], v[10:11], v[6:7]
	v_mul_f64_e32 v[6:7], v[8:9], v[6:7]
.LBB218_133:                            ;   in Loop: Header=BB218_115 Depth=2
	s_add_co_i32 s28, s27, 4
	s_add_co_i32 s27, s27, 7
	s_addk_co_i32 s26, 0x400
	s_cmp_ge_i32 s27, s31
	ds_store_b128 v37, v[4:7]
	s_cbranch_scc1 .LBB218_135
; %bb.134:                              ;   in Loop: Header=BB218_115 Depth=2
	s_mov_b32 s27, s28
	s_branch .LBB218_115
.LBB218_135:                            ;   in Loop: Header=BB218_3 Depth=1
	s_cmp_ge_i32 s28, s31
	s_cbranch_scc1 .LBB218_144
; %bb.136:                              ;   in Loop: Header=BB218_3 Depth=1
	s_lshl_b32 s26, s28, 8
	s_branch .LBB218_138
.LBB218_137:                            ;   in Loop: Header=BB218_138 Depth=2
	s_add_co_i32 s28, s28, 1
	s_addk_co_i32 s26, 0x100
	s_cmp_ge_i32 s28, s31
	ds_store_b128 v16, v[12:15]
	s_cbranch_scc1 .LBB218_144
.LBB218_138:                            ;   Parent Loop BB218_3 Depth=1
                                        ; =>  This Loop Header: Depth=2
                                        ;       Child Loop BB218_139 Depth 3
	v_lshl_add_u32 v16, s28, 8, v34
	v_mov_b32_e32 v8, v34
	s_cmp_eq_u32 s28, 0
	s_mov_b32 s27, s26
	s_mov_b32 s29, s28
	ds_load_b128 v[4:7], v16
	s_cbranch_scc1 .LBB218_140
.LBB218_139:                            ;   Parent Loop BB218_3 Depth=1
                                        ;     Parent Loop BB218_138 Depth=2
                                        ; =>    This Inner Loop Header: Depth=3
	v_mov_b32_e32 v9, s27
	s_add_co_i32 s29, s29, -1
	s_add_co_i32 s27, s27, 16
	s_cmp_eq_u32 s29, 0
	ds_load_b128 v[10:13], v8
	ds_load_b128 v[18:21], v9
	v_add_nc_u32_e32 v8, 0x100, v8
	s_wait_dscnt 0x0
	v_mul_f64_e32 v[14:15], v[20:21], v[12:13]
	v_mul_f64_e32 v[12:13], v[18:19], v[12:13]
	s_delay_alu instid0(VALU_DEP_2) | instskip(NEXT) | instid1(VALU_DEP_2)
	v_fma_f64 v[14:15], v[18:19], v[10:11], -v[14:15]
	v_fmac_f64_e32 v[12:13], v[20:21], v[10:11]
	s_delay_alu instid0(VALU_DEP_2) | instskip(NEXT) | instid1(VALU_DEP_2)
	v_add_f64_e64 v[4:5], v[4:5], -v[14:15]
	v_add_f64_e64 v[6:7], v[6:7], -v[12:13]
	s_cbranch_scc0 .LBB218_139
.LBB218_140:                            ;   in Loop: Header=BB218_138 Depth=2
	s_mul_i32 s27, s28, 0x110
                                        ; implicit-def: $vgpr12_vgpr13
	s_delay_alu instid0(SALU_CYCLE_1)
	v_mov_b32_e32 v8, s27
	ds_load_b128 v[8:11], v8
	s_wait_dscnt 0x0
	v_cmp_ngt_f64_e64 s27, |v[8:9]|, |v[10:11]|
	s_and_b32 vcc_lo, exec_lo, s27
	s_mov_b32 s27, -1
	s_cbranch_vccz .LBB218_142
; %bb.141:                              ;   in Loop: Header=BB218_138 Depth=2
	v_div_scale_f64 v[12:13], null, v[10:11], v[10:11], v[8:9]
	v_div_scale_f64 v[20:21], vcc_lo, v[8:9], v[10:11], v[8:9]
	s_mov_b32 s27, 0
	v_rcp_f64_e32 v[14:15], v[12:13]
	v_nop
	s_delay_alu instid0(TRANS32_DEP_1) | instskip(NEXT) | instid1(VALU_DEP_1)
	v_fma_f64 v[18:19], -v[12:13], v[14:15], 1.0
	v_fmac_f64_e32 v[14:15], v[14:15], v[18:19]
	s_delay_alu instid0(VALU_DEP_1) | instskip(NEXT) | instid1(VALU_DEP_1)
	v_fma_f64 v[18:19], -v[12:13], v[14:15], 1.0
	v_fmac_f64_e32 v[14:15], v[14:15], v[18:19]
	s_delay_alu instid0(VALU_DEP_1) | instskip(NEXT) | instid1(VALU_DEP_1)
	v_mul_f64_e32 v[18:19], v[20:21], v[14:15]
	v_fma_f64 v[12:13], -v[12:13], v[18:19], v[20:21]
	s_delay_alu instid0(VALU_DEP_1) | instskip(NEXT) | instid1(VALU_DEP_1)
	v_div_fmas_f64 v[12:13], v[12:13], v[14:15], v[18:19]
	v_div_fixup_f64 v[12:13], v[12:13], v[10:11], v[8:9]
	s_delay_alu instid0(VALU_DEP_1) | instskip(NEXT) | instid1(VALU_DEP_1)
	v_fma_f64 v[14:15], v[8:9], v[12:13], v[10:11]
	v_div_scale_f64 v[18:19], null, v[14:15], v[14:15], 1.0
	v_div_scale_f64 v[24:25], vcc_lo, 1.0, v[14:15], 1.0
	s_delay_alu instid0(VALU_DEP_2) | instskip(SKIP_1) | instid1(TRANS32_DEP_1)
	v_rcp_f64_e32 v[20:21], v[18:19]
	v_nop
	v_fma_f64 v[22:23], -v[18:19], v[20:21], 1.0
	s_delay_alu instid0(VALU_DEP_1) | instskip(NEXT) | instid1(VALU_DEP_1)
	v_fmac_f64_e32 v[20:21], v[20:21], v[22:23]
	v_fma_f64 v[22:23], -v[18:19], v[20:21], 1.0
	s_delay_alu instid0(VALU_DEP_1) | instskip(NEXT) | instid1(VALU_DEP_1)
	v_fmac_f64_e32 v[20:21], v[20:21], v[22:23]
	v_mul_f64_e32 v[22:23], v[24:25], v[20:21]
	s_delay_alu instid0(VALU_DEP_1) | instskip(NEXT) | instid1(VALU_DEP_1)
	v_fma_f64 v[18:19], -v[18:19], v[22:23], v[24:25]
	v_div_fmas_f64 v[18:19], v[18:19], v[20:21], v[22:23]
	v_fma_f64 v[20:21], v[4:5], v[12:13], v[6:7]
	s_delay_alu instid0(VALU_DEP_2) | instskip(SKIP_1) | instid1(VALU_DEP_2)
	v_div_fixup_f64 v[14:15], v[18:19], v[14:15], 1.0
	v_fma_f64 v[18:19], v[6:7], v[12:13], -v[4:5]
	v_mul_f64_e32 v[12:13], v[20:21], v[14:15]
	s_delay_alu instid0(VALU_DEP_2)
	v_mul_f64_e32 v[14:15], v[18:19], v[14:15]
.LBB218_142:                            ;   in Loop: Header=BB218_138 Depth=2
	s_and_not1_b32 vcc_lo, exec_lo, s27
	s_cbranch_vccnz .LBB218_137
; %bb.143:                              ;   in Loop: Header=BB218_138 Depth=2
	v_div_scale_f64 v[12:13], null, v[8:9], v[8:9], v[10:11]
	v_div_scale_f64 v[20:21], vcc_lo, v[10:11], v[8:9], v[10:11]
	s_delay_alu instid0(VALU_DEP_2) | instskip(SKIP_1) | instid1(TRANS32_DEP_1)
	v_rcp_f64_e32 v[14:15], v[12:13]
	v_nop
	v_fma_f64 v[18:19], -v[12:13], v[14:15], 1.0
	s_delay_alu instid0(VALU_DEP_1) | instskip(NEXT) | instid1(VALU_DEP_1)
	v_fmac_f64_e32 v[14:15], v[14:15], v[18:19]
	v_fma_f64 v[18:19], -v[12:13], v[14:15], 1.0
	s_delay_alu instid0(VALU_DEP_1) | instskip(NEXT) | instid1(VALU_DEP_1)
	v_fmac_f64_e32 v[14:15], v[14:15], v[18:19]
	v_mul_f64_e32 v[18:19], v[20:21], v[14:15]
	s_delay_alu instid0(VALU_DEP_1) | instskip(NEXT) | instid1(VALU_DEP_1)
	v_fma_f64 v[12:13], -v[12:13], v[18:19], v[20:21]
	v_div_fmas_f64 v[12:13], v[12:13], v[14:15], v[18:19]
	s_delay_alu instid0(VALU_DEP_1) | instskip(NEXT) | instid1(VALU_DEP_1)
	v_div_fixup_f64 v[12:13], v[12:13], v[8:9], v[10:11]
	v_fmac_f64_e32 v[8:9], v[10:11], v[12:13]
	s_delay_alu instid0(VALU_DEP_1) | instskip(SKIP_1) | instid1(VALU_DEP_2)
	v_div_scale_f64 v[10:11], null, v[8:9], v[8:9], 1.0
	v_div_scale_f64 v[20:21], vcc_lo, 1.0, v[8:9], 1.0
	v_rcp_f64_e32 v[14:15], v[10:11]
	v_nop
	s_delay_alu instid0(TRANS32_DEP_1) | instskip(NEXT) | instid1(VALU_DEP_1)
	v_fma_f64 v[18:19], -v[10:11], v[14:15], 1.0
	v_fmac_f64_e32 v[14:15], v[14:15], v[18:19]
	s_delay_alu instid0(VALU_DEP_1) | instskip(NEXT) | instid1(VALU_DEP_1)
	v_fma_f64 v[18:19], -v[10:11], v[14:15], 1.0
	v_fmac_f64_e32 v[14:15], v[14:15], v[18:19]
	s_delay_alu instid0(VALU_DEP_1) | instskip(NEXT) | instid1(VALU_DEP_1)
	v_mul_f64_e32 v[18:19], v[20:21], v[14:15]
	v_fma_f64 v[10:11], -v[10:11], v[18:19], v[20:21]
	s_delay_alu instid0(VALU_DEP_1) | instskip(SKIP_2) | instid1(VALU_DEP_3)
	v_div_fmas_f64 v[10:11], v[10:11], v[14:15], v[18:19]
	v_fma_f64 v[14:15], v[6:7], v[12:13], v[4:5]
	v_fma_f64 v[4:5], -v[4:5], v[12:13], v[6:7]
	v_div_fixup_f64 v[8:9], v[10:11], v[8:9], 1.0
	s_delay_alu instid0(VALU_DEP_1) | instskip(NEXT) | instid1(VALU_DEP_3)
	v_mul_f64_e32 v[12:13], v[14:15], v[8:9]
	v_mul_f64_e32 v[14:15], v[4:5], v[8:9]
	s_branch .LBB218_137
.LBB218_144:                            ;   in Loop: Header=BB218_3 Depth=1
	s_and_saveexec_b32 s26, s35
	s_cbranch_execz .LBB218_2
; %bb.145:                              ;   in Loop: Header=BB218_3 Depth=1
	v_add_nc_u64_e32 v[4:5], s[16:17], v[0:1]
	v_mov_b32_e32 v6, v34
	s_mov_b32 s16, s30
.LBB218_146:                            ;   Parent Loop BB218_3 Depth=1
                                        ; =>  This Inner Loop Header: Depth=2
	ds_load_2addr_b64 v[8:11], v6 offset1:1
	v_add_nc_u32_e32 v6, 0x100, v6
	s_add_co_i32 s16, s16, -1
	s_delay_alu instid0(SALU_CYCLE_1)
	s_cmp_lg_u32 s16, 0
	s_wait_dscnt 0x0
	global_store_b128 v[4:5], v[8:11], off
	s_wait_xcnt 0x0
	v_add_nc_u64_e32 v[4:5], s[14:15], v[4:5]
	s_cbranch_scc1 .LBB218_146
	s_branch .LBB218_2
.LBB218_147:
	s_endpgm
	.section	.rodata,"a",@progbits
	.p2align	6, 0x0
	.amdhsa_kernel _ZL31rocblas_trsm_small_right_deviceI19rocblas_complex_numIdES1_PKS1_PS1_Li16EEv13rocblas_fill_18rocblas_operation_17rocblas_diagonal_iiT0_T1_lilT2_lili
		.amdhsa_group_segment_fixed_size 8192
		.amdhsa_private_segment_fixed_size 0
		.amdhsa_kernarg_size 368
		.amdhsa_user_sgpr_count 2
		.amdhsa_user_sgpr_dispatch_ptr 0
		.amdhsa_user_sgpr_queue_ptr 0
		.amdhsa_user_sgpr_kernarg_segment_ptr 1
		.amdhsa_user_sgpr_dispatch_id 0
		.amdhsa_user_sgpr_kernarg_preload_length 0
		.amdhsa_user_sgpr_kernarg_preload_offset 0
		.amdhsa_user_sgpr_private_segment_size 0
		.amdhsa_wavefront_size32 1
		.amdhsa_uses_dynamic_stack 0
		.amdhsa_enable_private_segment 0
		.amdhsa_system_sgpr_workgroup_id_x 1
		.amdhsa_system_sgpr_workgroup_id_y 0
		.amdhsa_system_sgpr_workgroup_id_z 1
		.amdhsa_system_sgpr_workgroup_info 0
		.amdhsa_system_vgpr_workitem_id 0
		.amdhsa_next_free_vgpr 81
		.amdhsa_next_free_sgpr 42
		.amdhsa_named_barrier_count 0
		.amdhsa_reserve_vcc 1
		.amdhsa_float_round_mode_32 0
		.amdhsa_float_round_mode_16_64 0
		.amdhsa_float_denorm_mode_32 3
		.amdhsa_float_denorm_mode_16_64 3
		.amdhsa_fp16_overflow 0
		.amdhsa_memory_ordered 1
		.amdhsa_forward_progress 1
		.amdhsa_inst_pref_size 118
		.amdhsa_round_robin_scheduling 0
		.amdhsa_exception_fp_ieee_invalid_op 0
		.amdhsa_exception_fp_denorm_src 0
		.amdhsa_exception_fp_ieee_div_zero 0
		.amdhsa_exception_fp_ieee_overflow 0
		.amdhsa_exception_fp_ieee_underflow 0
		.amdhsa_exception_fp_ieee_inexact 0
		.amdhsa_exception_int_div_zero 0
	.end_amdhsa_kernel
	.section	.text._ZL31rocblas_trsm_small_right_deviceI19rocblas_complex_numIdES1_PKS1_PS1_Li16EEv13rocblas_fill_18rocblas_operation_17rocblas_diagonal_iiT0_T1_lilT2_lili,"axG",@progbits,_ZL31rocblas_trsm_small_right_deviceI19rocblas_complex_numIdES1_PKS1_PS1_Li16EEv13rocblas_fill_18rocblas_operation_17rocblas_diagonal_iiT0_T1_lilT2_lili,comdat
.Lfunc_end218:
	.size	_ZL31rocblas_trsm_small_right_deviceI19rocblas_complex_numIdES1_PKS1_PS1_Li16EEv13rocblas_fill_18rocblas_operation_17rocblas_diagonal_iiT0_T1_lilT2_lili, .Lfunc_end218-_ZL31rocblas_trsm_small_right_deviceI19rocblas_complex_numIdES1_PKS1_PS1_Li16EEv13rocblas_fill_18rocblas_operation_17rocblas_diagonal_iiT0_T1_lilT2_lili
                                        ; -- End function
	.set _ZL31rocblas_trsm_small_right_deviceI19rocblas_complex_numIdES1_PKS1_PS1_Li16EEv13rocblas_fill_18rocblas_operation_17rocblas_diagonal_iiT0_T1_lilT2_lili.num_vgpr, 64
	.set _ZL31rocblas_trsm_small_right_deviceI19rocblas_complex_numIdES1_PKS1_PS1_Li16EEv13rocblas_fill_18rocblas_operation_17rocblas_diagonal_iiT0_T1_lilT2_lili.num_agpr, 0
	.set _ZL31rocblas_trsm_small_right_deviceI19rocblas_complex_numIdES1_PKS1_PS1_Li16EEv13rocblas_fill_18rocblas_operation_17rocblas_diagonal_iiT0_T1_lilT2_lili.numbered_sgpr, 42
	.set _ZL31rocblas_trsm_small_right_deviceI19rocblas_complex_numIdES1_PKS1_PS1_Li16EEv13rocblas_fill_18rocblas_operation_17rocblas_diagonal_iiT0_T1_lilT2_lili.num_named_barrier, 0
	.set _ZL31rocblas_trsm_small_right_deviceI19rocblas_complex_numIdES1_PKS1_PS1_Li16EEv13rocblas_fill_18rocblas_operation_17rocblas_diagonal_iiT0_T1_lilT2_lili.private_seg_size, 0
	.set _ZL31rocblas_trsm_small_right_deviceI19rocblas_complex_numIdES1_PKS1_PS1_Li16EEv13rocblas_fill_18rocblas_operation_17rocblas_diagonal_iiT0_T1_lilT2_lili.uses_vcc, 1
	.set _ZL31rocblas_trsm_small_right_deviceI19rocblas_complex_numIdES1_PKS1_PS1_Li16EEv13rocblas_fill_18rocblas_operation_17rocblas_diagonal_iiT0_T1_lilT2_lili.uses_flat_scratch, 0
	.set _ZL31rocblas_trsm_small_right_deviceI19rocblas_complex_numIdES1_PKS1_PS1_Li16EEv13rocblas_fill_18rocblas_operation_17rocblas_diagonal_iiT0_T1_lilT2_lili.has_dyn_sized_stack, 0
	.set _ZL31rocblas_trsm_small_right_deviceI19rocblas_complex_numIdES1_PKS1_PS1_Li16EEv13rocblas_fill_18rocblas_operation_17rocblas_diagonal_iiT0_T1_lilT2_lili.has_recursion, 0
	.set _ZL31rocblas_trsm_small_right_deviceI19rocblas_complex_numIdES1_PKS1_PS1_Li16EEv13rocblas_fill_18rocblas_operation_17rocblas_diagonal_iiT0_T1_lilT2_lili.has_indirect_call, 0
	.section	.AMDGPU.csdata,"",@progbits
; Kernel info:
; codeLenInByte = 14988
; TotalNumSgprs: 44
; NumVgprs: 64
; ScratchSize: 0
; MemoryBound: 0
; FloatMode: 240
; IeeeMode: 1
; LDSByteSize: 8192 bytes/workgroup (compile time only)
; SGPRBlocks: 0
; VGPRBlocks: 5
; NumSGPRsForWavesPerEU: 44
; NumVGPRsForWavesPerEU: 81
; NamedBarCnt: 0
; Occupancy: 10
; WaveLimiterHint : 0
; COMPUTE_PGM_RSRC2:SCRATCH_EN: 0
; COMPUTE_PGM_RSRC2:USER_SGPR: 2
; COMPUTE_PGM_RSRC2:TRAP_HANDLER: 0
; COMPUTE_PGM_RSRC2:TGID_X_EN: 1
; COMPUTE_PGM_RSRC2:TGID_Y_EN: 0
; COMPUTE_PGM_RSRC2:TGID_Z_EN: 1
; COMPUTE_PGM_RSRC2:TIDIG_COMP_CNT: 0
	.section	.text._ZL38rocblas_trsm_small_left_device_sharedBILi20ELi20ELb0E19rocblas_complex_numIdES1_PKS1_PS1_Ev13rocblas_fill_18rocblas_operation_17rocblas_diagonal_iiT3_T4_lilT5_lili,"axG",@progbits,_ZL38rocblas_trsm_small_left_device_sharedBILi20ELi20ELb0E19rocblas_complex_numIdES1_PKS1_PS1_Ev13rocblas_fill_18rocblas_operation_17rocblas_diagonal_iiT3_T4_lilT5_lili,comdat
	.globl	_ZL38rocblas_trsm_small_left_device_sharedBILi20ELi20ELb0E19rocblas_complex_numIdES1_PKS1_PS1_Ev13rocblas_fill_18rocblas_operation_17rocblas_diagonal_iiT3_T4_lilT5_lili ; -- Begin function _ZL38rocblas_trsm_small_left_device_sharedBILi20ELi20ELb0E19rocblas_complex_numIdES1_PKS1_PS1_Ev13rocblas_fill_18rocblas_operation_17rocblas_diagonal_iiT3_T4_lilT5_lili
	.p2align	8
	.type	_ZL38rocblas_trsm_small_left_device_sharedBILi20ELi20ELb0E19rocblas_complex_numIdES1_PKS1_PS1_Ev13rocblas_fill_18rocblas_operation_17rocblas_diagonal_iiT3_T4_lilT5_lili,@function
_ZL38rocblas_trsm_small_left_device_sharedBILi20ELi20ELb0E19rocblas_complex_numIdES1_PKS1_PS1_Ev13rocblas_fill_18rocblas_operation_17rocblas_diagonal_iiT3_T4_lilT5_lili: ; @_ZL38rocblas_trsm_small_left_device_sharedBILi20ELi20ELb0E19rocblas_complex_numIdES1_PKS1_PS1_Ev13rocblas_fill_18rocblas_operation_17rocblas_diagonal_iiT3_T4_lilT5_lili
; %bb.0:
	s_load_b32 s3, s[0:1], 0x68
	s_bfe_u32 s2, ttmp6, 0x40014
	s_lshr_b32 s4, ttmp7, 16
	s_add_co_i32 s2, s2, 1
	s_bfe_u32 s5, ttmp6, 0x40008
	s_mul_i32 s2, s4, s2
	s_getreg_b32 s8, hwreg(HW_REG_IB_STS2, 6, 4)
	s_add_co_i32 s5, s5, s2
	s_cmp_eq_u32 s8, 0
	s_mov_b32 s21, 0
	s_cselect_b32 s20, s4, s5
	s_wait_kmcnt 0x0
	s_cmp_ge_u32 s20, s3
	s_cbranch_scc1 .LBB219_62
; %bb.1:
	s_clause 0x5
	s_load_b32 s26, s[0:1], 0x38
	s_load_b96 s[16:18], s[0:1], 0x50
	s_load_b128 s[4:7], s[0:1], 0x4
	s_load_b32 s9, s[0:1], 0x70
	s_load_b64 s[28:29], s[0:1], 0x60
	s_load_b128 s[12:15], s[0:1], 0x40
	v_dual_mov_b32 v9, 0 :: v_dual_lshlrev_b32 v8, 4, v0
	s_wait_kmcnt 0x0
	s_ashr_i32 s27, s26, 31
	s_ashr_i32 s25, s18, 31
	s_cmp_eq_u32 s4, 0x71
	s_cselect_b32 s2, -1, 0
	s_bfe_u32 s10, ttmp6, 0x4000c
	s_min_i32 s19, s6, 20
	s_add_co_i32 s10, s10, 1
	s_and_b32 s11, ttmp6, 15
	s_mul_i32 s10, ttmp9, s10
	s_add_co_i32 s9, s9, -1
	s_add_co_i32 s22, s19, -1
	s_add_co_i32 s11, s11, s10
	s_cmp_eq_u32 s8, 0
	s_cselect_b32 s8, ttmp9, s11
	s_delay_alu instid0(SALU_CYCLE_1) | instskip(NEXT) | instid1(SALU_CYCLE_1)
	s_mul_i32 s10, s8, 0xffffffec
	s_add_co_i32 s7, s7, s10
	s_cmp_ge_u32 s8, s9
	s_mul_i32 s8, s8, 20
	s_cselect_b32 s30, s7, 20
	s_ashr_i32 s9, s8, 31
	s_cmp_lg_u32 s5, 0x84
	v_lshl_add_u64 v[2:3], s[8:9], 4, v[8:9]
	s_cselect_b32 s23, -1, 0
	s_cmp_gt_i32 s6, 0
	v_cmp_gt_i32_e32 vcc_lo, s30, v0
	s_cselect_b32 s31, -1, 0
	s_cmp_lg_u32 s4, 0x6f
	s_cselect_b32 s24, -1, 0
	s_lshl_b64 s[4:5], s[16:17], 4
	s_delay_alu instid0(SALU_CYCLE_1) | instskip(SKIP_3) | instid1(VALU_DEP_1)
	s_add_nc_u64 s[4:5], s[14:15], s[4:5]
	s_lshl_b64 s[14:15], s[28:29], 4
	v_mad_nc_u64_u32 v[10:11], v2, s18, s[4:5]
	s_load_b256 s[4:11], s[0:1], 0x18
	v_mad_u32 v1, v3, s18, v11
	s_or_b32 s18, 0, 8
	s_wait_kmcnt 0x0
	s_lshl_b64 s[0:1], s[10:11], 4
	s_delay_alu instid0(VALU_DEP_1)
	v_mad_u32 v11, v2, s25, v1
	s_add_nc_u64 s[0:1], s[8:9], s[0:1]
	v_mul_u32_u24_e32 v1, 0x140, v0
	v_add_nc_u64_e32 v[2:3], s[0:1], v[8:9]
	v_add_nc_u32_e32 v9, 0x1900, v8
	v_cmp_gt_i32_e64 s0, s19, v0
	s_mul_i32 s25, s19, 0x140
	v_add_nc_u32_e32 v16, v8, v1
	s_and_b32 s1, vcc_lo, s31
	s_lshl_b64 s[8:9], s[12:13], 4
	v_add_nc_u64_e32 v[12:13], 8, v[2:3]
	v_add_nc_u64_e32 v[14:15], 8, v[10:11]
	s_lshl_b64 s[10:11], s[26:27], 4
	s_addk_co_i32 s25, 0xfec0
	s_get_pc_i64 s[12:13]
	s_add_nc_u64 s[12:13], s[12:13], __const._ZL38rocblas_trsm_small_left_device_sharedBILi20ELi20ELb0E19rocblas_complex_numIdES1_PKS1_PS1_Ev13rocblas_fill_18rocblas_operation_17rocblas_diagonal_iiT3_T4_lilT5_lili.step_sizes@rel64+4
	s_branch .LBB219_3
.LBB219_2:                              ;   in Loop: Header=BB219_3 Depth=1
	s_or_b32 exec_lo, exec_lo, s26
	s_add_co_i32 s20, s20, 0x10000
	s_delay_alu instid0(SALU_CYCLE_1)
	s_cmp_lt_u32 s20, s3
	s_cbranch_scc0 .LBB219_62
.LBB219_3:                              ; =>This Loop Header: Depth=1
                                        ;     Child Loop BB219_5 Depth 2
                                        ;     Child Loop BB219_16 Depth 2
	;; [unrolled: 1-line block ×3, first 2 shown]
                                        ;       Child Loop BB219_23 Depth 3
                                        ;         Child Loop BB219_24 Depth 4
                                        ;         Child Loop BB219_27 Depth 4
                                        ;           Child Loop BB219_28 Depth 5
                                        ;         Child Loop BB219_32 Depth 4
                                        ;           Child Loop BB219_34 Depth 5
                                        ;     Child Loop BB219_42 Depth 2
                                        ;       Child Loop BB219_45 Depth 3
                                        ;         Child Loop BB219_46 Depth 4
                                        ;         Child Loop BB219_48 Depth 4
                                        ;           Child Loop BB219_49 Depth 5
                                        ;         Child Loop BB219_53 Depth 4
                                        ;           Child Loop BB219_55 Depth 5
                                        ;     Child Loop BB219_61 Depth 2
	s_and_saveexec_b32 s16, s0
	s_cbranch_execz .LBB219_14
; %bb.4:                                ;   in Loop: Header=BB219_3 Depth=1
	v_mad_nc_u64_u32 v[0:1], s8, s20, v[12:13]
	v_mov_b32_e32 v2, v8
	s_mov_b32 s17, s19
	s_delay_alu instid0(VALU_DEP_2)
	v_mad_u32 v1, s9, s20, v1
.LBB219_5:                              ;   Parent Loop BB219_3 Depth=1
                                        ; =>  This Inner Loop Header: Depth=2
	global_load_b128 v[4:7], v[0:1], off offset:-8
	s_wait_xcnt 0x0
	v_add_nc_u64_e32 v[0:1], s[10:11], v[0:1]
	s_add_co_i32 s17, s17, -1
	s_delay_alu instid0(SALU_CYCLE_1) | instskip(SKIP_2) | instid1(VALU_DEP_1)
	s_cmp_eq_u32 s17, 0
	s_wait_loadcnt 0x0
	v_xor_b32_e32 v3, 0x80000000, v7
	v_cndmask_b32_e64 v7, v7, v3, s2
	ds_store_b128 v2, v[4:7]
	v_add_nc_u32_e32 v2, 0x140, v2
	s_cbranch_scc0 .LBB219_5
; %bb.6:                                ;   in Loop: Header=BB219_3 Depth=1
	s_and_b32 vcc_lo, exec_lo, s23
	s_cbranch_vccz .LBB219_12
; %bb.7:                                ;   in Loop: Header=BB219_3 Depth=1
	ds_load_b128 v[0:3], v16
                                        ; implicit-def: $vgpr6_vgpr7
	s_wait_dscnt 0x0
	v_cmp_ngt_f64_e64 s17, |v[0:1]|, |v[2:3]|
	s_and_saveexec_b32 s26, s17
	s_delay_alu instid0(SALU_CYCLE_1)
	s_xor_b32 s17, exec_lo, s26
	s_cbranch_execz .LBB219_9
; %bb.8:                                ;   in Loop: Header=BB219_3 Depth=1
	v_div_scale_f64 v[4:5], null, v[2:3], v[2:3], v[0:1]
	v_div_scale_f64 v[20:21], vcc_lo, v[0:1], v[2:3], v[0:1]
	s_delay_alu instid0(VALU_DEP_2) | instskip(SKIP_1) | instid1(TRANS32_DEP_1)
	v_rcp_f64_e32 v[6:7], v[4:5]
	v_nop
	v_fma_f64 v[18:19], -v[4:5], v[6:7], 1.0
	s_delay_alu instid0(VALU_DEP_1) | instskip(NEXT) | instid1(VALU_DEP_1)
	v_fmac_f64_e32 v[6:7], v[6:7], v[18:19]
	v_fma_f64 v[18:19], -v[4:5], v[6:7], 1.0
	s_delay_alu instid0(VALU_DEP_1) | instskip(NEXT) | instid1(VALU_DEP_1)
	v_fmac_f64_e32 v[6:7], v[6:7], v[18:19]
	v_mul_f64_e32 v[18:19], v[20:21], v[6:7]
	s_delay_alu instid0(VALU_DEP_1) | instskip(NEXT) | instid1(VALU_DEP_1)
	v_fma_f64 v[4:5], -v[4:5], v[18:19], v[20:21]
	v_div_fmas_f64 v[4:5], v[4:5], v[6:7], v[18:19]
	s_delay_alu instid0(VALU_DEP_1) | instskip(NEXT) | instid1(VALU_DEP_1)
	v_div_fixup_f64 v[4:5], v[4:5], v[2:3], v[0:1]
	v_fmac_f64_e32 v[2:3], v[0:1], v[4:5]
	s_delay_alu instid0(VALU_DEP_1) | instskip(SKIP_1) | instid1(VALU_DEP_2)
	v_div_scale_f64 v[0:1], null, v[2:3], v[2:3], 1.0
	v_div_scale_f64 v[20:21], vcc_lo, 1.0, v[2:3], 1.0
	v_rcp_f64_e32 v[6:7], v[0:1]
	v_nop
	s_delay_alu instid0(TRANS32_DEP_1) | instskip(NEXT) | instid1(VALU_DEP_1)
	v_fma_f64 v[18:19], -v[0:1], v[6:7], 1.0
	v_fmac_f64_e32 v[6:7], v[6:7], v[18:19]
	s_delay_alu instid0(VALU_DEP_1) | instskip(NEXT) | instid1(VALU_DEP_1)
	v_fma_f64 v[18:19], -v[0:1], v[6:7], 1.0
	v_fmac_f64_e32 v[6:7], v[6:7], v[18:19]
	s_delay_alu instid0(VALU_DEP_1) | instskip(NEXT) | instid1(VALU_DEP_1)
	v_mul_f64_e32 v[18:19], v[20:21], v[6:7]
	v_fma_f64 v[0:1], -v[0:1], v[18:19], v[20:21]
	s_delay_alu instid0(VALU_DEP_1) | instskip(SKIP_1) | instid1(VALU_DEP_2)
	v_div_fmas_f64 v[0:1], v[0:1], v[6:7], v[18:19]
	v_add_f64_e32 v[6:7], 0, v[4:5]
	v_div_fixup_f64 v[0:1], v[0:1], v[2:3], 1.0
	v_fma_f64 v[2:3], v[4:5], 0, -1.0
	s_delay_alu instid0(VALU_DEP_2) | instskip(NEXT) | instid1(VALU_DEP_2)
	v_mul_f64_e32 v[4:5], v[6:7], v[0:1]
	v_mul_f64_e32 v[6:7], v[2:3], v[0:1]
                                        ; implicit-def: $vgpr0_vgpr1
.LBB219_9:                              ;   in Loop: Header=BB219_3 Depth=1
	s_and_not1_saveexec_b32 s17, s17
	s_cbranch_execz .LBB219_11
; %bb.10:                               ;   in Loop: Header=BB219_3 Depth=1
	v_div_scale_f64 v[4:5], null, v[0:1], v[0:1], v[2:3]
	v_div_scale_f64 v[20:21], vcc_lo, v[2:3], v[0:1], v[2:3]
	s_delay_alu instid0(VALU_DEP_2) | instskip(SKIP_1) | instid1(TRANS32_DEP_1)
	v_rcp_f64_e32 v[6:7], v[4:5]
	v_nop
	v_fma_f64 v[18:19], -v[4:5], v[6:7], 1.0
	s_delay_alu instid0(VALU_DEP_1) | instskip(NEXT) | instid1(VALU_DEP_1)
	v_fmac_f64_e32 v[6:7], v[6:7], v[18:19]
	v_fma_f64 v[18:19], -v[4:5], v[6:7], 1.0
	s_delay_alu instid0(VALU_DEP_1) | instskip(NEXT) | instid1(VALU_DEP_1)
	v_fmac_f64_e32 v[6:7], v[6:7], v[18:19]
	v_mul_f64_e32 v[18:19], v[20:21], v[6:7]
	s_delay_alu instid0(VALU_DEP_1) | instskip(NEXT) | instid1(VALU_DEP_1)
	v_fma_f64 v[4:5], -v[4:5], v[18:19], v[20:21]
	v_div_fmas_f64 v[4:5], v[4:5], v[6:7], v[18:19]
	s_delay_alu instid0(VALU_DEP_1) | instskip(NEXT) | instid1(VALU_DEP_1)
	v_div_fixup_f64 v[4:5], v[4:5], v[0:1], v[2:3]
	v_fmac_f64_e32 v[0:1], v[2:3], v[4:5]
	s_delay_alu instid0(VALU_DEP_1) | instskip(SKIP_1) | instid1(VALU_DEP_2)
	v_div_scale_f64 v[2:3], null, v[0:1], v[0:1], 1.0
	v_div_scale_f64 v[20:21], vcc_lo, 1.0, v[0:1], 1.0
	v_rcp_f64_e32 v[6:7], v[2:3]
	v_nop
	s_delay_alu instid0(TRANS32_DEP_1) | instskip(NEXT) | instid1(VALU_DEP_1)
	v_fma_f64 v[18:19], -v[2:3], v[6:7], 1.0
	v_fmac_f64_e32 v[6:7], v[6:7], v[18:19]
	s_delay_alu instid0(VALU_DEP_1) | instskip(NEXT) | instid1(VALU_DEP_1)
	v_fma_f64 v[18:19], -v[2:3], v[6:7], 1.0
	v_fmac_f64_e32 v[6:7], v[6:7], v[18:19]
	s_delay_alu instid0(VALU_DEP_1) | instskip(NEXT) | instid1(VALU_DEP_1)
	v_mul_f64_e32 v[18:19], v[20:21], v[6:7]
	v_fma_f64 v[2:3], -v[2:3], v[18:19], v[20:21]
	s_delay_alu instid0(VALU_DEP_1) | instskip(SKIP_1) | instid1(VALU_DEP_2)
	v_div_fmas_f64 v[2:3], v[2:3], v[6:7], v[18:19]
	v_fma_f64 v[6:7], v[4:5], 0, 1.0
	v_div_fixup_f64 v[0:1], v[2:3], v[0:1], 1.0
	v_add_f64_e64 v[2:3], -v[4:5], 0
	s_delay_alu instid0(VALU_DEP_2) | instskip(NEXT) | instid1(VALU_DEP_2)
	v_mul_f64_e32 v[4:5], v[6:7], v[0:1]
	v_mul_f64_e32 v[6:7], v[2:3], v[0:1]
.LBB219_11:                             ;   in Loop: Header=BB219_3 Depth=1
	s_or_b32 exec_lo, exec_lo, s17
	s_branch .LBB219_13
.LBB219_12:                             ;   in Loop: Header=BB219_3 Depth=1
	v_mov_b64_e32 v[6:7], 0
	v_mov_b64_e32 v[4:5], 1.0
.LBB219_13:                             ;   in Loop: Header=BB219_3 Depth=1
	ds_store_b128 v16, v[4:7]
.LBB219_14:                             ;   in Loop: Header=BB219_3 Depth=1
	s_or_b32 exec_lo, exec_lo, s16
	s_mul_u64 s[16:17], s[14:15], s[20:21]
	s_and_saveexec_b32 s26, s1
	s_cbranch_execz .LBB219_17
; %bb.15:                               ;   in Loop: Header=BB219_3 Depth=1
	v_add_nc_u64_e32 v[0:1], s[16:17], v[14:15]
	v_mov_b32_e32 v2, v9
	s_mov_b32 s27, s19
.LBB219_16:                             ;   Parent Loop BB219_3 Depth=1
                                        ; =>  This Inner Loop Header: Depth=2
	global_load_b128 v[4:7], v[0:1], off offset:-8
	s_wait_xcnt 0x0
	v_add_nc_u64_e32 v[0:1], 16, v[0:1]
	s_add_co_i32 s27, s27, -1
	s_delay_alu instid0(SALU_CYCLE_1) | instskip(SKIP_3) | instid1(VALU_DEP_2)
	s_cmp_lg_u32 s27, 0
	s_wait_loadcnt 0x0
	v_mul_f64_e32 v[18:19], s[6:7], v[6:7]
	v_mul_f64_e32 v[20:21], s[4:5], v[6:7]
	v_fma_f64 v[18:19], s[4:5], v[4:5], -v[18:19]
	s_delay_alu instid0(VALU_DEP_2)
	v_fmac_f64_e32 v[20:21], s[6:7], v[4:5]
	ds_store_b128 v2, v[18:21]
	v_add_nc_u32_e32 v2, 0x140, v2
	s_cbranch_scc1 .LBB219_16
.LBB219_17:                             ;   in Loop: Header=BB219_3 Depth=1
	s_or_b32 exec_lo, exec_lo, s26
	s_delay_alu instid0(SALU_CYCLE_1)
	s_and_not1_b32 vcc_lo, exec_lo, s24
	s_mov_b32 s26, -1
	s_wait_dscnt 0x0
	; wave barrier
	s_cbranch_vccnz .LBB219_39
; %bb.18:                               ;   in Loop: Header=BB219_3 Depth=1
	s_mov_b32 s27, 0
	s_mov_b32 s26, 0
	s_branch .LBB219_20
.LBB219_19:                             ;   in Loop: Header=BB219_20 Depth=2
	s_cmp_lt_i32 s26, s19
	s_cselect_b32 s28, -1, 0
	s_add_co_i32 s29, s27, 1
	s_cmp_lt_u32 s27, 2
	s_wait_xcnt 0x0
	s_cselect_b32 s27, -1, 0
	s_delay_alu instid0(SALU_CYCLE_1) | instskip(NEXT) | instid1(SALU_CYCLE_1)
	s_and_b32 s27, s28, s27
	s_and_b32 vcc_lo, exec_lo, s27
	s_mov_b32 s27, s29
	s_cbranch_vccz .LBB219_38
.LBB219_20:                             ;   Parent Loop BB219_3 Depth=1
                                        ; =>  This Loop Header: Depth=2
                                        ;       Child Loop BB219_23 Depth 3
                                        ;         Child Loop BB219_24 Depth 4
                                        ;         Child Loop BB219_27 Depth 4
                                        ;           Child Loop BB219_28 Depth 5
                                        ;         Child Loop BB219_32 Depth 4
                                        ;           Child Loop BB219_34 Depth 5
	s_load_b32 s28, s[12:13], s27 offset:0x0 scale_offset
	s_wait_kmcnt 0x0
	s_add_co_i32 s29, s28, -1
	s_delay_alu instid0(SALU_CYCLE_1) | instskip(NEXT) | instid1(SALU_CYCLE_1)
	s_add_co_i32 s30, s29, s26
	s_cmp_ge_i32 s30, s19
	s_cbranch_scc1 .LBB219_19
; %bb.21:                               ;   in Loop: Header=BB219_20 Depth=2
	s_mul_i32 s30, s26, 0x140
	s_max_i32 s31, s28, 1
	v_add_nc_u32_e32 v4, s30, v9
	s_mul_i32 s33, s28, 0x140
	s_mul_i32 s34, s26, 0x150
	;; [unrolled: 1-line block ×3, first 2 shown]
	s_branch .LBB219_23
.LBB219_22:                             ;   in Loop: Header=BB219_23 Depth=3
	s_add_co_i32 s26, s26, s28
	v_add_nc_u32_e32 v4, s33, v4
	s_add_co_i32 s36, s29, s26
	s_add_co_i32 s30, s30, s33
	;; [unrolled: 1-line block ×3, first 2 shown]
	s_cmp_ge_i32 s36, s19
	s_cbranch_scc1 .LBB219_19
.LBB219_23:                             ;   Parent Loop BB219_3 Depth=1
                                        ;     Parent Loop BB219_20 Depth=2
                                        ; =>    This Loop Header: Depth=3
                                        ;         Child Loop BB219_24 Depth 4
                                        ;         Child Loop BB219_27 Depth 4
                                        ;           Child Loop BB219_28 Depth 5
                                        ;         Child Loop BB219_32 Depth 4
                                        ;           Child Loop BB219_34 Depth 5
	v_mov_b32_e32 v0, v4
	s_mov_b32 s36, 0
	s_mov_b32 s37, s31
.LBB219_24:                             ;   Parent Loop BB219_3 Depth=1
                                        ;     Parent Loop BB219_20 Depth=2
                                        ;       Parent Loop BB219_23 Depth=3
                                        ; =>      This Inner Loop Header: Depth=4
	ds_load_b128 v[18:21], v0
	v_add_nc_u32_e32 v0, 0x140, v0
	s_add_co_i32 s37, s37, -1
	s_wait_dscnt 0x0
	scratch_store_b128 off, v[18:21], s36
	s_wait_xcnt 0x0
	s_add_co_i32 s36, s36, 16
	s_cmp_eq_u32 s37, 0
	s_cbranch_scc0 .LBB219_24
; %bb.25:                               ;   in Loop: Header=BB219_23 Depth=3
	s_cmp_lt_i32 s26, 1
	s_cbranch_scc1 .LBB219_30
; %bb.26:                               ;   in Loop: Header=BB219_23 Depth=3
	s_mov_b32 s36, 0
	s_mov_b32 s37, s30
.LBB219_27:                             ;   Parent Loop BB219_3 Depth=1
                                        ;     Parent Loop BB219_20 Depth=2
                                        ;       Parent Loop BB219_23 Depth=3
                                        ; =>      This Loop Header: Depth=4
                                        ;           Child Loop BB219_28 Depth 5
	v_mad_u32 v0, 0x140, s36, v9
	s_mov_b32 s38, s18
	s_mov_b32 s39, s37
	;; [unrolled: 1-line block ×3, first 2 shown]
	ds_load_b128 v[0:3], v0
.LBB219_28:                             ;   Parent Loop BB219_3 Depth=1
                                        ;     Parent Loop BB219_20 Depth=2
                                        ;       Parent Loop BB219_23 Depth=3
                                        ;         Parent Loop BB219_27 Depth=4
                                        ; =>        This Inner Loop Header: Depth=5
	scratch_load_b128 v[18:21], off, s38 offset:-8
	v_mov_b32_e32 v5, s39
	s_add_co_i32 s40, s40, -1
	s_addk_co_i32 s39, 0x140
	ds_load_b128 v[22:25], v5
	s_wait_dscnt 0x0
	v_mul_f64_e32 v[6:7], v[2:3], v[24:25]
	v_mul_f64_e32 v[24:25], v[0:1], v[24:25]
	s_delay_alu instid0(VALU_DEP_2) | instskip(NEXT) | instid1(VALU_DEP_2)
	v_fma_f64 v[6:7], v[0:1], v[22:23], -v[6:7]
	v_fmac_f64_e32 v[24:25], v[2:3], v[22:23]
	s_wait_loadcnt 0x0
	s_delay_alu instid0(VALU_DEP_2) | instskip(NEXT) | instid1(VALU_DEP_2)
	v_add_f64_e64 v[18:19], v[18:19], -v[6:7]
	v_add_f64_e64 v[20:21], v[20:21], -v[24:25]
	scratch_store_b128 off, v[18:21], s38 offset:-8
	s_wait_xcnt 0x0
	s_add_co_i32 s38, s38, 16
	s_cmp_eq_u32 s40, 0
	s_cbranch_scc0 .LBB219_28
; %bb.29:                               ;   in Loop: Header=BB219_27 Depth=4
	s_add_co_i32 s36, s36, 1
	s_add_co_i32 s37, s37, 16
	s_cmp_eq_u32 s36, s26
	s_cbranch_scc0 .LBB219_27
.LBB219_30:                             ;   in Loop: Header=BB219_23 Depth=3
	s_mul_i32 s36, s26, 0x140
	s_mov_b32 s37, 0
	s_mov_b32 s38, s34
	s_branch .LBB219_32
.LBB219_31:                             ;   in Loop: Header=BB219_32 Depth=4
	s_wait_xcnt 0x0
	s_mulk_i32 s40, 0x150
	s_addk_co_i32 s38, 0x140
	v_mov_b32_e32 v5, s40
	s_lshl_b32 s40, s37, 4
	s_add_co_i32 s37, s37, 1
	s_delay_alu instid0(SALU_CYCLE_1) | instskip(SKIP_4) | instid1(VALU_DEP_2)
	s_cmp_eq_u32 s37, s31
	ds_load_b128 v[18:21], v5
	s_wait_loadcnt_dscnt 0x0
	v_mul_f64_e32 v[6:7], v[20:21], v[2:3]
	v_mul_f64_e32 v[24:25], v[18:19], v[2:3]
	v_fma_f64 v[22:23], v[18:19], v[0:1], -v[6:7]
	s_delay_alu instid0(VALU_DEP_2)
	v_fmac_f64_e32 v[24:25], v[20:21], v[0:1]
	v_add_nc_u32_e32 v0, s39, v9
	scratch_store_b128 off, v[22:25], s40
	ds_store_b128 v0, v[22:25]
	s_cbranch_scc1 .LBB219_22
.LBB219_32:                             ;   Parent Loop BB219_3 Depth=1
                                        ;     Parent Loop BB219_20 Depth=2
                                        ;       Parent Loop BB219_23 Depth=3
                                        ; =>      This Loop Header: Depth=4
                                        ;           Child Loop BB219_34 Depth 5
	s_cmp_lg_u32 s37, 0
	s_cbranch_scc0 .LBB219_36
; %bb.33:                               ;   in Loop: Header=BB219_32 Depth=4
	s_lshl_b32 s41, s37, 4
	s_wait_xcnt 0x0
	s_add_co_i32 s40, s37, s26
	scratch_load_b128 v[0:3], off, s41
	s_mul_i32 s39, s40, 0x140
	s_mov_b32 s42, s38
	s_mov_b32 s43, s18
	;; [unrolled: 1-line block ×3, first 2 shown]
.LBB219_34:                             ;   Parent Loop BB219_3 Depth=1
                                        ;     Parent Loop BB219_20 Depth=2
                                        ;       Parent Loop BB219_23 Depth=3
                                        ;         Parent Loop BB219_32 Depth=4
                                        ; =>        This Inner Loop Header: Depth=5
	scratch_load_b128 v[18:21], off, s43 offset:-8
	v_mov_b32_e32 v5, s42
	s_add_co_i32 s44, s44, -1
	s_wait_xcnt 0x0
	s_add_co_i32 s43, s43, 16
	s_add_co_i32 s42, s42, 16
	s_cmp_eq_u32 s44, 0
	ds_load_b128 v[22:25], v5
	s_wait_loadcnt_dscnt 0x0
	v_mul_f64_e32 v[6:7], v[24:25], v[20:21]
	v_mul_f64_e32 v[20:21], v[22:23], v[20:21]
	s_delay_alu instid0(VALU_DEP_2) | instskip(NEXT) | instid1(VALU_DEP_2)
	v_fma_f64 v[6:7], v[22:23], v[18:19], -v[6:7]
	v_fmac_f64_e32 v[20:21], v[24:25], v[18:19]
	s_delay_alu instid0(VALU_DEP_2) | instskip(NEXT) | instid1(VALU_DEP_2)
	v_add_f64_e64 v[0:1], v[0:1], -v[6:7]
	v_add_f64_e64 v[2:3], v[2:3], -v[20:21]
	scratch_store_b128 off, v[0:3], s41
	s_cbranch_scc0 .LBB219_34
; %bb.35:                               ;   in Loop: Header=BB219_32 Depth=4
	s_wait_xcnt 0x0
	s_branch .LBB219_31
.LBB219_36:                             ;   in Loop: Header=BB219_32 Depth=4
                                        ; implicit-def: $vgpr0_vgpr1
                                        ; implicit-def: $sgpr40
                                        ; implicit-def: $sgpr39
	s_cbranch_execz .LBB219_31
; %bb.37:                               ;   in Loop: Header=BB219_32 Depth=4
	scratch_load_b128 v[0:3], off, off
	s_mov_b32 s39, s36
	s_wait_xcnt 0x1
	s_mov_b32 s40, s26
	s_branch .LBB219_31
.LBB219_38:                             ;   in Loop: Header=BB219_3 Depth=1
	s_mov_b32 s26, 0
.LBB219_39:                             ;   in Loop: Header=BB219_3 Depth=1
	s_delay_alu instid0(SALU_CYCLE_1)
	s_and_b32 vcc_lo, exec_lo, s26
	s_cbranch_vccz .LBB219_59
; %bb.40:                               ;   in Loop: Header=BB219_3 Depth=1
	s_mov_b32 s27, 0
	s_mov_b32 s26, s22
	s_branch .LBB219_42
.LBB219_41:                             ;   in Loop: Header=BB219_42 Depth=2
	s_cmp_gt_i32 s26, -1
	s_cselect_b32 s28, -1, 0
	s_add_co_i32 s29, s27, 1
	s_cmp_lt_u32 s27, 2
	s_wait_xcnt 0x0
	s_cselect_b32 s27, -1, 0
	s_delay_alu instid0(SALU_CYCLE_1) | instskip(NEXT) | instid1(SALU_CYCLE_1)
	s_and_b32 s27, s28, s27
	s_and_not1_b32 vcc_lo, exec_lo, s27
	s_mov_b32 s27, s29
	s_cbranch_vccnz .LBB219_59
.LBB219_42:                             ;   Parent Loop BB219_3 Depth=1
                                        ; =>  This Loop Header: Depth=2
                                        ;       Child Loop BB219_45 Depth 3
                                        ;         Child Loop BB219_46 Depth 4
                                        ;         Child Loop BB219_48 Depth 4
                                        ;           Child Loop BB219_49 Depth 5
                                        ;         Child Loop BB219_53 Depth 4
                                        ;           Child Loop BB219_55 Depth 5
	s_load_b32 s28, s[12:13], s27 offset:0x0 scale_offset
	s_wait_kmcnt 0x0
	s_add_co_i32 s29, s28, -1
	s_delay_alu instid0(SALU_CYCLE_1)
	s_cmp_lt_i32 s26, s29
	s_cbranch_scc1 .LBB219_41
; %bb.43:                               ;   in Loop: Header=BB219_42 Depth=2
	v_mad_u32 v4, 0x140, s26, v9
	s_lshl_b32 s33, s26, 4
	s_lshl_b32 s34, s28, 4
	s_max_i32 s30, s28, 1
	s_mul_i32 s31, s28, 0xfffffec0
	s_add_co_i32 s33, s25, s33
	s_sub_co_i32 s34, 0, s34
	s_mul_i32 s35, s26, 0x150
	s_mul_i32 s36, s28, 0xfffffeb0
	s_branch .LBB219_45
.LBB219_44:                             ;   in Loop: Header=BB219_45 Depth=3
	v_add_nc_u32_e32 v4, s31, v4
	s_sub_co_i32 s26, s26, s28
	s_add_co_i32 s33, s33, s34
	s_add_co_i32 s35, s35, s36
	s_cmp_lt_i32 s26, s29
	s_cbranch_scc1 .LBB219_41
.LBB219_45:                             ;   Parent Loop BB219_3 Depth=1
                                        ;     Parent Loop BB219_42 Depth=2
                                        ; =>    This Loop Header: Depth=3
                                        ;         Child Loop BB219_46 Depth 4
                                        ;         Child Loop BB219_48 Depth 4
                                        ;           Child Loop BB219_49 Depth 5
                                        ;         Child Loop BB219_53 Depth 4
                                        ;           Child Loop BB219_55 Depth 5
	s_delay_alu instid0(VALU_DEP_1)
	v_mov_b32_e32 v0, v4
	s_mov_b32 s37, 0
	s_mov_b32 s38, s30
.LBB219_46:                             ;   Parent Loop BB219_3 Depth=1
                                        ;     Parent Loop BB219_42 Depth=2
                                        ;       Parent Loop BB219_45 Depth=3
                                        ; =>      This Inner Loop Header: Depth=4
	ds_load_b128 v[18:21], v0
	v_add_nc_u32_e32 v0, 0xfffffec0, v0
	s_add_co_i32 s38, s38, -1
	s_wait_dscnt 0x0
	scratch_store_b128 off, v[18:21], s37
	s_wait_xcnt 0x0
	s_add_co_i32 s37, s37, 16
	s_cmp_eq_u32 s38, 0
	s_cbranch_scc0 .LBB219_46
; %bb.47:                               ;   in Loop: Header=BB219_45 Depth=3
	s_cmp_le_i32 s22, s26
	s_mov_b32 s37, s33
	s_mov_b32 s38, s22
	s_cbranch_scc1 .LBB219_51
.LBB219_48:                             ;   Parent Loop BB219_3 Depth=1
                                        ;     Parent Loop BB219_42 Depth=2
                                        ;       Parent Loop BB219_45 Depth=3
                                        ; =>      This Loop Header: Depth=4
                                        ;           Child Loop BB219_49 Depth 5
	v_mad_u32 v0, 0x140, s38, v9
	s_mov_b32 s39, s18
	s_mov_b32 s40, s37
	;; [unrolled: 1-line block ×3, first 2 shown]
	ds_load_b128 v[0:3], v0
.LBB219_49:                             ;   Parent Loop BB219_3 Depth=1
                                        ;     Parent Loop BB219_42 Depth=2
                                        ;       Parent Loop BB219_45 Depth=3
                                        ;         Parent Loop BB219_48 Depth=4
                                        ; =>        This Inner Loop Header: Depth=5
	scratch_load_b128 v[18:21], off, s39 offset:-8
	v_mov_b32_e32 v5, s40
	s_add_co_i32 s41, s41, -1
	s_add_co_i32 s40, s40, -16
	ds_load_b128 v[22:25], v5
	s_wait_dscnt 0x0
	v_mul_f64_e32 v[6:7], v[2:3], v[24:25]
	v_mul_f64_e32 v[24:25], v[0:1], v[24:25]
	s_delay_alu instid0(VALU_DEP_2) | instskip(NEXT) | instid1(VALU_DEP_2)
	v_fma_f64 v[6:7], v[0:1], v[22:23], -v[6:7]
	v_fmac_f64_e32 v[24:25], v[2:3], v[22:23]
	s_wait_loadcnt 0x0
	s_delay_alu instid0(VALU_DEP_2) | instskip(NEXT) | instid1(VALU_DEP_2)
	v_add_f64_e64 v[18:19], v[18:19], -v[6:7]
	v_add_f64_e64 v[20:21], v[20:21], -v[24:25]
	scratch_store_b128 off, v[18:21], s39 offset:-8
	s_wait_xcnt 0x0
	s_add_co_i32 s39, s39, 16
	s_cmp_eq_u32 s41, 0
	s_cbranch_scc0 .LBB219_49
; %bb.50:                               ;   in Loop: Header=BB219_48 Depth=4
	s_add_co_i32 s38, s38, -1
	s_addk_co_i32 s37, 0xfec0
	s_cmp_le_i32 s38, s26
	s_cbranch_scc0 .LBB219_48
.LBB219_51:                             ;   in Loop: Header=BB219_45 Depth=3
	s_mov_b32 s37, 0
	s_mov_b32 s38, s35
	s_branch .LBB219_53
.LBB219_52:                             ;   in Loop: Header=BB219_53 Depth=4
	s_mul_i32 s40, s39, 0x150
	s_add_co_i32 s38, s38, -16
	v_mov_b32_e32 v5, s40
	ds_load_b128 v[18:21], v5
	s_wait_loadcnt_dscnt 0x0
	v_mul_f64_e32 v[6:7], v[20:21], v[2:3]
	s_wait_xcnt 0x0
	v_mul_f64_e32 v[24:25], v[18:19], v[2:3]
	s_delay_alu instid0(VALU_DEP_2) | instskip(NEXT) | instid1(VALU_DEP_2)
	v_fma_f64 v[22:23], v[18:19], v[0:1], -v[6:7]
	v_fmac_f64_e32 v[24:25], v[20:21], v[0:1]
	v_mad_u32 v0, 0x140, s39, v9
	s_lshl_b32 s39, s37, 4
	s_add_co_i32 s37, s37, 1
	s_delay_alu instid0(SALU_CYCLE_1)
	s_cmp_eq_u32 s37, s30
	scratch_store_b128 off, v[22:25], s39
	ds_store_b128 v0, v[22:25]
	s_cbranch_scc1 .LBB219_44
.LBB219_53:                             ;   Parent Loop BB219_3 Depth=1
                                        ;     Parent Loop BB219_42 Depth=2
                                        ;       Parent Loop BB219_45 Depth=3
                                        ; =>      This Loop Header: Depth=4
                                        ;           Child Loop BB219_55 Depth 5
	s_cmp_lg_u32 s37, 0
	s_cbranch_scc0 .LBB219_57
; %bb.54:                               ;   in Loop: Header=BB219_53 Depth=4
	s_lshl_b32 s40, s37, 4
	s_wait_xcnt 0x0
	s_sub_co_i32 s39, s26, s37
	scratch_load_b128 v[0:3], off, s40
	s_mov_b32 s41, s18
	s_mov_b32 s42, s38
	;; [unrolled: 1-line block ×3, first 2 shown]
.LBB219_55:                             ;   Parent Loop BB219_3 Depth=1
                                        ;     Parent Loop BB219_42 Depth=2
                                        ;       Parent Loop BB219_45 Depth=3
                                        ;         Parent Loop BB219_53 Depth=4
                                        ; =>        This Inner Loop Header: Depth=5
	scratch_load_b128 v[18:21], off, s41 offset:-8
	v_mov_b32_e32 v5, s42
	s_add_co_i32 s43, s43, -1
	s_addk_co_i32 s42, 0xfec0
	s_wait_xcnt 0x0
	s_add_co_i32 s41, s41, 16
	s_cmp_eq_u32 s43, 0
	ds_load_b128 v[22:25], v5
	s_wait_loadcnt_dscnt 0x0
	v_mul_f64_e32 v[6:7], v[24:25], v[20:21]
	v_mul_f64_e32 v[20:21], v[22:23], v[20:21]
	s_delay_alu instid0(VALU_DEP_2) | instskip(NEXT) | instid1(VALU_DEP_2)
	v_fma_f64 v[6:7], v[22:23], v[18:19], -v[6:7]
	v_fmac_f64_e32 v[20:21], v[24:25], v[18:19]
	s_delay_alu instid0(VALU_DEP_2) | instskip(NEXT) | instid1(VALU_DEP_2)
	v_add_f64_e64 v[0:1], v[0:1], -v[6:7]
	v_add_f64_e64 v[2:3], v[2:3], -v[20:21]
	scratch_store_b128 off, v[0:3], s40
	s_cbranch_scc0 .LBB219_55
; %bb.56:                               ;   in Loop: Header=BB219_53 Depth=4
	s_wait_xcnt 0x0
	s_branch .LBB219_52
.LBB219_57:                             ;   in Loop: Header=BB219_53 Depth=4
                                        ; implicit-def: $vgpr0_vgpr1
                                        ; implicit-def: $sgpr39
	s_cbranch_execz .LBB219_52
; %bb.58:                               ;   in Loop: Header=BB219_53 Depth=4
	scratch_load_b128 v[0:3], off, off
	s_wait_xcnt 0x1
	s_mov_b32 s39, s26
	s_branch .LBB219_52
.LBB219_59:                             ;   in Loop: Header=BB219_3 Depth=1
	; wave barrier
	s_wait_storecnt_dscnt 0x0
	s_wait_xcnt 0x0
	s_and_saveexec_b32 s26, s1
	s_cbranch_execz .LBB219_2
; %bb.60:                               ;   in Loop: Header=BB219_3 Depth=1
	v_add_nc_u64_e32 v[0:1], s[16:17], v[10:11]
	v_mov_b32_e32 v2, v9
	s_mov_b32 s16, s19
.LBB219_61:                             ;   Parent Loop BB219_3 Depth=1
                                        ; =>  This Inner Loop Header: Depth=2
	ds_load_2addr_b64 v[4:7], v2 offset1:1
	v_add_nc_u32_e32 v2, 0x140, v2
	s_add_co_i32 s16, s16, -1
	s_delay_alu instid0(SALU_CYCLE_1)
	s_cmp_lg_u32 s16, 0
	s_wait_dscnt 0x0
	global_store_b128 v[0:1], v[4:7], off
	s_wait_xcnt 0x0
	v_add_nc_u64_e32 v[0:1], 16, v[0:1]
	s_cbranch_scc1 .LBB219_61
	s_branch .LBB219_2
.LBB219_62:
	s_endpgm
	.section	.rodata,"a",@progbits
	.p2align	6, 0x0
	.amdhsa_kernel _ZL38rocblas_trsm_small_left_device_sharedBILi20ELi20ELb0E19rocblas_complex_numIdES1_PKS1_PS1_Ev13rocblas_fill_18rocblas_operation_17rocblas_diagonal_iiT3_T4_lilT5_lili
		.amdhsa_group_segment_fixed_size 12800
		.amdhsa_private_segment_fixed_size 336
		.amdhsa_kernarg_size 368
		.amdhsa_user_sgpr_count 2
		.amdhsa_user_sgpr_dispatch_ptr 0
		.amdhsa_user_sgpr_queue_ptr 0
		.amdhsa_user_sgpr_kernarg_segment_ptr 1
		.amdhsa_user_sgpr_dispatch_id 0
		.amdhsa_user_sgpr_kernarg_preload_length 0
		.amdhsa_user_sgpr_kernarg_preload_offset 0
		.amdhsa_user_sgpr_private_segment_size 0
		.amdhsa_wavefront_size32 1
		.amdhsa_uses_dynamic_stack 0
		.amdhsa_enable_private_segment 1
		.amdhsa_system_sgpr_workgroup_id_x 1
		.amdhsa_system_sgpr_workgroup_id_y 0
		.amdhsa_system_sgpr_workgroup_id_z 1
		.amdhsa_system_sgpr_workgroup_info 0
		.amdhsa_system_vgpr_workitem_id 0
		.amdhsa_next_free_vgpr 129
		.amdhsa_next_free_sgpr 45
		.amdhsa_named_barrier_count 0
		.amdhsa_reserve_vcc 1
		.amdhsa_float_round_mode_32 0
		.amdhsa_float_round_mode_16_64 0
		.amdhsa_float_denorm_mode_32 3
		.amdhsa_float_denorm_mode_16_64 3
		.amdhsa_fp16_overflow 0
		.amdhsa_memory_ordered 1
		.amdhsa_forward_progress 1
		.amdhsa_inst_pref_size 22
		.amdhsa_round_robin_scheduling 0
		.amdhsa_exception_fp_ieee_invalid_op 0
		.amdhsa_exception_fp_denorm_src 0
		.amdhsa_exception_fp_ieee_div_zero 0
		.amdhsa_exception_fp_ieee_overflow 0
		.amdhsa_exception_fp_ieee_underflow 0
		.amdhsa_exception_fp_ieee_inexact 0
		.amdhsa_exception_int_div_zero 0
	.end_amdhsa_kernel
	.section	.text._ZL38rocblas_trsm_small_left_device_sharedBILi20ELi20ELb0E19rocblas_complex_numIdES1_PKS1_PS1_Ev13rocblas_fill_18rocblas_operation_17rocblas_diagonal_iiT3_T4_lilT5_lili,"axG",@progbits,_ZL38rocblas_trsm_small_left_device_sharedBILi20ELi20ELb0E19rocblas_complex_numIdES1_PKS1_PS1_Ev13rocblas_fill_18rocblas_operation_17rocblas_diagonal_iiT3_T4_lilT5_lili,comdat
.Lfunc_end219:
	.size	_ZL38rocblas_trsm_small_left_device_sharedBILi20ELi20ELb0E19rocblas_complex_numIdES1_PKS1_PS1_Ev13rocblas_fill_18rocblas_operation_17rocblas_diagonal_iiT3_T4_lilT5_lili, .Lfunc_end219-_ZL38rocblas_trsm_small_left_device_sharedBILi20ELi20ELb0E19rocblas_complex_numIdES1_PKS1_PS1_Ev13rocblas_fill_18rocblas_operation_17rocblas_diagonal_iiT3_T4_lilT5_lili
                                        ; -- End function
	.set _ZL38rocblas_trsm_small_left_device_sharedBILi20ELi20ELb0E19rocblas_complex_numIdES1_PKS1_PS1_Ev13rocblas_fill_18rocblas_operation_17rocblas_diagonal_iiT3_T4_lilT5_lili.num_vgpr, 26
	.set _ZL38rocblas_trsm_small_left_device_sharedBILi20ELi20ELb0E19rocblas_complex_numIdES1_PKS1_PS1_Ev13rocblas_fill_18rocblas_operation_17rocblas_diagonal_iiT3_T4_lilT5_lili.num_agpr, 0
	.set _ZL38rocblas_trsm_small_left_device_sharedBILi20ELi20ELb0E19rocblas_complex_numIdES1_PKS1_PS1_Ev13rocblas_fill_18rocblas_operation_17rocblas_diagonal_iiT3_T4_lilT5_lili.numbered_sgpr, 45
	.set _ZL38rocblas_trsm_small_left_device_sharedBILi20ELi20ELb0E19rocblas_complex_numIdES1_PKS1_PS1_Ev13rocblas_fill_18rocblas_operation_17rocblas_diagonal_iiT3_T4_lilT5_lili.num_named_barrier, 0
	.set _ZL38rocblas_trsm_small_left_device_sharedBILi20ELi20ELb0E19rocblas_complex_numIdES1_PKS1_PS1_Ev13rocblas_fill_18rocblas_operation_17rocblas_diagonal_iiT3_T4_lilT5_lili.private_seg_size, 336
	.set _ZL38rocblas_trsm_small_left_device_sharedBILi20ELi20ELb0E19rocblas_complex_numIdES1_PKS1_PS1_Ev13rocblas_fill_18rocblas_operation_17rocblas_diagonal_iiT3_T4_lilT5_lili.uses_vcc, 1
	.set _ZL38rocblas_trsm_small_left_device_sharedBILi20ELi20ELb0E19rocblas_complex_numIdES1_PKS1_PS1_Ev13rocblas_fill_18rocblas_operation_17rocblas_diagonal_iiT3_T4_lilT5_lili.uses_flat_scratch, 0
	.set _ZL38rocblas_trsm_small_left_device_sharedBILi20ELi20ELb0E19rocblas_complex_numIdES1_PKS1_PS1_Ev13rocblas_fill_18rocblas_operation_17rocblas_diagonal_iiT3_T4_lilT5_lili.has_dyn_sized_stack, 0
	.set _ZL38rocblas_trsm_small_left_device_sharedBILi20ELi20ELb0E19rocblas_complex_numIdES1_PKS1_PS1_Ev13rocblas_fill_18rocblas_operation_17rocblas_diagonal_iiT3_T4_lilT5_lili.has_recursion, 0
	.set _ZL38rocblas_trsm_small_left_device_sharedBILi20ELi20ELb0E19rocblas_complex_numIdES1_PKS1_PS1_Ev13rocblas_fill_18rocblas_operation_17rocblas_diagonal_iiT3_T4_lilT5_lili.has_indirect_call, 0
	.section	.AMDGPU.csdata,"",@progbits
; Kernel info:
; codeLenInByte = 2752
; TotalNumSgprs: 47
; NumVgprs: 26
; ScratchSize: 336
; MemoryBound: 0
; FloatMode: 240
; IeeeMode: 1
; LDSByteSize: 12800 bytes/workgroup (compile time only)
; SGPRBlocks: 0
; VGPRBlocks: 8
; NumSGPRsForWavesPerEU: 47
; NumVGPRsForWavesPerEU: 129
; NamedBarCnt: 0
; Occupancy: 7
; WaveLimiterHint : 0
; COMPUTE_PGM_RSRC2:SCRATCH_EN: 1
; COMPUTE_PGM_RSRC2:USER_SGPR: 2
; COMPUTE_PGM_RSRC2:TRAP_HANDLER: 0
; COMPUTE_PGM_RSRC2:TGID_X_EN: 1
; COMPUTE_PGM_RSRC2:TGID_Y_EN: 0
; COMPUTE_PGM_RSRC2:TGID_Z_EN: 1
; COMPUTE_PGM_RSRC2:TIDIG_COMP_CNT: 0
	.section	.text._ZL30rocblas_trsm_small_left_deviceILi20ELi20ELb0E19rocblas_complex_numIdES1_PKS1_PS1_Ev13rocblas_fill_18rocblas_operation_17rocblas_diagonal_iiT3_T4_lilT5_lili,"axG",@progbits,_ZL30rocblas_trsm_small_left_deviceILi20ELi20ELb0E19rocblas_complex_numIdES1_PKS1_PS1_Ev13rocblas_fill_18rocblas_operation_17rocblas_diagonal_iiT3_T4_lilT5_lili,comdat
	.globl	_ZL30rocblas_trsm_small_left_deviceILi20ELi20ELb0E19rocblas_complex_numIdES1_PKS1_PS1_Ev13rocblas_fill_18rocblas_operation_17rocblas_diagonal_iiT3_T4_lilT5_lili ; -- Begin function _ZL30rocblas_trsm_small_left_deviceILi20ELi20ELb0E19rocblas_complex_numIdES1_PKS1_PS1_Ev13rocblas_fill_18rocblas_operation_17rocblas_diagonal_iiT3_T4_lilT5_lili
	.p2align	8
	.type	_ZL30rocblas_trsm_small_left_deviceILi20ELi20ELb0E19rocblas_complex_numIdES1_PKS1_PS1_Ev13rocblas_fill_18rocblas_operation_17rocblas_diagonal_iiT3_T4_lilT5_lili,@function
_ZL30rocblas_trsm_small_left_deviceILi20ELi20ELb0E19rocblas_complex_numIdES1_PKS1_PS1_Ev13rocblas_fill_18rocblas_operation_17rocblas_diagonal_iiT3_T4_lilT5_lili: ; @_ZL30rocblas_trsm_small_left_deviceILi20ELi20ELb0E19rocblas_complex_numIdES1_PKS1_PS1_Ev13rocblas_fill_18rocblas_operation_17rocblas_diagonal_iiT3_T4_lilT5_lili
; %bb.0:
	s_load_b32 s3, s[0:1], 0x68
	s_bfe_u32 s2, ttmp6, 0x40014
	s_lshr_b32 s5, ttmp7, 16
	s_add_co_i32 s2, s2, 1
	s_bfe_u32 s6, ttmp6, 0x40008
	s_mul_i32 s2, s5, s2
	s_getreg_b32 s4, hwreg(HW_REG_IB_STS2, 6, 4)
	s_add_co_i32 s6, s6, s2
	s_cmp_eq_u32 s4, 0
	s_mov_b32 s23, 0
	s_cselect_b32 s20, s5, s6
	s_wait_kmcnt 0x0
	s_cmp_ge_u32 s20, s3
	s_cbranch_scc1 .LBB220_59
; %bb.1:
	s_clause 0x5
	s_load_b32 s26, s[0:1], 0x38
	s_load_b96 s[8:10], s[0:1], 0x50
	s_load_b128 s[12:15], s[0:1], 0x4
	s_load_b32 s6, s[0:1], 0x70
	s_load_b64 s[24:25], s[0:1], 0x60
	s_load_b128 s[16:19], s[0:1], 0x40
	v_mov_b32_e32 v9, 0
	v_mul_u32_u24_e32 v1, 0x140, v0
	s_mov_b32 s39, 0
                                        ; implicit-def: $sgpr40
                                        ; implicit-def: $sgpr41
	v_lshlrev_b32_e32 v8, 4, v0
	s_wait_kmcnt 0x0
	s_ashr_i32 s27, s26, 31
	s_ashr_i32 s5, s10, 31
	s_cmp_eq_u32 s12, 0x71
	s_cselect_b32 s2, -1, 0
	s_bfe_u32 s7, ttmp6, 0x4000c
	s_min_i32 s33, s14, 20
	s_add_co_i32 s7, s7, 1
	s_add_co_i32 s14, s6, -1
	s_and_b32 s6, ttmp6, 15
	s_mul_i32 s7, ttmp9, s7
	s_lshl_b64 s[28:29], s[8:9], 4
	s_add_co_i32 s34, s33, -1
	s_add_co_i32 s6, s6, s7
	s_cmp_eq_u32 s4, 0
	s_mov_b32 s4, s10
	s_cselect_b32 s21, ttmp9, s6
	s_mul_i32 s38, s33, 0x140
	v_mad_u32 v2, s21, 20, v0
	s_delay_alu instid0(VALU_DEP_1) | instskip(NEXT) | instid1(VALU_DEP_1)
	v_ashrrev_i32_e32 v3, 31, v2
	v_mul_u64_e32 v[2:3], s[4:5], v[2:3]
	s_load_b256 s[4:11], s[0:1], 0x18
	s_wait_xcnt 0x0
	s_mul_i32 s0, s21, 0xffffffec
	s_delay_alu instid0(SALU_CYCLE_1)
	s_add_co_i32 s0, s15, s0
	s_cmp_ge_u32 s21, s14
	s_cselect_b32 s14, s0, 20
	s_cmp_lg_u32 s13, 0x84
	s_cselect_b32 s35, -1, 0
	s_cmp_lg_u32 s12, 0x6f
	s_get_pc_i64 s[12:13]
	s_add_nc_u64 s[12:13], s[12:13], __const._ZL30rocblas_trsm_small_left_deviceILi20ELi20ELb0E19rocblas_complex_numIdES1_PKS1_PS1_Ev13rocblas_fill_18rocblas_operation_17rocblas_diagonal_iiT3_T4_lilT5_lili.step_sizes@rel64+4
	s_cselect_b32 s36, -1, 0
	s_or_b32 s37, 0, 8
	s_addk_co_i32 s38, 0xfec0
	s_wait_kmcnt 0x0
	s_lshl_b64 s[0:1], s[10:11], 4
	s_lshl_b64 s[10:11], s[26:27], 4
	s_add_nc_u64 s[0:1], s[8:9], s[0:1]
	s_add_nc_u64 s[8:9], s[18:19], s[28:29]
	v_add_nc_u64_e32 v[4:5], s[0:1], v[8:9]
	v_cmp_gt_i32_e64 s0, s33, v0
	v_cmp_gt_i32_e64 s1, s14, v0
	v_add_nc_u32_e32 v9, v8, v1
	s_lshl_b64 s[14:15], s[24:25], 4
	v_lshl_add_u64 v[10:11], v[2:3], 4, s[8:9]
	v_add_nc_u64_e32 v[12:13], 8, v[4:5]
	s_lshl_b64 s[8:9], s[16:17], 4
	s_delay_alu instid0(VALU_DEP_2)
	v_add_nc_u64_e32 v[14:15], 8, v[10:11]
	s_branch .LBB220_4
.LBB220_2:                              ;   in Loop: Header=BB220_4 Depth=1
	s_add_co_i32 s20, s20, 0x10000
	s_delay_alu instid0(SALU_CYCLE_1)
	s_cmp_ge_u32 s20, s3
	s_cselect_b32 s16, -1, 0
	s_and_not1_b32 s41, s41, exec_lo
	s_or_not1_b32 s16, s16, exec_lo
.LBB220_3:                              ;   in Loop: Header=BB220_4 Depth=1
	s_wait_xcnt 0x0
	s_or_b32 exec_lo, exec_lo, s42
	s_delay_alu instid0(SALU_CYCLE_1) | instskip(NEXT) | instid1(SALU_CYCLE_1)
	s_and_b32 s16, exec_lo, s16
	s_or_b32 s39, s16, s39
	s_and_not1_b32 s16, s40, exec_lo
	s_and_b32 s17, s41, exec_lo
	s_delay_alu instid0(SALU_CYCLE_1)
	s_or_b32 s40, s16, s17
	s_and_not1_b32 exec_lo, exec_lo, s39
	s_cbranch_execz .LBB220_58
.LBB220_4:                              ; =>This Loop Header: Depth=1
                                        ;     Child Loop BB220_6 Depth 2
                                        ;     Child Loop BB220_19 Depth 2
                                        ;       Child Loop BB220_22 Depth 3
                                        ;         Child Loop BB220_23 Depth 4
                                        ;         Child Loop BB220_26 Depth 4
                                        ;           Child Loop BB220_27 Depth 5
                                        ;         Child Loop BB220_31 Depth 4
                                        ;           Child Loop BB220_33 Depth 5
                                        ;     Child Loop BB220_41 Depth 2
                                        ;       Child Loop BB220_44 Depth 3
                                        ;         Child Loop BB220_45 Depth 4
                                        ;         Child Loop BB220_47 Depth 4
                                        ;           Child Loop BB220_48 Depth 5
                                        ;         Child Loop BB220_52 Depth 4
                                        ;           Child Loop BB220_54 Depth 5
	s_mov_b32 s21, s23
	s_and_saveexec_b32 s16, s0
	s_cbranch_execz .LBB220_15
; %bb.5:                                ;   in Loop: Header=BB220_4 Depth=1
	v_mad_nc_u64_u32 v[0:1], s8, s20, v[12:13]
	v_mov_b32_e32 v2, v8
	s_mov_b32 s17, s33
	s_delay_alu instid0(VALU_DEP_2)
	v_mad_u32 v1, s9, s20, v1
.LBB220_6:                              ;   Parent Loop BB220_4 Depth=1
                                        ; =>  This Inner Loop Header: Depth=2
	global_load_b128 v[4:7], v[0:1], off offset:-8
	s_wait_xcnt 0x0
	v_add_nc_u64_e32 v[0:1], s[10:11], v[0:1]
	s_add_co_i32 s17, s17, -1
	s_delay_alu instid0(SALU_CYCLE_1) | instskip(SKIP_2) | instid1(VALU_DEP_1)
	s_cmp_eq_u32 s17, 0
	s_wait_loadcnt 0x0
	v_xor_b32_e32 v3, 0x80000000, v7
	v_cndmask_b32_e64 v7, v7, v3, s2
	ds_store_b128 v2, v[4:7]
	v_add_nc_u32_e32 v2, 0x140, v2
	s_cbranch_scc0 .LBB220_6
; %bb.7:                                ;   in Loop: Header=BB220_4 Depth=1
	s_and_b32 vcc_lo, exec_lo, s35
	s_cbranch_vccz .LBB220_13
; %bb.8:                                ;   in Loop: Header=BB220_4 Depth=1
	ds_load_b128 v[0:3], v9
                                        ; implicit-def: $vgpr6_vgpr7
	s_wait_dscnt 0x0
	v_cmp_ngt_f64_e64 s17, |v[0:1]|, |v[2:3]|
	s_and_saveexec_b32 s18, s17
	s_delay_alu instid0(SALU_CYCLE_1)
	s_xor_b32 s17, exec_lo, s18
	s_cbranch_execz .LBB220_10
; %bb.9:                                ;   in Loop: Header=BB220_4 Depth=1
	v_div_scale_f64 v[4:5], null, v[2:3], v[2:3], v[0:1]
	v_div_scale_f64 v[18:19], vcc_lo, v[0:1], v[2:3], v[0:1]
	s_delay_alu instid0(VALU_DEP_2) | instskip(SKIP_1) | instid1(TRANS32_DEP_1)
	v_rcp_f64_e32 v[6:7], v[4:5]
	v_nop
	v_fma_f64 v[16:17], -v[4:5], v[6:7], 1.0
	s_delay_alu instid0(VALU_DEP_1) | instskip(NEXT) | instid1(VALU_DEP_1)
	v_fmac_f64_e32 v[6:7], v[6:7], v[16:17]
	v_fma_f64 v[16:17], -v[4:5], v[6:7], 1.0
	s_delay_alu instid0(VALU_DEP_1) | instskip(NEXT) | instid1(VALU_DEP_1)
	v_fmac_f64_e32 v[6:7], v[6:7], v[16:17]
	v_mul_f64_e32 v[16:17], v[18:19], v[6:7]
	s_delay_alu instid0(VALU_DEP_1) | instskip(NEXT) | instid1(VALU_DEP_1)
	v_fma_f64 v[4:5], -v[4:5], v[16:17], v[18:19]
	v_div_fmas_f64 v[4:5], v[4:5], v[6:7], v[16:17]
	s_delay_alu instid0(VALU_DEP_1) | instskip(NEXT) | instid1(VALU_DEP_1)
	v_div_fixup_f64 v[4:5], v[4:5], v[2:3], v[0:1]
	v_fmac_f64_e32 v[2:3], v[0:1], v[4:5]
	s_delay_alu instid0(VALU_DEP_1) | instskip(SKIP_1) | instid1(VALU_DEP_2)
	v_div_scale_f64 v[0:1], null, v[2:3], v[2:3], 1.0
	v_div_scale_f64 v[18:19], vcc_lo, 1.0, v[2:3], 1.0
	v_rcp_f64_e32 v[6:7], v[0:1]
	v_nop
	s_delay_alu instid0(TRANS32_DEP_1) | instskip(NEXT) | instid1(VALU_DEP_1)
	v_fma_f64 v[16:17], -v[0:1], v[6:7], 1.0
	v_fmac_f64_e32 v[6:7], v[6:7], v[16:17]
	s_delay_alu instid0(VALU_DEP_1) | instskip(NEXT) | instid1(VALU_DEP_1)
	v_fma_f64 v[16:17], -v[0:1], v[6:7], 1.0
	v_fmac_f64_e32 v[6:7], v[6:7], v[16:17]
	s_delay_alu instid0(VALU_DEP_1) | instskip(NEXT) | instid1(VALU_DEP_1)
	v_mul_f64_e32 v[16:17], v[18:19], v[6:7]
	v_fma_f64 v[0:1], -v[0:1], v[16:17], v[18:19]
	s_delay_alu instid0(VALU_DEP_1) | instskip(SKIP_1) | instid1(VALU_DEP_2)
	v_div_fmas_f64 v[0:1], v[0:1], v[6:7], v[16:17]
	v_add_f64_e32 v[6:7], 0, v[4:5]
	v_div_fixup_f64 v[0:1], v[0:1], v[2:3], 1.0
	v_fma_f64 v[2:3], v[4:5], 0, -1.0
	s_delay_alu instid0(VALU_DEP_2) | instskip(NEXT) | instid1(VALU_DEP_2)
	v_mul_f64_e32 v[4:5], v[6:7], v[0:1]
	v_mul_f64_e32 v[6:7], v[2:3], v[0:1]
                                        ; implicit-def: $vgpr0_vgpr1
.LBB220_10:                             ;   in Loop: Header=BB220_4 Depth=1
	s_and_not1_saveexec_b32 s17, s17
	s_cbranch_execz .LBB220_12
; %bb.11:                               ;   in Loop: Header=BB220_4 Depth=1
	v_div_scale_f64 v[4:5], null, v[0:1], v[0:1], v[2:3]
	v_div_scale_f64 v[18:19], vcc_lo, v[2:3], v[0:1], v[2:3]
	s_delay_alu instid0(VALU_DEP_2) | instskip(SKIP_1) | instid1(TRANS32_DEP_1)
	v_rcp_f64_e32 v[6:7], v[4:5]
	v_nop
	v_fma_f64 v[16:17], -v[4:5], v[6:7], 1.0
	s_delay_alu instid0(VALU_DEP_1) | instskip(NEXT) | instid1(VALU_DEP_1)
	v_fmac_f64_e32 v[6:7], v[6:7], v[16:17]
	v_fma_f64 v[16:17], -v[4:5], v[6:7], 1.0
	s_delay_alu instid0(VALU_DEP_1) | instskip(NEXT) | instid1(VALU_DEP_1)
	v_fmac_f64_e32 v[6:7], v[6:7], v[16:17]
	v_mul_f64_e32 v[16:17], v[18:19], v[6:7]
	s_delay_alu instid0(VALU_DEP_1) | instskip(NEXT) | instid1(VALU_DEP_1)
	v_fma_f64 v[4:5], -v[4:5], v[16:17], v[18:19]
	v_div_fmas_f64 v[4:5], v[4:5], v[6:7], v[16:17]
	s_delay_alu instid0(VALU_DEP_1) | instskip(NEXT) | instid1(VALU_DEP_1)
	v_div_fixup_f64 v[4:5], v[4:5], v[0:1], v[2:3]
	v_fmac_f64_e32 v[0:1], v[2:3], v[4:5]
	s_delay_alu instid0(VALU_DEP_1) | instskip(SKIP_1) | instid1(VALU_DEP_2)
	v_div_scale_f64 v[2:3], null, v[0:1], v[0:1], 1.0
	v_div_scale_f64 v[18:19], vcc_lo, 1.0, v[0:1], 1.0
	v_rcp_f64_e32 v[6:7], v[2:3]
	v_nop
	s_delay_alu instid0(TRANS32_DEP_1) | instskip(NEXT) | instid1(VALU_DEP_1)
	v_fma_f64 v[16:17], -v[2:3], v[6:7], 1.0
	v_fmac_f64_e32 v[6:7], v[6:7], v[16:17]
	s_delay_alu instid0(VALU_DEP_1) | instskip(NEXT) | instid1(VALU_DEP_1)
	v_fma_f64 v[16:17], -v[2:3], v[6:7], 1.0
	v_fmac_f64_e32 v[6:7], v[6:7], v[16:17]
	s_delay_alu instid0(VALU_DEP_1) | instskip(NEXT) | instid1(VALU_DEP_1)
	v_mul_f64_e32 v[16:17], v[18:19], v[6:7]
	v_fma_f64 v[2:3], -v[2:3], v[16:17], v[18:19]
	s_delay_alu instid0(VALU_DEP_1) | instskip(SKIP_1) | instid1(VALU_DEP_2)
	v_div_fmas_f64 v[2:3], v[2:3], v[6:7], v[16:17]
	v_fma_f64 v[6:7], v[4:5], 0, 1.0
	v_div_fixup_f64 v[0:1], v[2:3], v[0:1], 1.0
	v_add_f64_e64 v[2:3], -v[4:5], 0
	s_delay_alu instid0(VALU_DEP_2) | instskip(NEXT) | instid1(VALU_DEP_2)
	v_mul_f64_e32 v[4:5], v[6:7], v[0:1]
	v_mul_f64_e32 v[6:7], v[2:3], v[0:1]
.LBB220_12:                             ;   in Loop: Header=BB220_4 Depth=1
	s_or_b32 exec_lo, exec_lo, s17
	s_branch .LBB220_14
.LBB220_13:                             ;   in Loop: Header=BB220_4 Depth=1
	v_mov_b64_e32 v[6:7], 0
	v_mov_b64_e32 v[4:5], 1.0
.LBB220_14:                             ;   in Loop: Header=BB220_4 Depth=1
	ds_store_b128 v9, v[4:7]
.LBB220_15:                             ;   in Loop: Header=BB220_4 Depth=1
	s_or_b32 exec_lo, exec_lo, s16
	s_mov_b32 s16, -1
	s_or_b32 s41, s41, exec_lo
	s_wait_dscnt 0x0
	; wave barrier
	s_and_saveexec_b32 s42, s1
	s_cbranch_execz .LBB220_3
; %bb.16:                               ;   in Loop: Header=BB220_4 Depth=1
	s_mul_u64 s[16:17], s[24:25], s[20:21]
	s_and_not1_b32 vcc_lo, exec_lo, s36
	v_lshl_add_u64 v[4:5], s[16:17], 4, v[10:11]
	s_mul_u64 s[16:17], s[14:15], s[20:21]
	s_mov_b32 s18, -1
	s_cbranch_vccnz .LBB220_38
; %bb.17:                               ;   in Loop: Header=BB220_4 Depth=1
	v_add_nc_u64_e32 v[6:7], s[16:17], v[14:15]
	s_mov_b32 s21, 0
	s_mov_b32 s18, 0
	s_branch .LBB220_19
.LBB220_18:                             ;   in Loop: Header=BB220_19 Depth=2
	s_cmp_lt_i32 s18, s33
	s_cselect_b32 s19, -1, 0
	s_add_co_i32 s22, s21, 1
	s_cmp_lt_u32 s21, 2
	s_wait_xcnt 0x0
	s_cselect_b32 s21, -1, 0
	s_delay_alu instid0(SALU_CYCLE_1)
	s_and_b32 s19, s19, s21
	s_mov_b32 s21, s22
	s_and_b32 vcc_lo, exec_lo, s19
	s_cbranch_vccz .LBB220_37
.LBB220_19:                             ;   Parent Loop BB220_4 Depth=1
                                        ; =>  This Loop Header: Depth=2
                                        ;       Child Loop BB220_22 Depth 3
                                        ;         Child Loop BB220_23 Depth 4
                                        ;         Child Loop BB220_26 Depth 4
                                        ;           Child Loop BB220_27 Depth 5
                                        ;         Child Loop BB220_31 Depth 4
                                        ;           Child Loop BB220_33 Depth 5
	s_load_b32 s26, s[12:13], s21 offset:0x0 scale_offset
	s_wait_kmcnt 0x0
	s_add_co_i32 s43, s26, -1
	s_delay_alu instid0(SALU_CYCLE_1) | instskip(NEXT) | instid1(SALU_CYCLE_1)
	s_add_co_i32 s19, s43, s18
	s_cmp_ge_i32 s19, s33
	s_cbranch_scc1 .LBB220_18
; %bb.20:                               ;   in Loop: Header=BB220_19 Depth=2
	s_ashr_i32 s19, s18, 31
	s_ashr_i32 s27, s26, 31
	v_lshl_add_u64 v[16:17], s[18:19], 4, v[6:7]
	s_max_i32 s44, s26, 1
	s_lshl_b64 s[28:29], s[26:27], 4
	s_mul_i32 s19, s18, 0x140
	s_mul_i32 s27, s26, 0x140
	;; [unrolled: 1-line block ×4, first 2 shown]
	s_branch .LBB220_22
.LBB220_21:                             ;   in Loop: Header=BB220_22 Depth=3
	v_add_nc_u64_e32 v[16:17], s[28:29], v[16:17]
	s_add_co_i32 s18, s18, s26
	s_add_co_i32 s19, s19, s27
	;; [unrolled: 1-line block ×4, first 2 shown]
	s_cmp_ge_i32 s22, s33
	s_cbranch_scc1 .LBB220_18
.LBB220_22:                             ;   Parent Loop BB220_4 Depth=1
                                        ;     Parent Loop BB220_19 Depth=2
                                        ; =>    This Loop Header: Depth=3
                                        ;         Child Loop BB220_23 Depth 4
                                        ;         Child Loop BB220_26 Depth 4
                                        ;           Child Loop BB220_27 Depth 5
                                        ;         Child Loop BB220_31 Depth 4
                                        ;           Child Loop BB220_33 Depth 5
	s_wait_xcnt 0x0
	v_mov_b64_e32 v[0:1], v[16:17]
	s_mov_b32 s22, 8
	s_mov_b32 s30, s44
.LBB220_23:                             ;   Parent Loop BB220_4 Depth=1
                                        ;     Parent Loop BB220_19 Depth=2
                                        ;       Parent Loop BB220_22 Depth=3
                                        ; =>      This Inner Loop Header: Depth=4
	global_load_b128 v[18:21], v[0:1], off offset:-8
	s_wait_xcnt 0x0
	v_add_nc_u64_e32 v[0:1], 16, v[0:1]
	s_add_co_i32 s30, s30, -1
	s_mov_b32 s31, s22
	s_add_co_i32 s22, s22, 16
	s_cmp_eq_u32 s30, 0
	s_wait_loadcnt 0x0
	v_mul_f64_e32 v[2:3], s[6:7], v[20:21]
	v_mul_f64_e32 v[22:23], s[4:5], v[20:21]
	s_delay_alu instid0(VALU_DEP_2) | instskip(NEXT) | instid1(VALU_DEP_2)
	v_fma_f64 v[20:21], s[4:5], v[18:19], -v[2:3]
	v_fmac_f64_e32 v[22:23], s[6:7], v[18:19]
	scratch_store_b128 off, v[20:23], s31 offset:-8
	s_cbranch_scc0 .LBB220_23
; %bb.24:                               ;   in Loop: Header=BB220_22 Depth=3
	s_cmp_lt_i32 s18, 1
	s_cbranch_scc1 .LBB220_29
; %bb.25:                               ;   in Loop: Header=BB220_22 Depth=3
	s_mov_b32 s22, 0
	s_mov_b32 s30, s19
.LBB220_26:                             ;   Parent Loop BB220_4 Depth=1
                                        ;     Parent Loop BB220_19 Depth=2
                                        ;       Parent Loop BB220_22 Depth=3
                                        ; =>      This Loop Header: Depth=4
                                        ;           Child Loop BB220_27 Depth 5
	v_lshl_add_u64 v[0:1], s[22:23], 4, v[4:5]
	s_wait_xcnt 0x0
	s_mov_b32 s31, s37
	s_mov_b32 s47, s30
	;; [unrolled: 1-line block ×3, first 2 shown]
	global_load_b128 v[0:3], v[0:1], off
.LBB220_27:                             ;   Parent Loop BB220_4 Depth=1
                                        ;     Parent Loop BB220_19 Depth=2
                                        ;       Parent Loop BB220_22 Depth=3
                                        ;         Parent Loop BB220_26 Depth=4
                                        ; =>        This Inner Loop Header: Depth=5
	scratch_load_b128 v[18:21], off, s31 offset:-8
	v_mov_b32_e32 v22, s47
	s_add_co_i32 s48, s48, -1
	s_addk_co_i32 s47, 0x140
	ds_load_b128 v[22:25], v22
	s_wait_loadcnt_dscnt 0x100
	v_mul_f64_e32 v[26:27], v[2:3], v[24:25]
	v_mul_f64_e32 v[24:25], v[0:1], v[24:25]
	s_delay_alu instid0(VALU_DEP_2) | instskip(NEXT) | instid1(VALU_DEP_2)
	v_fma_f64 v[26:27], v[0:1], v[22:23], -v[26:27]
	v_fmac_f64_e32 v[24:25], v[2:3], v[22:23]
	s_wait_loadcnt 0x0
	s_delay_alu instid0(VALU_DEP_2) | instskip(NEXT) | instid1(VALU_DEP_2)
	v_add_f64_e64 v[18:19], v[18:19], -v[26:27]
	v_add_f64_e64 v[20:21], v[20:21], -v[24:25]
	scratch_store_b128 off, v[18:21], s31 offset:-8
	s_wait_xcnt 0x0
	s_add_co_i32 s31, s31, 16
	s_cmp_eq_u32 s48, 0
	s_cbranch_scc0 .LBB220_27
; %bb.28:                               ;   in Loop: Header=BB220_26 Depth=4
	s_add_co_i32 s22, s22, 1
	s_add_co_i32 s30, s30, 16
	s_cmp_eq_u32 s22, s18
	s_cbranch_scc0 .LBB220_26
.LBB220_29:                             ;   in Loop: Header=BB220_22 Depth=3
	s_mov_b32 s22, 0
	s_mov_b32 s47, s45
	s_branch .LBB220_31
.LBB220_30:                             ;   in Loop: Header=BB220_31 Depth=4
	s_mul_i32 s31, s30, 0x150
	s_lshl_b32 s48, s22, 4
	v_mov_b32_e32 v18, s31
	s_ashr_i32 s31, s30, 31
	s_add_co_i32 s22, s22, 1
	s_addk_co_i32 s47, 0x140
	s_cmp_eq_u32 s22, s44
	ds_load_b128 v[18:21], v18
	s_wait_loadcnt_dscnt 0x0
	v_mul_f64_e32 v[22:23], v[20:21], v[2:3]
	v_mul_f64_e32 v[24:25], v[18:19], v[2:3]
	s_delay_alu instid0(VALU_DEP_2) | instskip(NEXT) | instid1(VALU_DEP_2)
	v_fma_f64 v[22:23], v[18:19], v[0:1], -v[22:23]
	v_fmac_f64_e32 v[24:25], v[20:21], v[0:1]
	v_lshl_add_u64 v[0:1], s[30:31], 4, v[4:5]
	scratch_store_b128 off, v[22:25], s48
	global_store_b128 v[0:1], v[22:25], off
	s_cbranch_scc1 .LBB220_21
.LBB220_31:                             ;   Parent Loop BB220_4 Depth=1
                                        ;     Parent Loop BB220_19 Depth=2
                                        ;       Parent Loop BB220_22 Depth=3
                                        ; =>      This Loop Header: Depth=4
                                        ;           Child Loop BB220_33 Depth 5
	s_cmp_lg_u32 s22, 0
	s_cbranch_scc0 .LBB220_35
; %bb.32:                               ;   in Loop: Header=BB220_31 Depth=4
	s_wait_xcnt 0x0
	s_lshl_b32 s31, s22, 4
	s_add_co_i32 s30, s22, s18
	scratch_load_b128 v[0:3], off, s31
	s_mov_b32 s48, s47
	s_mov_b32 s49, s37
	;; [unrolled: 1-line block ×3, first 2 shown]
.LBB220_33:                             ;   Parent Loop BB220_4 Depth=1
                                        ;     Parent Loop BB220_19 Depth=2
                                        ;       Parent Loop BB220_22 Depth=3
                                        ;         Parent Loop BB220_31 Depth=4
                                        ; =>        This Inner Loop Header: Depth=5
	scratch_load_b128 v[18:21], off, s49 offset:-8
	v_mov_b32_e32 v22, s48
	s_add_co_i32 s50, s50, -1
	s_wait_xcnt 0x0
	s_add_co_i32 s49, s49, 16
	s_add_co_i32 s48, s48, 16
	s_cmp_eq_u32 s50, 0
	ds_load_b128 v[22:25], v22
	s_wait_loadcnt_dscnt 0x0
	v_mul_f64_e32 v[26:27], v[24:25], v[20:21]
	v_mul_f64_e32 v[20:21], v[22:23], v[20:21]
	s_delay_alu instid0(VALU_DEP_2) | instskip(NEXT) | instid1(VALU_DEP_2)
	v_fma_f64 v[22:23], v[22:23], v[18:19], -v[26:27]
	v_fmac_f64_e32 v[20:21], v[24:25], v[18:19]
	s_delay_alu instid0(VALU_DEP_2) | instskip(NEXT) | instid1(VALU_DEP_2)
	v_add_f64_e64 v[0:1], v[0:1], -v[22:23]
	v_add_f64_e64 v[2:3], v[2:3], -v[20:21]
	scratch_store_b128 off, v[0:3], s31
	s_cbranch_scc0 .LBB220_33
; %bb.34:                               ;   in Loop: Header=BB220_31 Depth=4
	s_wait_xcnt 0x0
	s_branch .LBB220_30
.LBB220_35:                             ;   in Loop: Header=BB220_31 Depth=4
	s_wait_xcnt 0x0
                                        ; implicit-def: $vgpr0_vgpr1
                                        ; implicit-def: $sgpr30
	s_cbranch_execz .LBB220_30
; %bb.36:                               ;   in Loop: Header=BB220_31 Depth=4
	scratch_load_b128 v[0:3], off, off
	s_mov_b32 s30, s18
	s_branch .LBB220_30
.LBB220_37:                             ;   in Loop: Header=BB220_4 Depth=1
	s_mov_b32 s18, 0
.LBB220_38:                             ;   in Loop: Header=BB220_4 Depth=1
	s_delay_alu instid0(SALU_CYCLE_1)
	s_and_b32 vcc_lo, exec_lo, s18
	s_cbranch_vccz .LBB220_2
; %bb.39:                               ;   in Loop: Header=BB220_4 Depth=1
	v_add_nc_u64_e32 v[6:7], s[16:17], v[14:15]
	s_mov_b32 s21, 0
	s_mov_b32 s16, s34
	s_branch .LBB220_41
.LBB220_40:                             ;   in Loop: Header=BB220_41 Depth=2
	s_cmp_gt_i32 s16, -1
	s_cselect_b32 s17, -1, 0
	s_add_co_i32 s18, s21, 1
	s_cmp_lt_u32 s21, 2
	s_wait_xcnt 0x0
	s_mov_b32 s21, s18
	s_cselect_b32 s19, -1, 0
	s_delay_alu instid0(SALU_CYCLE_1) | instskip(NEXT) | instid1(SALU_CYCLE_1)
	s_and_b32 s17, s17, s19
	s_and_not1_b32 vcc_lo, exec_lo, s17
	s_cbranch_vccnz .LBB220_2
.LBB220_41:                             ;   Parent Loop BB220_4 Depth=1
                                        ; =>  This Loop Header: Depth=2
                                        ;       Child Loop BB220_44 Depth 3
                                        ;         Child Loop BB220_45 Depth 4
                                        ;         Child Loop BB220_47 Depth 4
                                        ;           Child Loop BB220_48 Depth 5
                                        ;         Child Loop BB220_52 Depth 4
                                        ;           Child Loop BB220_54 Depth 5
	s_load_b32 s22, s[12:13], s21 offset:0x0 scale_offset
	s_wait_kmcnt 0x0
	s_add_co_i32 s28, s22, -1
	s_delay_alu instid0(SALU_CYCLE_1)
	s_cmp_lt_i32 s16, s28
	s_cbranch_scc1 .LBB220_40
; %bb.42:                               ;   in Loop: Header=BB220_41 Depth=2
	s_lshl_b32 s17, s16, 4
	s_lshl_b32 s18, s22, 4
	s_max_i32 s29, s22, 1
	s_add_co_i32 s30, s38, s17
	s_sub_co_i32 s31, 0, s18
	s_mul_i32 s43, s16, 0x150
	s_mul_i32 s44, s22, 0xfffffeb0
	s_branch .LBB220_44
.LBB220_43:                             ;   in Loop: Header=BB220_44 Depth=3
	s_sub_co_i32 s16, s16, s22
	s_add_co_i32 s30, s30, s31
	s_add_co_i32 s43, s43, s44
	s_cmp_lt_i32 s16, s28
	s_cbranch_scc1 .LBB220_40
.LBB220_44:                             ;   Parent Loop BB220_4 Depth=1
                                        ;     Parent Loop BB220_41 Depth=2
                                        ; =>    This Loop Header: Depth=3
                                        ;         Child Loop BB220_45 Depth 4
                                        ;         Child Loop BB220_47 Depth 4
                                        ;           Child Loop BB220_48 Depth 5
                                        ;         Child Loop BB220_52 Depth 4
                                        ;           Child Loop BB220_54 Depth 5
	s_ashr_i32 s17, s16, 31
	s_mov_b32 s18, 8
	s_wait_xcnt 0x0
	v_lshl_add_u64 v[0:1], s[16:17], 4, v[6:7]
	s_mov_b32 s19, s29
.LBB220_45:                             ;   Parent Loop BB220_4 Depth=1
                                        ;     Parent Loop BB220_41 Depth=2
                                        ;       Parent Loop BB220_44 Depth=3
                                        ; =>      This Inner Loop Header: Depth=4
	global_load_b128 v[16:19], v[0:1], off offset:-8
	s_wait_xcnt 0x0
	v_add_nc_u64_e32 v[0:1], -16, v[0:1]
	s_add_co_i32 s19, s19, -1
	s_mov_b32 s26, s18
	s_add_co_i32 s18, s18, 16
	s_cmp_eq_u32 s19, 0
	s_wait_loadcnt 0x0
	v_mul_f64_e32 v[2:3], s[6:7], v[18:19]
	v_mul_f64_e32 v[20:21], s[4:5], v[18:19]
	s_delay_alu instid0(VALU_DEP_2) | instskip(NEXT) | instid1(VALU_DEP_2)
	v_fma_f64 v[18:19], s[4:5], v[16:17], -v[2:3]
	v_fmac_f64_e32 v[20:21], s[6:7], v[16:17]
	scratch_store_b128 off, v[18:21], s26 offset:-8
	s_cbranch_scc0 .LBB220_45
; %bb.46:                               ;   in Loop: Header=BB220_44 Depth=3
	s_cmp_le_i32 s34, s16
	s_wait_xcnt 0x0
	s_mov_b32 s26, s30
	s_mov_b32 s18, s34
	s_cbranch_scc1 .LBB220_50
.LBB220_47:                             ;   Parent Loop BB220_4 Depth=1
                                        ;     Parent Loop BB220_41 Depth=2
                                        ;       Parent Loop BB220_44 Depth=3
                                        ; =>      This Loop Header: Depth=4
                                        ;           Child Loop BB220_48 Depth 5
	s_ashr_i32 s19, s18, 31
	s_mov_b32 s27, s26
	v_lshl_add_u64 v[0:1], s[18:19], 4, v[4:5]
	s_mov_b32 s19, s37
	s_mov_b32 s45, s29
	global_load_b128 v[0:3], v[0:1], off
.LBB220_48:                             ;   Parent Loop BB220_4 Depth=1
                                        ;     Parent Loop BB220_41 Depth=2
                                        ;       Parent Loop BB220_44 Depth=3
                                        ;         Parent Loop BB220_47 Depth=4
                                        ; =>        This Inner Loop Header: Depth=5
	scratch_load_b128 v[16:19], off, s19 offset:-8
	v_mov_b32_e32 v20, s27
	s_add_co_i32 s45, s45, -1
	s_add_co_i32 s27, s27, -16
	ds_load_b128 v[20:23], v20
	s_wait_loadcnt_dscnt 0x100
	v_mul_f64_e32 v[24:25], v[2:3], v[22:23]
	v_mul_f64_e32 v[22:23], v[0:1], v[22:23]
	s_delay_alu instid0(VALU_DEP_2) | instskip(NEXT) | instid1(VALU_DEP_2)
	v_fma_f64 v[24:25], v[0:1], v[20:21], -v[24:25]
	v_fmac_f64_e32 v[22:23], v[2:3], v[20:21]
	s_wait_loadcnt 0x0
	s_delay_alu instid0(VALU_DEP_2) | instskip(NEXT) | instid1(VALU_DEP_2)
	v_add_f64_e64 v[16:17], v[16:17], -v[24:25]
	v_add_f64_e64 v[18:19], v[18:19], -v[22:23]
	scratch_store_b128 off, v[16:19], s19 offset:-8
	s_wait_xcnt 0x0
	s_add_co_i32 s19, s19, 16
	s_cmp_eq_u32 s45, 0
	s_cbranch_scc0 .LBB220_48
; %bb.49:                               ;   in Loop: Header=BB220_47 Depth=4
	s_add_co_i32 s18, s18, -1
	s_addk_co_i32 s26, 0xfec0
	s_cmp_le_i32 s18, s16
	s_cbranch_scc0 .LBB220_47
.LBB220_50:                             ;   in Loop: Header=BB220_44 Depth=3
	s_mov_b32 s45, 0
	s_mov_b32 s46, s43
	s_branch .LBB220_52
.LBB220_51:                             ;   in Loop: Header=BB220_52 Depth=4
	s_wait_xcnt 0x1
	s_mulk_i32 s26, 0x150
	s_add_co_i32 s46, s46, -16
	v_mov_b32_e32 v16, s26
	s_lshl_b32 s26, s45, 4
	s_add_co_i32 s45, s45, 1
	s_delay_alu instid0(SALU_CYCLE_1)
	s_cmp_eq_u32 s45, s29
	ds_load_b128 v[16:19], v16
	s_wait_loadcnt_dscnt 0x0
	s_wait_xcnt 0x0
	v_mul_f64_e32 v[20:21], v[18:19], v[2:3]
	v_mul_f64_e32 v[22:23], v[16:17], v[2:3]
	s_delay_alu instid0(VALU_DEP_2) | instskip(NEXT) | instid1(VALU_DEP_2)
	v_fma_f64 v[20:21], v[16:17], v[0:1], -v[20:21]
	v_fmac_f64_e32 v[22:23], v[18:19], v[0:1]
	v_lshl_add_u64 v[0:1], s[18:19], 4, v[4:5]
	scratch_store_b128 off, v[20:23], s26
	global_store_b128 v[0:1], v[20:23], off
	s_cbranch_scc1 .LBB220_43
.LBB220_52:                             ;   Parent Loop BB220_4 Depth=1
                                        ;     Parent Loop BB220_41 Depth=2
                                        ;       Parent Loop BB220_44 Depth=3
                                        ; =>      This Loop Header: Depth=4
                                        ;           Child Loop BB220_54 Depth 5
	s_cmp_lg_u32 s45, 0
	s_cbranch_scc0 .LBB220_56
; %bb.53:                               ;   in Loop: Header=BB220_52 Depth=4
	s_lshl_b32 s18, s45, 4
	s_mov_b32 s19, s37
	scratch_load_b128 v[0:3], off, s18
	s_mov_b32 s26, s46
	s_mov_b32 s27, s45
.LBB220_54:                             ;   Parent Loop BB220_4 Depth=1
                                        ;     Parent Loop BB220_41 Depth=2
                                        ;       Parent Loop BB220_44 Depth=3
                                        ;         Parent Loop BB220_52 Depth=4
                                        ; =>        This Inner Loop Header: Depth=5
	scratch_load_b128 v[16:19], off, s19 offset:-8
	v_mov_b32_e32 v20, s26
	s_add_co_i32 s27, s27, -1
	s_addk_co_i32 s26, 0xfec0
	s_wait_xcnt 0x0
	s_add_co_i32 s19, s19, 16
	s_cmp_eq_u32 s27, 0
	ds_load_b128 v[20:23], v20
	s_wait_loadcnt_dscnt 0x0
	v_mul_f64_e32 v[24:25], v[22:23], v[18:19]
	v_mul_f64_e32 v[18:19], v[20:21], v[18:19]
	s_delay_alu instid0(VALU_DEP_2) | instskip(NEXT) | instid1(VALU_DEP_2)
	v_fma_f64 v[20:21], v[20:21], v[16:17], -v[24:25]
	v_fmac_f64_e32 v[18:19], v[22:23], v[16:17]
	s_delay_alu instid0(VALU_DEP_2) | instskip(NEXT) | instid1(VALU_DEP_2)
	v_add_f64_e64 v[0:1], v[0:1], -v[20:21]
	v_add_f64_e64 v[2:3], v[2:3], -v[18:19]
	scratch_store_b128 off, v[0:3], s18
	s_cbranch_scc0 .LBB220_54
; %bb.55:                               ;   in Loop: Header=BB220_52 Depth=4
	s_sub_co_i32 s26, s16, s45
	s_delay_alu instid0(SALU_CYCLE_1)
	s_ashr_i32 s27, s26, 31
	s_wait_xcnt 0x0
	s_mov_b64 s[18:19], s[26:27]
	s_branch .LBB220_51
.LBB220_56:                             ;   in Loop: Header=BB220_52 Depth=4
                                        ; implicit-def: $vgpr0_vgpr1
                                        ; implicit-def: $sgpr26
                                        ; implicit-def: $sgpr18_sgpr19
	s_cbranch_execz .LBB220_51
; %bb.57:                               ;   in Loop: Header=BB220_52 Depth=4
	scratch_load_b128 v[0:3], off, off
	s_mov_b64 s[18:19], s[16:17]
	s_mov_b32 s26, s16
	s_branch .LBB220_51
.LBB220_58:
	s_or_b32 exec_lo, exec_lo, s39
	s_and_saveexec_b32 s0, s40
	s_delay_alu instid0(SALU_CYCLE_1)
	s_xor_b32 s0, exec_lo, s0
.LBB220_59:
	s_endpgm
	.section	.rodata,"a",@progbits
	.p2align	6, 0x0
	.amdhsa_kernel _ZL30rocblas_trsm_small_left_deviceILi20ELi20ELb0E19rocblas_complex_numIdES1_PKS1_PS1_Ev13rocblas_fill_18rocblas_operation_17rocblas_diagonal_iiT3_T4_lilT5_lili
		.amdhsa_group_segment_fixed_size 6400
		.amdhsa_private_segment_fixed_size 336
		.amdhsa_kernarg_size 368
		.amdhsa_user_sgpr_count 2
		.amdhsa_user_sgpr_dispatch_ptr 0
		.amdhsa_user_sgpr_queue_ptr 0
		.amdhsa_user_sgpr_kernarg_segment_ptr 1
		.amdhsa_user_sgpr_dispatch_id 0
		.amdhsa_user_sgpr_kernarg_preload_length 0
		.amdhsa_user_sgpr_kernarg_preload_offset 0
		.amdhsa_user_sgpr_private_segment_size 0
		.amdhsa_wavefront_size32 1
		.amdhsa_uses_dynamic_stack 0
		.amdhsa_enable_private_segment 1
		.amdhsa_system_sgpr_workgroup_id_x 1
		.amdhsa_system_sgpr_workgroup_id_y 0
		.amdhsa_system_sgpr_workgroup_id_z 1
		.amdhsa_system_sgpr_workgroup_info 0
		.amdhsa_system_vgpr_workitem_id 0
		.amdhsa_next_free_vgpr 28
		.amdhsa_next_free_sgpr 51
		.amdhsa_named_barrier_count 0
		.amdhsa_reserve_vcc 1
		.amdhsa_float_round_mode_32 0
		.amdhsa_float_round_mode_16_64 0
		.amdhsa_float_denorm_mode_32 3
		.amdhsa_float_denorm_mode_16_64 3
		.amdhsa_fp16_overflow 0
		.amdhsa_memory_ordered 1
		.amdhsa_forward_progress 1
		.amdhsa_inst_pref_size 22
		.amdhsa_round_robin_scheduling 0
		.amdhsa_exception_fp_ieee_invalid_op 0
		.amdhsa_exception_fp_denorm_src 0
		.amdhsa_exception_fp_ieee_div_zero 0
		.amdhsa_exception_fp_ieee_overflow 0
		.amdhsa_exception_fp_ieee_underflow 0
		.amdhsa_exception_fp_ieee_inexact 0
		.amdhsa_exception_int_div_zero 0
	.end_amdhsa_kernel
	.section	.text._ZL30rocblas_trsm_small_left_deviceILi20ELi20ELb0E19rocblas_complex_numIdES1_PKS1_PS1_Ev13rocblas_fill_18rocblas_operation_17rocblas_diagonal_iiT3_T4_lilT5_lili,"axG",@progbits,_ZL30rocblas_trsm_small_left_deviceILi20ELi20ELb0E19rocblas_complex_numIdES1_PKS1_PS1_Ev13rocblas_fill_18rocblas_operation_17rocblas_diagonal_iiT3_T4_lilT5_lili,comdat
.Lfunc_end220:
	.size	_ZL30rocblas_trsm_small_left_deviceILi20ELi20ELb0E19rocblas_complex_numIdES1_PKS1_PS1_Ev13rocblas_fill_18rocblas_operation_17rocblas_diagonal_iiT3_T4_lilT5_lili, .Lfunc_end220-_ZL30rocblas_trsm_small_left_deviceILi20ELi20ELb0E19rocblas_complex_numIdES1_PKS1_PS1_Ev13rocblas_fill_18rocblas_operation_17rocblas_diagonal_iiT3_T4_lilT5_lili
                                        ; -- End function
	.set _ZL30rocblas_trsm_small_left_deviceILi20ELi20ELb0E19rocblas_complex_numIdES1_PKS1_PS1_Ev13rocblas_fill_18rocblas_operation_17rocblas_diagonal_iiT3_T4_lilT5_lili.num_vgpr, 28
	.set _ZL30rocblas_trsm_small_left_deviceILi20ELi20ELb0E19rocblas_complex_numIdES1_PKS1_PS1_Ev13rocblas_fill_18rocblas_operation_17rocblas_diagonal_iiT3_T4_lilT5_lili.num_agpr, 0
	.set _ZL30rocblas_trsm_small_left_deviceILi20ELi20ELb0E19rocblas_complex_numIdES1_PKS1_PS1_Ev13rocblas_fill_18rocblas_operation_17rocblas_diagonal_iiT3_T4_lilT5_lili.numbered_sgpr, 51
	.set _ZL30rocblas_trsm_small_left_deviceILi20ELi20ELb0E19rocblas_complex_numIdES1_PKS1_PS1_Ev13rocblas_fill_18rocblas_operation_17rocblas_diagonal_iiT3_T4_lilT5_lili.num_named_barrier, 0
	.set _ZL30rocblas_trsm_small_left_deviceILi20ELi20ELb0E19rocblas_complex_numIdES1_PKS1_PS1_Ev13rocblas_fill_18rocblas_operation_17rocblas_diagonal_iiT3_T4_lilT5_lili.private_seg_size, 336
	.set _ZL30rocblas_trsm_small_left_deviceILi20ELi20ELb0E19rocblas_complex_numIdES1_PKS1_PS1_Ev13rocblas_fill_18rocblas_operation_17rocblas_diagonal_iiT3_T4_lilT5_lili.uses_vcc, 1
	.set _ZL30rocblas_trsm_small_left_deviceILi20ELi20ELb0E19rocblas_complex_numIdES1_PKS1_PS1_Ev13rocblas_fill_18rocblas_operation_17rocblas_diagonal_iiT3_T4_lilT5_lili.uses_flat_scratch, 0
	.set _ZL30rocblas_trsm_small_left_deviceILi20ELi20ELb0E19rocblas_complex_numIdES1_PKS1_PS1_Ev13rocblas_fill_18rocblas_operation_17rocblas_diagonal_iiT3_T4_lilT5_lili.has_dyn_sized_stack, 0
	.set _ZL30rocblas_trsm_small_left_deviceILi20ELi20ELb0E19rocblas_complex_numIdES1_PKS1_PS1_Ev13rocblas_fill_18rocblas_operation_17rocblas_diagonal_iiT3_T4_lilT5_lili.has_recursion, 0
	.set _ZL30rocblas_trsm_small_left_deviceILi20ELi20ELb0E19rocblas_complex_numIdES1_PKS1_PS1_Ev13rocblas_fill_18rocblas_operation_17rocblas_diagonal_iiT3_T4_lilT5_lili.has_indirect_call, 0
	.section	.AMDGPU.csdata,"",@progbits
; Kernel info:
; codeLenInByte = 2708
; TotalNumSgprs: 53
; NumVgprs: 28
; ScratchSize: 336
; MemoryBound: 0
; FloatMode: 240
; IeeeMode: 1
; LDSByteSize: 6400 bytes/workgroup (compile time only)
; SGPRBlocks: 0
; VGPRBlocks: 1
; NumSGPRsForWavesPerEU: 53
; NumVGPRsForWavesPerEU: 28
; NamedBarCnt: 0
; Occupancy: 13
; WaveLimiterHint : 0
; COMPUTE_PGM_RSRC2:SCRATCH_EN: 1
; COMPUTE_PGM_RSRC2:USER_SGPR: 2
; COMPUTE_PGM_RSRC2:TRAP_HANDLER: 0
; COMPUTE_PGM_RSRC2:TGID_X_EN: 1
; COMPUTE_PGM_RSRC2:TGID_Y_EN: 0
; COMPUTE_PGM_RSRC2:TGID_Z_EN: 1
; COMPUTE_PGM_RSRC2:TIDIG_COMP_CNT: 0
	.section	.text._ZL38rocblas_trsm_small_left_device_sharedBILi20ELi20ELb1E19rocblas_complex_numIdES1_PKS1_PS1_Ev13rocblas_fill_18rocblas_operation_17rocblas_diagonal_iiT3_T4_lilT5_lili,"axG",@progbits,_ZL38rocblas_trsm_small_left_device_sharedBILi20ELi20ELb1E19rocblas_complex_numIdES1_PKS1_PS1_Ev13rocblas_fill_18rocblas_operation_17rocblas_diagonal_iiT3_T4_lilT5_lili,comdat
	.globl	_ZL38rocblas_trsm_small_left_device_sharedBILi20ELi20ELb1E19rocblas_complex_numIdES1_PKS1_PS1_Ev13rocblas_fill_18rocblas_operation_17rocblas_diagonal_iiT3_T4_lilT5_lili ; -- Begin function _ZL38rocblas_trsm_small_left_device_sharedBILi20ELi20ELb1E19rocblas_complex_numIdES1_PKS1_PS1_Ev13rocblas_fill_18rocblas_operation_17rocblas_diagonal_iiT3_T4_lilT5_lili
	.p2align	8
	.type	_ZL38rocblas_trsm_small_left_device_sharedBILi20ELi20ELb1E19rocblas_complex_numIdES1_PKS1_PS1_Ev13rocblas_fill_18rocblas_operation_17rocblas_diagonal_iiT3_T4_lilT5_lili,@function
_ZL38rocblas_trsm_small_left_device_sharedBILi20ELi20ELb1E19rocblas_complex_numIdES1_PKS1_PS1_Ev13rocblas_fill_18rocblas_operation_17rocblas_diagonal_iiT3_T4_lilT5_lili: ; @_ZL38rocblas_trsm_small_left_device_sharedBILi20ELi20ELb1E19rocblas_complex_numIdES1_PKS1_PS1_Ev13rocblas_fill_18rocblas_operation_17rocblas_diagonal_iiT3_T4_lilT5_lili
; %bb.0:
	s_load_b32 s3, s[0:1], 0x68
	s_bfe_u32 s2, ttmp6, 0x40014
	s_lshr_b32 s4, ttmp7, 16
	s_add_co_i32 s2, s2, 1
	s_bfe_u32 s5, ttmp6, 0x40008
	s_mul_i32 s2, s4, s2
	s_getreg_b32 s8, hwreg(HW_REG_IB_STS2, 6, 4)
	s_add_co_i32 s5, s5, s2
	s_cmp_eq_u32 s8, 0
	s_mov_b32 s21, 0
	s_cselect_b32 s20, s4, s5
	s_wait_kmcnt 0x0
	s_cmp_ge_u32 s20, s3
	s_cbranch_scc1 .LBB221_62
; %bb.1:
	s_clause 0x5
	s_load_b32 s26, s[0:1], 0x38
	s_load_b96 s[16:18], s[0:1], 0x50
	s_load_b128 s[4:7], s[0:1], 0x4
	s_load_b32 s9, s[0:1], 0x70
	s_load_b64 s[28:29], s[0:1], 0x60
	s_load_b128 s[12:15], s[0:1], 0x40
	v_dual_mov_b32 v9, 0 :: v_dual_lshlrev_b32 v8, 4, v0
	s_wait_kmcnt 0x0
	s_ashr_i32 s27, s26, 31
	s_ashr_i32 s25, s18, 31
	s_cmp_eq_u32 s4, 0x71
	s_cselect_b32 s2, -1, 0
	s_bfe_u32 s10, ttmp6, 0x4000c
	s_min_i32 s19, s6, 20
	s_add_co_i32 s10, s10, 1
	s_and_b32 s11, ttmp6, 15
	s_mul_i32 s10, ttmp9, s10
	s_add_co_i32 s9, s9, -1
	s_add_co_i32 s22, s19, -1
	s_add_co_i32 s11, s11, s10
	s_cmp_eq_u32 s8, 0
	s_cselect_b32 s8, ttmp9, s11
	s_delay_alu instid0(SALU_CYCLE_1) | instskip(NEXT) | instid1(SALU_CYCLE_1)
	s_mul_i32 s10, s8, 0xffffffec
	s_add_co_i32 s7, s7, s10
	s_cmp_ge_u32 s8, s9
	s_mul_i32 s8, s8, 20
	s_cselect_b32 s30, s7, 20
	s_ashr_i32 s9, s8, 31
	s_cmp_lg_u32 s5, 0x84
	v_lshl_add_u64 v[2:3], s[8:9], 4, v[8:9]
	s_cselect_b32 s23, -1, 0
	s_cmp_gt_i32 s6, 0
	v_cmp_gt_i32_e32 vcc_lo, s30, v0
	s_cselect_b32 s31, -1, 0
	s_cmp_lg_u32 s4, 0x6f
	s_cselect_b32 s24, -1, 0
	s_lshl_b64 s[4:5], s[16:17], 4
	s_delay_alu instid0(SALU_CYCLE_1) | instskip(SKIP_3) | instid1(VALU_DEP_1)
	s_add_nc_u64 s[4:5], s[14:15], s[4:5]
	s_lshl_b64 s[14:15], s[28:29], 4
	v_mad_nc_u64_u32 v[10:11], v2, s18, s[4:5]
	s_load_b256 s[4:11], s[0:1], 0x18
	v_mad_u32 v1, v3, s18, v11
	s_or_b32 s18, 0, 8
	s_wait_kmcnt 0x0
	s_lshl_b64 s[0:1], s[10:11], 4
	s_delay_alu instid0(VALU_DEP_1)
	v_mad_u32 v11, v2, s25, v1
	s_add_nc_u64 s[0:1], s[8:9], s[0:1]
	v_mul_u32_u24_e32 v1, 0x140, v0
	v_add_nc_u64_e32 v[2:3], s[0:1], v[8:9]
	v_add_nc_u32_e32 v9, 0x1900, v8
	v_cmp_gt_i32_e64 s0, s19, v0
	s_lshl_b32 s25, s19, 4
	v_add_nc_u32_e32 v16, v8, v1
	s_and_b32 s1, vcc_lo, s31
	s_lshl_b64 s[8:9], s[12:13], 4
	v_add_nc_u64_e32 v[12:13], 8, v[2:3]
	v_add_nc_u64_e32 v[14:15], 8, v[10:11]
	s_lshl_b64 s[10:11], s[26:27], 4
	s_add_co_i32 s25, s25, -16
	s_get_pc_i64 s[12:13]
	s_add_nc_u64 s[12:13], s[12:13], __const._ZL38rocblas_trsm_small_left_device_sharedBILi20ELi20ELb1E19rocblas_complex_numIdES1_PKS1_PS1_Ev13rocblas_fill_18rocblas_operation_17rocblas_diagonal_iiT3_T4_lilT5_lili.step_sizes@rel64+4
	s_branch .LBB221_3
.LBB221_2:                              ;   in Loop: Header=BB221_3 Depth=1
	s_or_b32 exec_lo, exec_lo, s26
	s_add_co_i32 s20, s20, 0x10000
	s_delay_alu instid0(SALU_CYCLE_1)
	s_cmp_lt_u32 s20, s3
	s_cbranch_scc0 .LBB221_62
.LBB221_3:                              ; =>This Loop Header: Depth=1
                                        ;     Child Loop BB221_5 Depth 2
                                        ;     Child Loop BB221_16 Depth 2
	;; [unrolled: 1-line block ×3, first 2 shown]
                                        ;       Child Loop BB221_23 Depth 3
                                        ;         Child Loop BB221_24 Depth 4
                                        ;         Child Loop BB221_26 Depth 4
                                        ;           Child Loop BB221_27 Depth 5
                                        ;         Child Loop BB221_31 Depth 4
                                        ;           Child Loop BB221_33 Depth 5
                                        ;     Child Loop BB221_41 Depth 2
                                        ;       Child Loop BB221_44 Depth 3
                                        ;         Child Loop BB221_45 Depth 4
                                        ;         Child Loop BB221_48 Depth 4
                                        ;           Child Loop BB221_49 Depth 5
                                        ;         Child Loop BB221_53 Depth 4
                                        ;           Child Loop BB221_55 Depth 5
                                        ;     Child Loop BB221_61 Depth 2
	s_and_saveexec_b32 s16, s0
	s_cbranch_execz .LBB221_14
; %bb.4:                                ;   in Loop: Header=BB221_3 Depth=1
	v_mad_nc_u64_u32 v[0:1], s8, s20, v[12:13]
	v_mov_b32_e32 v2, v8
	s_mov_b32 s17, s19
	s_delay_alu instid0(VALU_DEP_2)
	v_mad_u32 v1, s9, s20, v1
.LBB221_5:                              ;   Parent Loop BB221_3 Depth=1
                                        ; =>  This Inner Loop Header: Depth=2
	global_load_b128 v[4:7], v[0:1], off offset:-8
	s_wait_xcnt 0x0
	v_add_nc_u64_e32 v[0:1], s[10:11], v[0:1]
	s_add_co_i32 s17, s17, -1
	s_delay_alu instid0(SALU_CYCLE_1) | instskip(SKIP_2) | instid1(VALU_DEP_1)
	s_cmp_eq_u32 s17, 0
	s_wait_loadcnt 0x0
	v_xor_b32_e32 v3, 0x80000000, v7
	v_cndmask_b32_e64 v7, v7, v3, s2
	ds_store_b128 v2, v[4:7]
	v_add_nc_u32_e32 v2, 0x140, v2
	s_cbranch_scc0 .LBB221_5
; %bb.6:                                ;   in Loop: Header=BB221_3 Depth=1
	s_and_b32 vcc_lo, exec_lo, s23
	s_cbranch_vccz .LBB221_12
; %bb.7:                                ;   in Loop: Header=BB221_3 Depth=1
	ds_load_b128 v[0:3], v16
                                        ; implicit-def: $vgpr6_vgpr7
	s_wait_dscnt 0x0
	v_cmp_ngt_f64_e64 s17, |v[0:1]|, |v[2:3]|
	s_and_saveexec_b32 s26, s17
	s_delay_alu instid0(SALU_CYCLE_1)
	s_xor_b32 s17, exec_lo, s26
	s_cbranch_execz .LBB221_9
; %bb.8:                                ;   in Loop: Header=BB221_3 Depth=1
	v_div_scale_f64 v[4:5], null, v[2:3], v[2:3], v[0:1]
	v_div_scale_f64 v[20:21], vcc_lo, v[0:1], v[2:3], v[0:1]
	s_delay_alu instid0(VALU_DEP_2) | instskip(SKIP_1) | instid1(TRANS32_DEP_1)
	v_rcp_f64_e32 v[6:7], v[4:5]
	v_nop
	v_fma_f64 v[18:19], -v[4:5], v[6:7], 1.0
	s_delay_alu instid0(VALU_DEP_1) | instskip(NEXT) | instid1(VALU_DEP_1)
	v_fmac_f64_e32 v[6:7], v[6:7], v[18:19]
	v_fma_f64 v[18:19], -v[4:5], v[6:7], 1.0
	s_delay_alu instid0(VALU_DEP_1) | instskip(NEXT) | instid1(VALU_DEP_1)
	v_fmac_f64_e32 v[6:7], v[6:7], v[18:19]
	v_mul_f64_e32 v[18:19], v[20:21], v[6:7]
	s_delay_alu instid0(VALU_DEP_1) | instskip(NEXT) | instid1(VALU_DEP_1)
	v_fma_f64 v[4:5], -v[4:5], v[18:19], v[20:21]
	v_div_fmas_f64 v[4:5], v[4:5], v[6:7], v[18:19]
	s_delay_alu instid0(VALU_DEP_1) | instskip(NEXT) | instid1(VALU_DEP_1)
	v_div_fixup_f64 v[4:5], v[4:5], v[2:3], v[0:1]
	v_fmac_f64_e32 v[2:3], v[0:1], v[4:5]
	s_delay_alu instid0(VALU_DEP_1) | instskip(SKIP_1) | instid1(VALU_DEP_2)
	v_div_scale_f64 v[0:1], null, v[2:3], v[2:3], 1.0
	v_div_scale_f64 v[20:21], vcc_lo, 1.0, v[2:3], 1.0
	v_rcp_f64_e32 v[6:7], v[0:1]
	v_nop
	s_delay_alu instid0(TRANS32_DEP_1) | instskip(NEXT) | instid1(VALU_DEP_1)
	v_fma_f64 v[18:19], -v[0:1], v[6:7], 1.0
	v_fmac_f64_e32 v[6:7], v[6:7], v[18:19]
	s_delay_alu instid0(VALU_DEP_1) | instskip(NEXT) | instid1(VALU_DEP_1)
	v_fma_f64 v[18:19], -v[0:1], v[6:7], 1.0
	v_fmac_f64_e32 v[6:7], v[6:7], v[18:19]
	s_delay_alu instid0(VALU_DEP_1) | instskip(NEXT) | instid1(VALU_DEP_1)
	v_mul_f64_e32 v[18:19], v[20:21], v[6:7]
	v_fma_f64 v[0:1], -v[0:1], v[18:19], v[20:21]
	s_delay_alu instid0(VALU_DEP_1) | instskip(SKIP_1) | instid1(VALU_DEP_2)
	v_div_fmas_f64 v[0:1], v[0:1], v[6:7], v[18:19]
	v_add_f64_e32 v[6:7], 0, v[4:5]
	v_div_fixup_f64 v[0:1], v[0:1], v[2:3], 1.0
	v_fma_f64 v[2:3], v[4:5], 0, -1.0
	s_delay_alu instid0(VALU_DEP_2) | instskip(NEXT) | instid1(VALU_DEP_2)
	v_mul_f64_e32 v[4:5], v[6:7], v[0:1]
	v_mul_f64_e32 v[6:7], v[2:3], v[0:1]
                                        ; implicit-def: $vgpr0_vgpr1
.LBB221_9:                              ;   in Loop: Header=BB221_3 Depth=1
	s_and_not1_saveexec_b32 s17, s17
	s_cbranch_execz .LBB221_11
; %bb.10:                               ;   in Loop: Header=BB221_3 Depth=1
	v_div_scale_f64 v[4:5], null, v[0:1], v[0:1], v[2:3]
	v_div_scale_f64 v[20:21], vcc_lo, v[2:3], v[0:1], v[2:3]
	s_delay_alu instid0(VALU_DEP_2) | instskip(SKIP_1) | instid1(TRANS32_DEP_1)
	v_rcp_f64_e32 v[6:7], v[4:5]
	v_nop
	v_fma_f64 v[18:19], -v[4:5], v[6:7], 1.0
	s_delay_alu instid0(VALU_DEP_1) | instskip(NEXT) | instid1(VALU_DEP_1)
	v_fmac_f64_e32 v[6:7], v[6:7], v[18:19]
	v_fma_f64 v[18:19], -v[4:5], v[6:7], 1.0
	s_delay_alu instid0(VALU_DEP_1) | instskip(NEXT) | instid1(VALU_DEP_1)
	v_fmac_f64_e32 v[6:7], v[6:7], v[18:19]
	v_mul_f64_e32 v[18:19], v[20:21], v[6:7]
	s_delay_alu instid0(VALU_DEP_1) | instskip(NEXT) | instid1(VALU_DEP_1)
	v_fma_f64 v[4:5], -v[4:5], v[18:19], v[20:21]
	v_div_fmas_f64 v[4:5], v[4:5], v[6:7], v[18:19]
	s_delay_alu instid0(VALU_DEP_1) | instskip(NEXT) | instid1(VALU_DEP_1)
	v_div_fixup_f64 v[4:5], v[4:5], v[0:1], v[2:3]
	v_fmac_f64_e32 v[0:1], v[2:3], v[4:5]
	s_delay_alu instid0(VALU_DEP_1) | instskip(SKIP_1) | instid1(VALU_DEP_2)
	v_div_scale_f64 v[2:3], null, v[0:1], v[0:1], 1.0
	v_div_scale_f64 v[20:21], vcc_lo, 1.0, v[0:1], 1.0
	v_rcp_f64_e32 v[6:7], v[2:3]
	v_nop
	s_delay_alu instid0(TRANS32_DEP_1) | instskip(NEXT) | instid1(VALU_DEP_1)
	v_fma_f64 v[18:19], -v[2:3], v[6:7], 1.0
	v_fmac_f64_e32 v[6:7], v[6:7], v[18:19]
	s_delay_alu instid0(VALU_DEP_1) | instskip(NEXT) | instid1(VALU_DEP_1)
	v_fma_f64 v[18:19], -v[2:3], v[6:7], 1.0
	v_fmac_f64_e32 v[6:7], v[6:7], v[18:19]
	s_delay_alu instid0(VALU_DEP_1) | instskip(NEXT) | instid1(VALU_DEP_1)
	v_mul_f64_e32 v[18:19], v[20:21], v[6:7]
	v_fma_f64 v[2:3], -v[2:3], v[18:19], v[20:21]
	s_delay_alu instid0(VALU_DEP_1) | instskip(SKIP_1) | instid1(VALU_DEP_2)
	v_div_fmas_f64 v[2:3], v[2:3], v[6:7], v[18:19]
	v_fma_f64 v[6:7], v[4:5], 0, 1.0
	v_div_fixup_f64 v[0:1], v[2:3], v[0:1], 1.0
	v_add_f64_e64 v[2:3], -v[4:5], 0
	s_delay_alu instid0(VALU_DEP_2) | instskip(NEXT) | instid1(VALU_DEP_2)
	v_mul_f64_e32 v[4:5], v[6:7], v[0:1]
	v_mul_f64_e32 v[6:7], v[2:3], v[0:1]
.LBB221_11:                             ;   in Loop: Header=BB221_3 Depth=1
	s_or_b32 exec_lo, exec_lo, s17
	s_branch .LBB221_13
.LBB221_12:                             ;   in Loop: Header=BB221_3 Depth=1
	v_mov_b64_e32 v[6:7], 0
	v_mov_b64_e32 v[4:5], 1.0
.LBB221_13:                             ;   in Loop: Header=BB221_3 Depth=1
	ds_store_b128 v16, v[4:7]
.LBB221_14:                             ;   in Loop: Header=BB221_3 Depth=1
	s_or_b32 exec_lo, exec_lo, s16
	s_mul_u64 s[16:17], s[14:15], s[20:21]
	s_and_saveexec_b32 s26, s1
	s_cbranch_execz .LBB221_17
; %bb.15:                               ;   in Loop: Header=BB221_3 Depth=1
	v_add_nc_u64_e32 v[0:1], s[16:17], v[14:15]
	v_mov_b32_e32 v2, v9
	s_mov_b32 s27, s19
.LBB221_16:                             ;   Parent Loop BB221_3 Depth=1
                                        ; =>  This Inner Loop Header: Depth=2
	global_load_b128 v[4:7], v[0:1], off offset:-8
	s_wait_xcnt 0x0
	v_add_nc_u64_e32 v[0:1], 16, v[0:1]
	s_add_co_i32 s27, s27, -1
	s_delay_alu instid0(SALU_CYCLE_1) | instskip(SKIP_3) | instid1(VALU_DEP_2)
	s_cmp_lg_u32 s27, 0
	s_wait_loadcnt 0x0
	v_mul_f64_e32 v[18:19], s[6:7], v[6:7]
	v_mul_f64_e32 v[20:21], s[4:5], v[6:7]
	v_fma_f64 v[18:19], s[4:5], v[4:5], -v[18:19]
	s_delay_alu instid0(VALU_DEP_2)
	v_fmac_f64_e32 v[20:21], s[6:7], v[4:5]
	ds_store_b128 v2, v[18:21]
	v_add_nc_u32_e32 v2, 0x140, v2
	s_cbranch_scc1 .LBB221_16
.LBB221_17:                             ;   in Loop: Header=BB221_3 Depth=1
	s_or_b32 exec_lo, exec_lo, s26
	s_delay_alu instid0(SALU_CYCLE_1)
	s_and_not1_b32 vcc_lo, exec_lo, s24
	s_mov_b32 s26, -1
	s_wait_dscnt 0x0
	; wave barrier
	s_cbranch_vccnz .LBB221_38
; %bb.18:                               ;   in Loop: Header=BB221_3 Depth=1
	s_mov_b32 s27, 0
	s_mov_b32 s26, s22
	s_branch .LBB221_20
.LBB221_19:                             ;   in Loop: Header=BB221_20 Depth=2
	s_cmp_gt_i32 s26, -1
	s_cselect_b32 s28, -1, 0
	s_add_co_i32 s29, s27, 1
	s_cmp_lt_u32 s27, 2
	s_wait_xcnt 0x0
	s_cselect_b32 s27, -1, 0
	s_delay_alu instid0(SALU_CYCLE_1) | instskip(NEXT) | instid1(SALU_CYCLE_1)
	s_and_b32 s27, s28, s27
	s_and_b32 vcc_lo, exec_lo, s27
	s_mov_b32 s27, s29
	s_cbranch_vccz .LBB221_37
.LBB221_20:                             ;   Parent Loop BB221_3 Depth=1
                                        ; =>  This Loop Header: Depth=2
                                        ;       Child Loop BB221_23 Depth 3
                                        ;         Child Loop BB221_24 Depth 4
                                        ;         Child Loop BB221_26 Depth 4
                                        ;           Child Loop BB221_27 Depth 5
                                        ;         Child Loop BB221_31 Depth 4
                                        ;           Child Loop BB221_33 Depth 5
	s_load_b32 s28, s[12:13], s27 offset:0x0 scale_offset
	s_wait_kmcnt 0x0
	s_add_co_i32 s29, s28, -1
	s_delay_alu instid0(SALU_CYCLE_1)
	s_cmp_lt_i32 s26, s29
	s_cbranch_scc1 .LBB221_19
; %bb.21:                               ;   in Loop: Header=BB221_20 Depth=2
	s_mul_i32 s33, s26, 0x140
	s_max_i32 s30, s28, 1
	v_add_nc_u32_e32 v4, s33, v9
	s_mul_i32 s31, s28, 0xfffffec0
	s_add_co_i32 s33, s25, s33
	s_mul_i32 s34, s26, 0x150
	s_mul_i32 s35, s28, 0xfffffeb0
	s_branch .LBB221_23
.LBB221_22:                             ;   in Loop: Header=BB221_23 Depth=3
	v_add_nc_u32_e32 v4, s31, v4
	s_sub_co_i32 s26, s26, s28
	s_add_co_i32 s33, s33, s31
	s_add_co_i32 s34, s34, s35
	s_cmp_lt_i32 s26, s29
	s_cbranch_scc1 .LBB221_19
.LBB221_23:                             ;   Parent Loop BB221_3 Depth=1
                                        ;     Parent Loop BB221_20 Depth=2
                                        ; =>    This Loop Header: Depth=3
                                        ;         Child Loop BB221_24 Depth 4
                                        ;         Child Loop BB221_26 Depth 4
                                        ;           Child Loop BB221_27 Depth 5
                                        ;         Child Loop BB221_31 Depth 4
                                        ;           Child Loop BB221_33 Depth 5
	v_mov_b32_e32 v0, v4
	s_mov_b32 s36, 0
	s_mov_b32 s37, s30
.LBB221_24:                             ;   Parent Loop BB221_3 Depth=1
                                        ;     Parent Loop BB221_20 Depth=2
                                        ;       Parent Loop BB221_23 Depth=3
                                        ; =>      This Inner Loop Header: Depth=4
	ds_load_b128 v[18:21], v0
	v_add_nc_u32_e32 v0, 0xfffffec0, v0
	s_add_co_i32 s37, s37, -1
	s_wait_dscnt 0x0
	scratch_store_b128 off, v[18:21], s36
	s_wait_xcnt 0x0
	s_add_co_i32 s36, s36, 16
	s_cmp_eq_u32 s37, 0
	s_cbranch_scc0 .LBB221_24
; %bb.25:                               ;   in Loop: Header=BB221_23 Depth=3
	s_cmp_le_i32 s22, s26
	s_mov_b32 s36, s33
	s_mov_b32 s37, s22
	s_cbranch_scc1 .LBB221_29
.LBB221_26:                             ;   Parent Loop BB221_3 Depth=1
                                        ;     Parent Loop BB221_20 Depth=2
                                        ;       Parent Loop BB221_23 Depth=3
                                        ; =>      This Loop Header: Depth=4
                                        ;           Child Loop BB221_27 Depth 5
	v_mad_u32 v0, 0x140, s37, v9
	s_mov_b32 s38, s18
	s_mov_b32 s39, s36
	;; [unrolled: 1-line block ×3, first 2 shown]
	ds_load_b128 v[0:3], v0
.LBB221_27:                             ;   Parent Loop BB221_3 Depth=1
                                        ;     Parent Loop BB221_20 Depth=2
                                        ;       Parent Loop BB221_23 Depth=3
                                        ;         Parent Loop BB221_26 Depth=4
                                        ; =>        This Inner Loop Header: Depth=5
	scratch_load_b128 v[18:21], off, s38 offset:-8
	v_mov_b32_e32 v5, s39
	s_add_co_i32 s40, s40, -1
	s_addk_co_i32 s39, 0xfec0
	ds_load_b128 v[22:25], v5
	s_wait_dscnt 0x0
	v_mul_f64_e32 v[6:7], v[2:3], v[24:25]
	v_mul_f64_e32 v[24:25], v[0:1], v[24:25]
	s_delay_alu instid0(VALU_DEP_2) | instskip(NEXT) | instid1(VALU_DEP_2)
	v_fma_f64 v[6:7], v[0:1], v[22:23], -v[6:7]
	v_fmac_f64_e32 v[24:25], v[2:3], v[22:23]
	s_wait_loadcnt 0x0
	s_delay_alu instid0(VALU_DEP_2) | instskip(NEXT) | instid1(VALU_DEP_2)
	v_add_f64_e64 v[18:19], v[18:19], -v[6:7]
	v_add_f64_e64 v[20:21], v[20:21], -v[24:25]
	scratch_store_b128 off, v[18:21], s38 offset:-8
	s_wait_xcnt 0x0
	s_add_co_i32 s38, s38, 16
	s_cmp_eq_u32 s40, 0
	s_cbranch_scc0 .LBB221_27
; %bb.28:                               ;   in Loop: Header=BB221_26 Depth=4
	s_add_co_i32 s37, s37, -1
	s_add_co_i32 s36, s36, -16
	s_cmp_le_i32 s37, s26
	s_cbranch_scc0 .LBB221_26
.LBB221_29:                             ;   in Loop: Header=BB221_23 Depth=3
	s_mul_i32 s36, s26, 0x140
	s_mov_b32 s37, 0
	s_mov_b32 s38, s34
	s_branch .LBB221_31
.LBB221_30:                             ;   in Loop: Header=BB221_31 Depth=4
	s_wait_xcnt 0x0
	s_mulk_i32 s40, 0x150
	s_addk_co_i32 s38, 0xfec0
	v_mov_b32_e32 v5, s40
	s_lshl_b32 s40, s37, 4
	s_add_co_i32 s37, s37, 1
	s_delay_alu instid0(SALU_CYCLE_1) | instskip(SKIP_4) | instid1(VALU_DEP_2)
	s_cmp_eq_u32 s37, s30
	ds_load_b128 v[18:21], v5
	s_wait_loadcnt_dscnt 0x0
	v_mul_f64_e32 v[6:7], v[20:21], v[2:3]
	v_mul_f64_e32 v[24:25], v[18:19], v[2:3]
	v_fma_f64 v[22:23], v[18:19], v[0:1], -v[6:7]
	s_delay_alu instid0(VALU_DEP_2)
	v_fmac_f64_e32 v[24:25], v[20:21], v[0:1]
	v_add_nc_u32_e32 v0, s39, v9
	scratch_store_b128 off, v[22:25], s40
	ds_store_b128 v0, v[22:25]
	s_cbranch_scc1 .LBB221_22
.LBB221_31:                             ;   Parent Loop BB221_3 Depth=1
                                        ;     Parent Loop BB221_20 Depth=2
                                        ;       Parent Loop BB221_23 Depth=3
                                        ; =>      This Loop Header: Depth=4
                                        ;           Child Loop BB221_33 Depth 5
	s_cmp_lg_u32 s37, 0
	s_cbranch_scc0 .LBB221_35
; %bb.32:                               ;   in Loop: Header=BB221_31 Depth=4
	s_lshl_b32 s41, s37, 4
	s_wait_xcnt 0x0
	s_sub_co_i32 s40, s26, s37
	scratch_load_b128 v[0:3], off, s41
	s_mul_i32 s39, s40, 0x140
	s_mov_b32 s42, s18
	s_mov_b32 s43, s38
	;; [unrolled: 1-line block ×3, first 2 shown]
.LBB221_33:                             ;   Parent Loop BB221_3 Depth=1
                                        ;     Parent Loop BB221_20 Depth=2
                                        ;       Parent Loop BB221_23 Depth=3
                                        ;         Parent Loop BB221_31 Depth=4
                                        ; =>        This Inner Loop Header: Depth=5
	scratch_load_b128 v[18:21], off, s42 offset:-8
	v_mov_b32_e32 v5, s43
	s_add_co_i32 s44, s44, -1
	s_add_co_i32 s43, s43, -16
	s_wait_xcnt 0x0
	s_add_co_i32 s42, s42, 16
	s_cmp_eq_u32 s44, 0
	ds_load_b128 v[22:25], v5
	s_wait_loadcnt_dscnt 0x0
	v_mul_f64_e32 v[6:7], v[24:25], v[20:21]
	v_mul_f64_e32 v[20:21], v[22:23], v[20:21]
	s_delay_alu instid0(VALU_DEP_2) | instskip(NEXT) | instid1(VALU_DEP_2)
	v_fma_f64 v[6:7], v[22:23], v[18:19], -v[6:7]
	v_fmac_f64_e32 v[20:21], v[24:25], v[18:19]
	s_delay_alu instid0(VALU_DEP_2) | instskip(NEXT) | instid1(VALU_DEP_2)
	v_add_f64_e64 v[0:1], v[0:1], -v[6:7]
	v_add_f64_e64 v[2:3], v[2:3], -v[20:21]
	scratch_store_b128 off, v[0:3], s41
	s_cbranch_scc0 .LBB221_33
; %bb.34:                               ;   in Loop: Header=BB221_31 Depth=4
	s_wait_xcnt 0x0
	s_branch .LBB221_30
.LBB221_35:                             ;   in Loop: Header=BB221_31 Depth=4
                                        ; implicit-def: $vgpr0_vgpr1
                                        ; implicit-def: $sgpr40
                                        ; implicit-def: $sgpr39
	s_cbranch_execz .LBB221_30
; %bb.36:                               ;   in Loop: Header=BB221_31 Depth=4
	scratch_load_b128 v[0:3], off, off
	s_mov_b32 s39, s36
	s_wait_xcnt 0x1
	s_mov_b32 s40, s26
	s_branch .LBB221_30
.LBB221_37:                             ;   in Loop: Header=BB221_3 Depth=1
	s_mov_b32 s26, 0
.LBB221_38:                             ;   in Loop: Header=BB221_3 Depth=1
	s_delay_alu instid0(SALU_CYCLE_1)
	s_and_b32 vcc_lo, exec_lo, s26
	s_cbranch_vccz .LBB221_59
; %bb.39:                               ;   in Loop: Header=BB221_3 Depth=1
	s_mov_b32 s27, 0
	s_mov_b32 s26, 0
	s_branch .LBB221_41
.LBB221_40:                             ;   in Loop: Header=BB221_41 Depth=2
	s_cmp_lt_i32 s26, s19
	s_cselect_b32 s28, -1, 0
	s_add_co_i32 s29, s27, 1
	s_cmp_lt_u32 s27, 2
	s_wait_xcnt 0x0
	s_cselect_b32 s27, -1, 0
	s_delay_alu instid0(SALU_CYCLE_1) | instskip(NEXT) | instid1(SALU_CYCLE_1)
	s_and_b32 s27, s28, s27
	s_and_not1_b32 vcc_lo, exec_lo, s27
	s_mov_b32 s27, s29
	s_cbranch_vccnz .LBB221_59
.LBB221_41:                             ;   Parent Loop BB221_3 Depth=1
                                        ; =>  This Loop Header: Depth=2
                                        ;       Child Loop BB221_44 Depth 3
                                        ;         Child Loop BB221_45 Depth 4
                                        ;         Child Loop BB221_48 Depth 4
                                        ;           Child Loop BB221_49 Depth 5
                                        ;         Child Loop BB221_53 Depth 4
                                        ;           Child Loop BB221_55 Depth 5
	s_load_b32 s28, s[12:13], s27 offset:0x0 scale_offset
	s_wait_kmcnt 0x0
	s_add_co_i32 s29, s28, -1
	s_delay_alu instid0(SALU_CYCLE_1) | instskip(NEXT) | instid1(SALU_CYCLE_1)
	s_add_co_i32 s30, s29, s26
	s_cmp_ge_i32 s30, s19
	s_cbranch_scc1 .LBB221_40
; %bb.42:                               ;   in Loop: Header=BB221_41 Depth=2
	v_mad_u32 v4, 0x140, s26, v9
	s_max_i32 s30, s28, 1
	s_mul_i32 s31, s28, 0x140
	s_lshl_b32 s33, s26, 4
	s_lshl_b32 s34, s28, 4
	s_mul_i32 s35, s26, 0x150
	s_mul_i32 s36, s28, 0x150
	s_branch .LBB221_44
.LBB221_43:                             ;   in Loop: Header=BB221_44 Depth=3
	s_add_co_i32 s26, s26, s28
	v_add_nc_u32_e32 v4, s31, v4
	s_add_co_i32 s37, s29, s26
	s_add_co_i32 s33, s33, s34
	s_add_co_i32 s35, s35, s36
	s_cmp_ge_i32 s37, s19
	s_cbranch_scc1 .LBB221_40
.LBB221_44:                             ;   Parent Loop BB221_3 Depth=1
                                        ;     Parent Loop BB221_41 Depth=2
                                        ; =>    This Loop Header: Depth=3
                                        ;         Child Loop BB221_45 Depth 4
                                        ;         Child Loop BB221_48 Depth 4
                                        ;           Child Loop BB221_49 Depth 5
                                        ;         Child Loop BB221_53 Depth 4
                                        ;           Child Loop BB221_55 Depth 5
	s_delay_alu instid0(VALU_DEP_1)
	v_mov_b32_e32 v0, v4
	s_mov_b32 s37, 0
	s_mov_b32 s38, s30
.LBB221_45:                             ;   Parent Loop BB221_3 Depth=1
                                        ;     Parent Loop BB221_41 Depth=2
                                        ;       Parent Loop BB221_44 Depth=3
                                        ; =>      This Inner Loop Header: Depth=4
	ds_load_b128 v[18:21], v0
	v_add_nc_u32_e32 v0, 0x140, v0
	s_add_co_i32 s38, s38, -1
	s_wait_dscnt 0x0
	scratch_store_b128 off, v[18:21], s37
	s_wait_xcnt 0x0
	s_add_co_i32 s37, s37, 16
	s_cmp_eq_u32 s38, 0
	s_cbranch_scc0 .LBB221_45
; %bb.46:                               ;   in Loop: Header=BB221_44 Depth=3
	s_cmp_lt_i32 s26, 1
	s_cbranch_scc1 .LBB221_51
; %bb.47:                               ;   in Loop: Header=BB221_44 Depth=3
	s_mov_b32 s37, 0
	s_mov_b32 s38, s33
.LBB221_48:                             ;   Parent Loop BB221_3 Depth=1
                                        ;     Parent Loop BB221_41 Depth=2
                                        ;       Parent Loop BB221_44 Depth=3
                                        ; =>      This Loop Header: Depth=4
                                        ;           Child Loop BB221_49 Depth 5
	v_mad_u32 v0, 0x140, s37, v9
	s_mov_b32 s39, s18
	s_mov_b32 s40, s38
	;; [unrolled: 1-line block ×3, first 2 shown]
	ds_load_b128 v[0:3], v0
.LBB221_49:                             ;   Parent Loop BB221_3 Depth=1
                                        ;     Parent Loop BB221_41 Depth=2
                                        ;       Parent Loop BB221_44 Depth=3
                                        ;         Parent Loop BB221_48 Depth=4
                                        ; =>        This Inner Loop Header: Depth=5
	scratch_load_b128 v[18:21], off, s39 offset:-8
	v_mov_b32_e32 v5, s40
	s_add_co_i32 s41, s41, -1
	s_add_co_i32 s40, s40, 16
	ds_load_b128 v[22:25], v5
	s_wait_dscnt 0x0
	v_mul_f64_e32 v[6:7], v[2:3], v[24:25]
	v_mul_f64_e32 v[24:25], v[0:1], v[24:25]
	s_delay_alu instid0(VALU_DEP_2) | instskip(NEXT) | instid1(VALU_DEP_2)
	v_fma_f64 v[6:7], v[0:1], v[22:23], -v[6:7]
	v_fmac_f64_e32 v[24:25], v[2:3], v[22:23]
	s_wait_loadcnt 0x0
	s_delay_alu instid0(VALU_DEP_2) | instskip(NEXT) | instid1(VALU_DEP_2)
	v_add_f64_e64 v[18:19], v[18:19], -v[6:7]
	v_add_f64_e64 v[20:21], v[20:21], -v[24:25]
	scratch_store_b128 off, v[18:21], s39 offset:-8
	s_wait_xcnt 0x0
	s_add_co_i32 s39, s39, 16
	s_cmp_eq_u32 s41, 0
	s_cbranch_scc0 .LBB221_49
; %bb.50:                               ;   in Loop: Header=BB221_48 Depth=4
	s_add_co_i32 s37, s37, 1
	s_addk_co_i32 s38, 0x140
	s_cmp_eq_u32 s37, s26
	s_cbranch_scc0 .LBB221_48
.LBB221_51:                             ;   in Loop: Header=BB221_44 Depth=3
	s_mov_b32 s37, 0
	s_mov_b32 s38, s35
	s_branch .LBB221_53
.LBB221_52:                             ;   in Loop: Header=BB221_53 Depth=4
	s_add_co_i32 s39, s37, s26
	s_add_co_i32 s38, s38, 16
	s_mul_i32 s40, s39, 0x150
	s_delay_alu instid0(SALU_CYCLE_1) | instskip(SKIP_4) | instid1(VALU_DEP_2)
	v_mov_b32_e32 v5, s40
	ds_load_b128 v[18:21], v5
	s_wait_loadcnt_dscnt 0x0
	v_mul_f64_e32 v[6:7], v[20:21], v[2:3]
	v_mul_f64_e32 v[24:25], v[18:19], v[2:3]
	v_fma_f64 v[22:23], v[18:19], v[0:1], -v[6:7]
	s_delay_alu instid0(VALU_DEP_2) | instskip(SKIP_3) | instid1(SALU_CYCLE_1)
	v_fmac_f64_e32 v[24:25], v[20:21], v[0:1]
	v_mad_u32 v0, 0x140, s39, v9
	s_lshl_b32 s39, s37, 4
	s_add_co_i32 s37, s37, 1
	s_cmp_eq_u32 s37, s30
	scratch_store_b128 off, v[22:25], s39
	ds_store_b128 v0, v[22:25]
	s_cbranch_scc1 .LBB221_43
.LBB221_53:                             ;   Parent Loop BB221_3 Depth=1
                                        ;     Parent Loop BB221_41 Depth=2
                                        ;       Parent Loop BB221_44 Depth=3
                                        ; =>      This Loop Header: Depth=4
                                        ;           Child Loop BB221_55 Depth 5
	s_cmp_lg_u32 s37, 0
	s_cbranch_scc0 .LBB221_57
; %bb.54:                               ;   in Loop: Header=BB221_53 Depth=4
	s_wait_xcnt 0x0
	s_lshl_b32 s39, s37, 4
	s_mov_b32 s40, s18
	scratch_load_b128 v[0:3], off, s39
	s_mov_b32 s41, s38
	s_mov_b32 s42, s37
.LBB221_55:                             ;   Parent Loop BB221_3 Depth=1
                                        ;     Parent Loop BB221_41 Depth=2
                                        ;       Parent Loop BB221_44 Depth=3
                                        ;         Parent Loop BB221_53 Depth=4
                                        ; =>        This Inner Loop Header: Depth=5
	scratch_load_b128 v[18:21], off, s40 offset:-8
	v_mov_b32_e32 v5, s41
	s_add_co_i32 s42, s42, -1
	s_addk_co_i32 s41, 0x140
	s_wait_xcnt 0x0
	s_add_co_i32 s40, s40, 16
	s_cmp_eq_u32 s42, 0
	ds_load_b128 v[22:25], v5
	s_wait_loadcnt_dscnt 0x0
	v_mul_f64_e32 v[6:7], v[24:25], v[20:21]
	v_mul_f64_e32 v[20:21], v[22:23], v[20:21]
	s_delay_alu instid0(VALU_DEP_2) | instskip(NEXT) | instid1(VALU_DEP_2)
	v_fma_f64 v[6:7], v[22:23], v[18:19], -v[6:7]
	v_fmac_f64_e32 v[20:21], v[24:25], v[18:19]
	s_delay_alu instid0(VALU_DEP_2) | instskip(NEXT) | instid1(VALU_DEP_2)
	v_add_f64_e64 v[0:1], v[0:1], -v[6:7]
	v_add_f64_e64 v[2:3], v[2:3], -v[20:21]
	scratch_store_b128 off, v[0:3], s39
	s_cbranch_scc0 .LBB221_55
; %bb.56:                               ;   in Loop: Header=BB221_53 Depth=4
	s_wait_xcnt 0x0
	s_branch .LBB221_52
.LBB221_57:                             ;   in Loop: Header=BB221_53 Depth=4
	s_wait_xcnt 0x0
                                        ; implicit-def: $vgpr0_vgpr1
	s_cbranch_execz .LBB221_52
; %bb.58:                               ;   in Loop: Header=BB221_53 Depth=4
	scratch_load_b128 v[0:3], off, off
	s_branch .LBB221_52
.LBB221_59:                             ;   in Loop: Header=BB221_3 Depth=1
	; wave barrier
	s_wait_storecnt_dscnt 0x0
	s_wait_xcnt 0x0
	s_and_saveexec_b32 s26, s1
	s_cbranch_execz .LBB221_2
; %bb.60:                               ;   in Loop: Header=BB221_3 Depth=1
	v_add_nc_u64_e32 v[0:1], s[16:17], v[10:11]
	v_mov_b32_e32 v2, v9
	s_mov_b32 s16, s19
.LBB221_61:                             ;   Parent Loop BB221_3 Depth=1
                                        ; =>  This Inner Loop Header: Depth=2
	ds_load_2addr_b64 v[4:7], v2 offset1:1
	v_add_nc_u32_e32 v2, 0x140, v2
	s_add_co_i32 s16, s16, -1
	s_delay_alu instid0(SALU_CYCLE_1)
	s_cmp_lg_u32 s16, 0
	s_wait_dscnt 0x0
	global_store_b128 v[0:1], v[4:7], off
	s_wait_xcnt 0x0
	v_add_nc_u64_e32 v[0:1], 16, v[0:1]
	s_cbranch_scc1 .LBB221_61
	s_branch .LBB221_2
.LBB221_62:
	s_endpgm
	.section	.rodata,"a",@progbits
	.p2align	6, 0x0
	.amdhsa_kernel _ZL38rocblas_trsm_small_left_device_sharedBILi20ELi20ELb1E19rocblas_complex_numIdES1_PKS1_PS1_Ev13rocblas_fill_18rocblas_operation_17rocblas_diagonal_iiT3_T4_lilT5_lili
		.amdhsa_group_segment_fixed_size 12800
		.amdhsa_private_segment_fixed_size 336
		.amdhsa_kernarg_size 368
		.amdhsa_user_sgpr_count 2
		.amdhsa_user_sgpr_dispatch_ptr 0
		.amdhsa_user_sgpr_queue_ptr 0
		.amdhsa_user_sgpr_kernarg_segment_ptr 1
		.amdhsa_user_sgpr_dispatch_id 0
		.amdhsa_user_sgpr_kernarg_preload_length 0
		.amdhsa_user_sgpr_kernarg_preload_offset 0
		.amdhsa_user_sgpr_private_segment_size 0
		.amdhsa_wavefront_size32 1
		.amdhsa_uses_dynamic_stack 0
		.amdhsa_enable_private_segment 1
		.amdhsa_system_sgpr_workgroup_id_x 1
		.amdhsa_system_sgpr_workgroup_id_y 0
		.amdhsa_system_sgpr_workgroup_id_z 1
		.amdhsa_system_sgpr_workgroup_info 0
		.amdhsa_system_vgpr_workitem_id 0
		.amdhsa_next_free_vgpr 129
		.amdhsa_next_free_sgpr 45
		.amdhsa_named_barrier_count 0
		.amdhsa_reserve_vcc 1
		.amdhsa_float_round_mode_32 0
		.amdhsa_float_round_mode_16_64 0
		.amdhsa_float_denorm_mode_32 3
		.amdhsa_float_denorm_mode_16_64 3
		.amdhsa_fp16_overflow 0
		.amdhsa_memory_ordered 1
		.amdhsa_forward_progress 1
		.amdhsa_inst_pref_size 22
		.amdhsa_round_robin_scheduling 0
		.amdhsa_exception_fp_ieee_invalid_op 0
		.amdhsa_exception_fp_denorm_src 0
		.amdhsa_exception_fp_ieee_div_zero 0
		.amdhsa_exception_fp_ieee_overflow 0
		.amdhsa_exception_fp_ieee_underflow 0
		.amdhsa_exception_fp_ieee_inexact 0
		.amdhsa_exception_int_div_zero 0
	.end_amdhsa_kernel
	.section	.text._ZL38rocblas_trsm_small_left_device_sharedBILi20ELi20ELb1E19rocblas_complex_numIdES1_PKS1_PS1_Ev13rocblas_fill_18rocblas_operation_17rocblas_diagonal_iiT3_T4_lilT5_lili,"axG",@progbits,_ZL38rocblas_trsm_small_left_device_sharedBILi20ELi20ELb1E19rocblas_complex_numIdES1_PKS1_PS1_Ev13rocblas_fill_18rocblas_operation_17rocblas_diagonal_iiT3_T4_lilT5_lili,comdat
.Lfunc_end221:
	.size	_ZL38rocblas_trsm_small_left_device_sharedBILi20ELi20ELb1E19rocblas_complex_numIdES1_PKS1_PS1_Ev13rocblas_fill_18rocblas_operation_17rocblas_diagonal_iiT3_T4_lilT5_lili, .Lfunc_end221-_ZL38rocblas_trsm_small_left_device_sharedBILi20ELi20ELb1E19rocblas_complex_numIdES1_PKS1_PS1_Ev13rocblas_fill_18rocblas_operation_17rocblas_diagonal_iiT3_T4_lilT5_lili
                                        ; -- End function
	.set _ZL38rocblas_trsm_small_left_device_sharedBILi20ELi20ELb1E19rocblas_complex_numIdES1_PKS1_PS1_Ev13rocblas_fill_18rocblas_operation_17rocblas_diagonal_iiT3_T4_lilT5_lili.num_vgpr, 26
	.set _ZL38rocblas_trsm_small_left_device_sharedBILi20ELi20ELb1E19rocblas_complex_numIdES1_PKS1_PS1_Ev13rocblas_fill_18rocblas_operation_17rocblas_diagonal_iiT3_T4_lilT5_lili.num_agpr, 0
	.set _ZL38rocblas_trsm_small_left_device_sharedBILi20ELi20ELb1E19rocblas_complex_numIdES1_PKS1_PS1_Ev13rocblas_fill_18rocblas_operation_17rocblas_diagonal_iiT3_T4_lilT5_lili.numbered_sgpr, 45
	.set _ZL38rocblas_trsm_small_left_device_sharedBILi20ELi20ELb1E19rocblas_complex_numIdES1_PKS1_PS1_Ev13rocblas_fill_18rocblas_operation_17rocblas_diagonal_iiT3_T4_lilT5_lili.num_named_barrier, 0
	.set _ZL38rocblas_trsm_small_left_device_sharedBILi20ELi20ELb1E19rocblas_complex_numIdES1_PKS1_PS1_Ev13rocblas_fill_18rocblas_operation_17rocblas_diagonal_iiT3_T4_lilT5_lili.private_seg_size, 336
	.set _ZL38rocblas_trsm_small_left_device_sharedBILi20ELi20ELb1E19rocblas_complex_numIdES1_PKS1_PS1_Ev13rocblas_fill_18rocblas_operation_17rocblas_diagonal_iiT3_T4_lilT5_lili.uses_vcc, 1
	.set _ZL38rocblas_trsm_small_left_device_sharedBILi20ELi20ELb1E19rocblas_complex_numIdES1_PKS1_PS1_Ev13rocblas_fill_18rocblas_operation_17rocblas_diagonal_iiT3_T4_lilT5_lili.uses_flat_scratch, 0
	.set _ZL38rocblas_trsm_small_left_device_sharedBILi20ELi20ELb1E19rocblas_complex_numIdES1_PKS1_PS1_Ev13rocblas_fill_18rocblas_operation_17rocblas_diagonal_iiT3_T4_lilT5_lili.has_dyn_sized_stack, 0
	.set _ZL38rocblas_trsm_small_left_device_sharedBILi20ELi20ELb1E19rocblas_complex_numIdES1_PKS1_PS1_Ev13rocblas_fill_18rocblas_operation_17rocblas_diagonal_iiT3_T4_lilT5_lili.has_recursion, 0
	.set _ZL38rocblas_trsm_small_left_device_sharedBILi20ELi20ELb1E19rocblas_complex_numIdES1_PKS1_PS1_Ev13rocblas_fill_18rocblas_operation_17rocblas_diagonal_iiT3_T4_lilT5_lili.has_indirect_call, 0
	.section	.AMDGPU.csdata,"",@progbits
; Kernel info:
; codeLenInByte = 2736
; TotalNumSgprs: 47
; NumVgprs: 26
; ScratchSize: 336
; MemoryBound: 0
; FloatMode: 240
; IeeeMode: 1
; LDSByteSize: 12800 bytes/workgroup (compile time only)
; SGPRBlocks: 0
; VGPRBlocks: 8
; NumSGPRsForWavesPerEU: 47
; NumVGPRsForWavesPerEU: 129
; NamedBarCnt: 0
; Occupancy: 7
; WaveLimiterHint : 0
; COMPUTE_PGM_RSRC2:SCRATCH_EN: 1
; COMPUTE_PGM_RSRC2:USER_SGPR: 2
; COMPUTE_PGM_RSRC2:TRAP_HANDLER: 0
; COMPUTE_PGM_RSRC2:TGID_X_EN: 1
; COMPUTE_PGM_RSRC2:TGID_Y_EN: 0
; COMPUTE_PGM_RSRC2:TGID_Z_EN: 1
; COMPUTE_PGM_RSRC2:TIDIG_COMP_CNT: 0
	.section	.text._ZL30rocblas_trsm_small_left_deviceILi20ELi20ELb1E19rocblas_complex_numIdES1_PKS1_PS1_Ev13rocblas_fill_18rocblas_operation_17rocblas_diagonal_iiT3_T4_lilT5_lili,"axG",@progbits,_ZL30rocblas_trsm_small_left_deviceILi20ELi20ELb1E19rocblas_complex_numIdES1_PKS1_PS1_Ev13rocblas_fill_18rocblas_operation_17rocblas_diagonal_iiT3_T4_lilT5_lili,comdat
	.globl	_ZL30rocblas_trsm_small_left_deviceILi20ELi20ELb1E19rocblas_complex_numIdES1_PKS1_PS1_Ev13rocblas_fill_18rocblas_operation_17rocblas_diagonal_iiT3_T4_lilT5_lili ; -- Begin function _ZL30rocblas_trsm_small_left_deviceILi20ELi20ELb1E19rocblas_complex_numIdES1_PKS1_PS1_Ev13rocblas_fill_18rocblas_operation_17rocblas_diagonal_iiT3_T4_lilT5_lili
	.p2align	8
	.type	_ZL30rocblas_trsm_small_left_deviceILi20ELi20ELb1E19rocblas_complex_numIdES1_PKS1_PS1_Ev13rocblas_fill_18rocblas_operation_17rocblas_diagonal_iiT3_T4_lilT5_lili,@function
_ZL30rocblas_trsm_small_left_deviceILi20ELi20ELb1E19rocblas_complex_numIdES1_PKS1_PS1_Ev13rocblas_fill_18rocblas_operation_17rocblas_diagonal_iiT3_T4_lilT5_lili: ; @_ZL30rocblas_trsm_small_left_deviceILi20ELi20ELb1E19rocblas_complex_numIdES1_PKS1_PS1_Ev13rocblas_fill_18rocblas_operation_17rocblas_diagonal_iiT3_T4_lilT5_lili
; %bb.0:
	s_load_b32 s3, s[0:1], 0x68
	s_bfe_u32 s2, ttmp6, 0x40014
	s_lshr_b32 s5, ttmp7, 16
	s_add_co_i32 s2, s2, 1
	s_bfe_u32 s6, ttmp6, 0x40008
	s_mul_i32 s2, s5, s2
	s_getreg_b32 s4, hwreg(HW_REG_IB_STS2, 6, 4)
	s_add_co_i32 s6, s6, s2
	s_cmp_eq_u32 s4, 0
	s_mov_b32 s23, 0
	s_cselect_b32 s20, s5, s6
	s_wait_kmcnt 0x0
	s_cmp_ge_u32 s20, s3
	s_cbranch_scc1 .LBB222_59
; %bb.1:
	s_clause 0x5
	s_load_b32 s26, s[0:1], 0x38
	s_load_b96 s[8:10], s[0:1], 0x50
	s_load_b128 s[12:15], s[0:1], 0x4
	s_load_b32 s6, s[0:1], 0x70
	s_load_b64 s[24:25], s[0:1], 0x60
	s_load_b128 s[16:19], s[0:1], 0x40
	v_mov_b32_e32 v9, 0
	v_mul_u32_u24_e32 v1, 0x140, v0
	s_mov_b32 s37, 0
                                        ; implicit-def: $sgpr38
                                        ; implicit-def: $sgpr39
	v_lshlrev_b32_e32 v8, 4, v0
	s_wait_kmcnt 0x0
	s_ashr_i32 s27, s26, 31
	s_ashr_i32 s5, s10, 31
	s_cmp_eq_u32 s12, 0x71
	s_cselect_b32 s2, -1, 0
	s_bfe_u32 s7, ttmp6, 0x4000c
	s_min_i32 s30, s14, 20
	s_add_co_i32 s7, s7, 1
	s_add_co_i32 s14, s6, -1
	s_and_b32 s6, ttmp6, 15
	s_mul_i32 s7, ttmp9, s7
	s_lshl_b64 s[28:29], s[8:9], 4
	s_add_co_i32 s31, s30, -1
	s_add_co_i32 s6, s6, s7
	s_cmp_eq_u32 s4, 0
	s_mov_b32 s4, s10
	s_cselect_b32 s21, ttmp9, s6
	s_delay_alu instid0(SALU_CYCLE_1) | instskip(NEXT) | instid1(VALU_DEP_1)
	v_mad_u32 v2, s21, 20, v0
	v_ashrrev_i32_e32 v3, 31, v2
	s_delay_alu instid0(VALU_DEP_1) | instskip(SKIP_3) | instid1(SALU_CYCLE_1)
	v_mul_u64_e32 v[2:3], s[4:5], v[2:3]
	s_load_b256 s[4:11], s[0:1], 0x18
	s_wait_xcnt 0x0
	s_mul_i32 s0, s21, 0xffffffec
	s_add_co_i32 s0, s15, s0
	s_cmp_ge_u32 s21, s14
	s_cselect_b32 s14, s0, 20
	s_cmp_lg_u32 s13, 0x84
	s_cselect_b32 s33, -1, 0
	s_cmp_lg_u32 s12, 0x6f
	s_get_pc_i64 s[12:13]
	s_add_nc_u64 s[12:13], s[12:13], __const._ZL30rocblas_trsm_small_left_deviceILi20ELi20ELb1E19rocblas_complex_numIdES1_PKS1_PS1_Ev13rocblas_fill_18rocblas_operation_17rocblas_diagonal_iiT3_T4_lilT5_lili.step_sizes@rel64+4
	s_cselect_b32 s34, -1, 0
	s_lshl_b32 s36, s30, 4
	s_or_b32 s35, 0, 8
	s_add_co_i32 s36, s36, -16
	s_wait_kmcnt 0x0
	s_lshl_b64 s[0:1], s[10:11], 4
	s_lshl_b64 s[10:11], s[26:27], 4
	s_add_nc_u64 s[0:1], s[8:9], s[0:1]
	s_add_nc_u64 s[8:9], s[18:19], s[28:29]
	v_add_nc_u64_e32 v[4:5], s[0:1], v[8:9]
	v_cmp_gt_i32_e64 s0, s30, v0
	v_cmp_gt_i32_e64 s1, s14, v0
	v_add_nc_u32_e32 v9, v8, v1
	s_lshl_b64 s[14:15], s[24:25], 4
	v_lshl_add_u64 v[10:11], v[2:3], 4, s[8:9]
	v_add_nc_u64_e32 v[12:13], 8, v[4:5]
	s_lshl_b64 s[8:9], s[16:17], 4
	s_delay_alu instid0(VALU_DEP_2)
	v_add_nc_u64_e32 v[14:15], 8, v[10:11]
	s_branch .LBB222_4
.LBB222_2:                              ;   in Loop: Header=BB222_4 Depth=1
	s_add_co_i32 s20, s20, 0x10000
	s_delay_alu instid0(SALU_CYCLE_1)
	s_cmp_ge_u32 s20, s3
	s_cselect_b32 s16, -1, 0
	s_and_not1_b32 s39, s39, exec_lo
	s_or_not1_b32 s16, s16, exec_lo
.LBB222_3:                              ;   in Loop: Header=BB222_4 Depth=1
	s_wait_xcnt 0x0
	s_or_b32 exec_lo, exec_lo, s40
	s_delay_alu instid0(SALU_CYCLE_1) | instskip(NEXT) | instid1(SALU_CYCLE_1)
	s_and_b32 s16, exec_lo, s16
	s_or_b32 s37, s16, s37
	s_and_not1_b32 s16, s38, exec_lo
	s_and_b32 s17, s39, exec_lo
	s_delay_alu instid0(SALU_CYCLE_1)
	s_or_b32 s38, s16, s17
	s_and_not1_b32 exec_lo, exec_lo, s37
	s_cbranch_execz .LBB222_58
.LBB222_4:                              ; =>This Loop Header: Depth=1
                                        ;     Child Loop BB222_6 Depth 2
                                        ;     Child Loop BB222_19 Depth 2
                                        ;       Child Loop BB222_22 Depth 3
                                        ;         Child Loop BB222_23 Depth 4
                                        ;         Child Loop BB222_25 Depth 4
                                        ;           Child Loop BB222_26 Depth 5
                                        ;         Child Loop BB222_30 Depth 4
                                        ;           Child Loop BB222_32 Depth 5
                                        ;     Child Loop BB222_40 Depth 2
                                        ;       Child Loop BB222_43 Depth 3
                                        ;         Child Loop BB222_44 Depth 4
                                        ;         Child Loop BB222_47 Depth 4
                                        ;           Child Loop BB222_48 Depth 5
                                        ;         Child Loop BB222_52 Depth 4
                                        ;           Child Loop BB222_54 Depth 5
	s_mov_b32 s21, s23
	s_and_saveexec_b32 s16, s0
	s_cbranch_execz .LBB222_15
; %bb.5:                                ;   in Loop: Header=BB222_4 Depth=1
	v_mad_nc_u64_u32 v[0:1], s8, s20, v[12:13]
	v_mov_b32_e32 v2, v8
	s_mov_b32 s17, s30
	s_delay_alu instid0(VALU_DEP_2)
	v_mad_u32 v1, s9, s20, v1
.LBB222_6:                              ;   Parent Loop BB222_4 Depth=1
                                        ; =>  This Inner Loop Header: Depth=2
	global_load_b128 v[4:7], v[0:1], off offset:-8
	s_wait_xcnt 0x0
	v_add_nc_u64_e32 v[0:1], s[10:11], v[0:1]
	s_add_co_i32 s17, s17, -1
	s_delay_alu instid0(SALU_CYCLE_1) | instskip(SKIP_2) | instid1(VALU_DEP_1)
	s_cmp_eq_u32 s17, 0
	s_wait_loadcnt 0x0
	v_xor_b32_e32 v3, 0x80000000, v7
	v_cndmask_b32_e64 v7, v7, v3, s2
	ds_store_b128 v2, v[4:7]
	v_add_nc_u32_e32 v2, 0x140, v2
	s_cbranch_scc0 .LBB222_6
; %bb.7:                                ;   in Loop: Header=BB222_4 Depth=1
	s_and_b32 vcc_lo, exec_lo, s33
	s_cbranch_vccz .LBB222_13
; %bb.8:                                ;   in Loop: Header=BB222_4 Depth=1
	ds_load_b128 v[0:3], v9
                                        ; implicit-def: $vgpr6_vgpr7
	s_wait_dscnt 0x0
	v_cmp_ngt_f64_e64 s17, |v[0:1]|, |v[2:3]|
	s_and_saveexec_b32 s18, s17
	s_delay_alu instid0(SALU_CYCLE_1)
	s_xor_b32 s17, exec_lo, s18
	s_cbranch_execz .LBB222_10
; %bb.9:                                ;   in Loop: Header=BB222_4 Depth=1
	v_div_scale_f64 v[4:5], null, v[2:3], v[2:3], v[0:1]
	v_div_scale_f64 v[18:19], vcc_lo, v[0:1], v[2:3], v[0:1]
	s_delay_alu instid0(VALU_DEP_2) | instskip(SKIP_1) | instid1(TRANS32_DEP_1)
	v_rcp_f64_e32 v[6:7], v[4:5]
	v_nop
	v_fma_f64 v[16:17], -v[4:5], v[6:7], 1.0
	s_delay_alu instid0(VALU_DEP_1) | instskip(NEXT) | instid1(VALU_DEP_1)
	v_fmac_f64_e32 v[6:7], v[6:7], v[16:17]
	v_fma_f64 v[16:17], -v[4:5], v[6:7], 1.0
	s_delay_alu instid0(VALU_DEP_1) | instskip(NEXT) | instid1(VALU_DEP_1)
	v_fmac_f64_e32 v[6:7], v[6:7], v[16:17]
	v_mul_f64_e32 v[16:17], v[18:19], v[6:7]
	s_delay_alu instid0(VALU_DEP_1) | instskip(NEXT) | instid1(VALU_DEP_1)
	v_fma_f64 v[4:5], -v[4:5], v[16:17], v[18:19]
	v_div_fmas_f64 v[4:5], v[4:5], v[6:7], v[16:17]
	s_delay_alu instid0(VALU_DEP_1) | instskip(NEXT) | instid1(VALU_DEP_1)
	v_div_fixup_f64 v[4:5], v[4:5], v[2:3], v[0:1]
	v_fmac_f64_e32 v[2:3], v[0:1], v[4:5]
	s_delay_alu instid0(VALU_DEP_1) | instskip(SKIP_1) | instid1(VALU_DEP_2)
	v_div_scale_f64 v[0:1], null, v[2:3], v[2:3], 1.0
	v_div_scale_f64 v[18:19], vcc_lo, 1.0, v[2:3], 1.0
	v_rcp_f64_e32 v[6:7], v[0:1]
	v_nop
	s_delay_alu instid0(TRANS32_DEP_1) | instskip(NEXT) | instid1(VALU_DEP_1)
	v_fma_f64 v[16:17], -v[0:1], v[6:7], 1.0
	v_fmac_f64_e32 v[6:7], v[6:7], v[16:17]
	s_delay_alu instid0(VALU_DEP_1) | instskip(NEXT) | instid1(VALU_DEP_1)
	v_fma_f64 v[16:17], -v[0:1], v[6:7], 1.0
	v_fmac_f64_e32 v[6:7], v[6:7], v[16:17]
	s_delay_alu instid0(VALU_DEP_1) | instskip(NEXT) | instid1(VALU_DEP_1)
	v_mul_f64_e32 v[16:17], v[18:19], v[6:7]
	v_fma_f64 v[0:1], -v[0:1], v[16:17], v[18:19]
	s_delay_alu instid0(VALU_DEP_1) | instskip(SKIP_1) | instid1(VALU_DEP_2)
	v_div_fmas_f64 v[0:1], v[0:1], v[6:7], v[16:17]
	v_add_f64_e32 v[6:7], 0, v[4:5]
	v_div_fixup_f64 v[0:1], v[0:1], v[2:3], 1.0
	v_fma_f64 v[2:3], v[4:5], 0, -1.0
	s_delay_alu instid0(VALU_DEP_2) | instskip(NEXT) | instid1(VALU_DEP_2)
	v_mul_f64_e32 v[4:5], v[6:7], v[0:1]
	v_mul_f64_e32 v[6:7], v[2:3], v[0:1]
                                        ; implicit-def: $vgpr0_vgpr1
.LBB222_10:                             ;   in Loop: Header=BB222_4 Depth=1
	s_and_not1_saveexec_b32 s17, s17
	s_cbranch_execz .LBB222_12
; %bb.11:                               ;   in Loop: Header=BB222_4 Depth=1
	v_div_scale_f64 v[4:5], null, v[0:1], v[0:1], v[2:3]
	v_div_scale_f64 v[18:19], vcc_lo, v[2:3], v[0:1], v[2:3]
	s_delay_alu instid0(VALU_DEP_2) | instskip(SKIP_1) | instid1(TRANS32_DEP_1)
	v_rcp_f64_e32 v[6:7], v[4:5]
	v_nop
	v_fma_f64 v[16:17], -v[4:5], v[6:7], 1.0
	s_delay_alu instid0(VALU_DEP_1) | instskip(NEXT) | instid1(VALU_DEP_1)
	v_fmac_f64_e32 v[6:7], v[6:7], v[16:17]
	v_fma_f64 v[16:17], -v[4:5], v[6:7], 1.0
	s_delay_alu instid0(VALU_DEP_1) | instskip(NEXT) | instid1(VALU_DEP_1)
	v_fmac_f64_e32 v[6:7], v[6:7], v[16:17]
	v_mul_f64_e32 v[16:17], v[18:19], v[6:7]
	s_delay_alu instid0(VALU_DEP_1) | instskip(NEXT) | instid1(VALU_DEP_1)
	v_fma_f64 v[4:5], -v[4:5], v[16:17], v[18:19]
	v_div_fmas_f64 v[4:5], v[4:5], v[6:7], v[16:17]
	s_delay_alu instid0(VALU_DEP_1) | instskip(NEXT) | instid1(VALU_DEP_1)
	v_div_fixup_f64 v[4:5], v[4:5], v[0:1], v[2:3]
	v_fmac_f64_e32 v[0:1], v[2:3], v[4:5]
	s_delay_alu instid0(VALU_DEP_1) | instskip(SKIP_1) | instid1(VALU_DEP_2)
	v_div_scale_f64 v[2:3], null, v[0:1], v[0:1], 1.0
	v_div_scale_f64 v[18:19], vcc_lo, 1.0, v[0:1], 1.0
	v_rcp_f64_e32 v[6:7], v[2:3]
	v_nop
	s_delay_alu instid0(TRANS32_DEP_1) | instskip(NEXT) | instid1(VALU_DEP_1)
	v_fma_f64 v[16:17], -v[2:3], v[6:7], 1.0
	v_fmac_f64_e32 v[6:7], v[6:7], v[16:17]
	s_delay_alu instid0(VALU_DEP_1) | instskip(NEXT) | instid1(VALU_DEP_1)
	v_fma_f64 v[16:17], -v[2:3], v[6:7], 1.0
	v_fmac_f64_e32 v[6:7], v[6:7], v[16:17]
	s_delay_alu instid0(VALU_DEP_1) | instskip(NEXT) | instid1(VALU_DEP_1)
	v_mul_f64_e32 v[16:17], v[18:19], v[6:7]
	v_fma_f64 v[2:3], -v[2:3], v[16:17], v[18:19]
	s_delay_alu instid0(VALU_DEP_1) | instskip(SKIP_1) | instid1(VALU_DEP_2)
	v_div_fmas_f64 v[2:3], v[2:3], v[6:7], v[16:17]
	v_fma_f64 v[6:7], v[4:5], 0, 1.0
	v_div_fixup_f64 v[0:1], v[2:3], v[0:1], 1.0
	v_add_f64_e64 v[2:3], -v[4:5], 0
	s_delay_alu instid0(VALU_DEP_2) | instskip(NEXT) | instid1(VALU_DEP_2)
	v_mul_f64_e32 v[4:5], v[6:7], v[0:1]
	v_mul_f64_e32 v[6:7], v[2:3], v[0:1]
.LBB222_12:                             ;   in Loop: Header=BB222_4 Depth=1
	s_or_b32 exec_lo, exec_lo, s17
	s_branch .LBB222_14
.LBB222_13:                             ;   in Loop: Header=BB222_4 Depth=1
	v_mov_b64_e32 v[6:7], 0
	v_mov_b64_e32 v[4:5], 1.0
.LBB222_14:                             ;   in Loop: Header=BB222_4 Depth=1
	ds_store_b128 v9, v[4:7]
.LBB222_15:                             ;   in Loop: Header=BB222_4 Depth=1
	s_or_b32 exec_lo, exec_lo, s16
	s_mov_b32 s16, -1
	s_or_b32 s39, s39, exec_lo
	s_wait_dscnt 0x0
	; wave barrier
	s_and_saveexec_b32 s40, s1
	s_cbranch_execz .LBB222_3
; %bb.16:                               ;   in Loop: Header=BB222_4 Depth=1
	s_mul_u64 s[16:17], s[24:25], s[20:21]
	s_and_not1_b32 vcc_lo, exec_lo, s34
	v_lshl_add_u64 v[4:5], s[16:17], 4, v[10:11]
	s_mul_u64 s[16:17], s[14:15], s[20:21]
	s_mov_b32 s18, -1
	s_cbranch_vccnz .LBB222_37
; %bb.17:                               ;   in Loop: Header=BB222_4 Depth=1
	v_add_nc_u64_e32 v[6:7], s[16:17], v[14:15]
	s_mov_b32 s21, 0
	s_mov_b32 s18, s31
	s_branch .LBB222_19
.LBB222_18:                             ;   in Loop: Header=BB222_19 Depth=2
	s_cmp_gt_i32 s18, -1
	s_cselect_b32 s19, -1, 0
	s_add_co_i32 s22, s21, 1
	s_cmp_lt_u32 s21, 2
	s_wait_xcnt 0x0
	s_cselect_b32 s21, -1, 0
	s_delay_alu instid0(SALU_CYCLE_1)
	s_and_b32 s19, s19, s21
	s_mov_b32 s21, s22
	s_and_b32 vcc_lo, exec_lo, s19
	s_cbranch_vccz .LBB222_36
.LBB222_19:                             ;   Parent Loop BB222_4 Depth=1
                                        ; =>  This Loop Header: Depth=2
                                        ;       Child Loop BB222_22 Depth 3
                                        ;         Child Loop BB222_23 Depth 4
                                        ;         Child Loop BB222_25 Depth 4
                                        ;           Child Loop BB222_26 Depth 5
                                        ;         Child Loop BB222_30 Depth 4
                                        ;           Child Loop BB222_32 Depth 5
	s_load_b32 s22, s[12:13], s21 offset:0x0 scale_offset
	s_wait_kmcnt 0x0
	s_add_co_i32 s41, s22, -1
	s_delay_alu instid0(SALU_CYCLE_1)
	s_cmp_lt_i32 s18, s41
	s_cbranch_scc1 .LBB222_18
; %bb.20:                               ;   in Loop: Header=BB222_19 Depth=2
	s_mul_i32 s19, s18, 0x140
	s_max_i32 s42, s22, 1
	s_add_co_i32 s43, s36, s19
	s_mul_i32 s44, s22, 0xfffffec0
	s_mul_i32 s45, s18, 0x150
	;; [unrolled: 1-line block ×3, first 2 shown]
	s_branch .LBB222_22
.LBB222_21:                             ;   in Loop: Header=BB222_22 Depth=3
	s_sub_co_i32 s18, s18, s22
	s_add_co_i32 s43, s43, s44
	s_add_co_i32 s45, s45, s46
	s_cmp_lt_i32 s18, s41
	s_cbranch_scc1 .LBB222_18
.LBB222_22:                             ;   Parent Loop BB222_4 Depth=1
                                        ;     Parent Loop BB222_19 Depth=2
                                        ; =>    This Loop Header: Depth=3
                                        ;         Child Loop BB222_23 Depth 4
                                        ;         Child Loop BB222_25 Depth 4
                                        ;           Child Loop BB222_26 Depth 5
                                        ;         Child Loop BB222_30 Depth 4
                                        ;           Child Loop BB222_32 Depth 5
	s_ashr_i32 s19, s18, 31
	s_mov_b32 s26, 8
	s_wait_xcnt 0x0
	v_lshl_add_u64 v[0:1], s[18:19], 4, v[6:7]
	s_mov_b32 s27, s42
.LBB222_23:                             ;   Parent Loop BB222_4 Depth=1
                                        ;     Parent Loop BB222_19 Depth=2
                                        ;       Parent Loop BB222_22 Depth=3
                                        ; =>      This Inner Loop Header: Depth=4
	global_load_b128 v[16:19], v[0:1], off offset:-8
	s_wait_xcnt 0x0
	v_add_nc_u64_e32 v[0:1], -16, v[0:1]
	s_add_co_i32 s27, s27, -1
	s_mov_b32 s28, s26
	s_add_co_i32 s26, s26, 16
	s_cmp_eq_u32 s27, 0
	s_wait_loadcnt 0x0
	v_mul_f64_e32 v[2:3], s[6:7], v[18:19]
	v_mul_f64_e32 v[20:21], s[4:5], v[18:19]
	s_delay_alu instid0(VALU_DEP_2) | instskip(NEXT) | instid1(VALU_DEP_2)
	v_fma_f64 v[18:19], s[4:5], v[16:17], -v[2:3]
	v_fmac_f64_e32 v[20:21], s[6:7], v[16:17]
	scratch_store_b128 off, v[18:21], s28 offset:-8
	s_cbranch_scc0 .LBB222_23
; %bb.24:                               ;   in Loop: Header=BB222_22 Depth=3
	s_cmp_le_i32 s31, s18
	s_wait_xcnt 0x0
	s_mov_b32 s28, s43
	s_mov_b32 s26, s31
	s_cbranch_scc1 .LBB222_28
.LBB222_25:                             ;   Parent Loop BB222_4 Depth=1
                                        ;     Parent Loop BB222_19 Depth=2
                                        ;       Parent Loop BB222_22 Depth=3
                                        ; =>      This Loop Header: Depth=4
                                        ;           Child Loop BB222_26 Depth 5
	s_ashr_i32 s27, s26, 31
	s_mov_b32 s29, s28
	v_lshl_add_u64 v[0:1], s[26:27], 4, v[4:5]
	s_mov_b32 s27, s35
	s_mov_b32 s47, s42
	global_load_b128 v[0:3], v[0:1], off
.LBB222_26:                             ;   Parent Loop BB222_4 Depth=1
                                        ;     Parent Loop BB222_19 Depth=2
                                        ;       Parent Loop BB222_22 Depth=3
                                        ;         Parent Loop BB222_25 Depth=4
                                        ; =>        This Inner Loop Header: Depth=5
	scratch_load_b128 v[16:19], off, s27 offset:-8
	v_mov_b32_e32 v20, s29
	s_add_co_i32 s47, s47, -1
	s_addk_co_i32 s29, 0xfec0
	ds_load_b128 v[20:23], v20
	s_wait_loadcnt_dscnt 0x100
	v_mul_f64_e32 v[24:25], v[2:3], v[22:23]
	v_mul_f64_e32 v[22:23], v[0:1], v[22:23]
	s_delay_alu instid0(VALU_DEP_2) | instskip(NEXT) | instid1(VALU_DEP_2)
	v_fma_f64 v[24:25], v[0:1], v[20:21], -v[24:25]
	v_fmac_f64_e32 v[22:23], v[2:3], v[20:21]
	s_wait_loadcnt 0x0
	s_delay_alu instid0(VALU_DEP_2) | instskip(NEXT) | instid1(VALU_DEP_2)
	v_add_f64_e64 v[16:17], v[16:17], -v[24:25]
	v_add_f64_e64 v[18:19], v[18:19], -v[22:23]
	scratch_store_b128 off, v[16:19], s27 offset:-8
	s_wait_xcnt 0x0
	s_add_co_i32 s27, s27, 16
	s_cmp_eq_u32 s47, 0
	s_cbranch_scc0 .LBB222_26
; %bb.27:                               ;   in Loop: Header=BB222_25 Depth=4
	s_add_co_i32 s26, s26, -1
	s_add_co_i32 s28, s28, -16
	s_cmp_le_i32 s26, s18
	s_cbranch_scc0 .LBB222_25
.LBB222_28:                             ;   in Loop: Header=BB222_22 Depth=3
	s_mov_b32 s47, 0
	s_mov_b32 s48, s45
	s_branch .LBB222_30
.LBB222_29:                             ;   in Loop: Header=BB222_30 Depth=4
	s_wait_xcnt 0x1
	s_mulk_i32 s28, 0x150
	s_addk_co_i32 s48, 0xfec0
	v_mov_b32_e32 v16, s28
	s_lshl_b32 s28, s47, 4
	s_add_co_i32 s47, s47, 1
	s_delay_alu instid0(SALU_CYCLE_1)
	s_cmp_eq_u32 s47, s42
	ds_load_b128 v[16:19], v16
	s_wait_loadcnt_dscnt 0x0
	s_wait_xcnt 0x0
	v_mul_f64_e32 v[20:21], v[18:19], v[2:3]
	v_mul_f64_e32 v[22:23], v[16:17], v[2:3]
	s_delay_alu instid0(VALU_DEP_2) | instskip(NEXT) | instid1(VALU_DEP_2)
	v_fma_f64 v[20:21], v[16:17], v[0:1], -v[20:21]
	v_fmac_f64_e32 v[22:23], v[18:19], v[0:1]
	v_lshl_add_u64 v[0:1], s[26:27], 4, v[4:5]
	scratch_store_b128 off, v[20:23], s28
	global_store_b128 v[0:1], v[20:23], off
	s_cbranch_scc1 .LBB222_21
.LBB222_30:                             ;   Parent Loop BB222_4 Depth=1
                                        ;     Parent Loop BB222_19 Depth=2
                                        ;       Parent Loop BB222_22 Depth=3
                                        ; =>      This Loop Header: Depth=4
                                        ;           Child Loop BB222_32 Depth 5
	s_cmp_lg_u32 s47, 0
	s_cbranch_scc0 .LBB222_34
; %bb.31:                               ;   in Loop: Header=BB222_30 Depth=4
	s_lshl_b32 s26, s47, 4
	s_mov_b32 s27, s35
	scratch_load_b128 v[0:3], off, s26
	s_mov_b32 s28, s48
	s_mov_b32 s29, s47
.LBB222_32:                             ;   Parent Loop BB222_4 Depth=1
                                        ;     Parent Loop BB222_19 Depth=2
                                        ;       Parent Loop BB222_22 Depth=3
                                        ;         Parent Loop BB222_30 Depth=4
                                        ; =>        This Inner Loop Header: Depth=5
	scratch_load_b128 v[16:19], off, s27 offset:-8
	v_mov_b32_e32 v20, s28
	s_add_co_i32 s29, s29, -1
	s_add_co_i32 s28, s28, -16
	s_wait_xcnt 0x0
	s_add_co_i32 s27, s27, 16
	s_cmp_eq_u32 s29, 0
	ds_load_b128 v[20:23], v20
	s_wait_loadcnt_dscnt 0x0
	v_mul_f64_e32 v[24:25], v[22:23], v[18:19]
	v_mul_f64_e32 v[18:19], v[20:21], v[18:19]
	s_delay_alu instid0(VALU_DEP_2) | instskip(NEXT) | instid1(VALU_DEP_2)
	v_fma_f64 v[20:21], v[20:21], v[16:17], -v[24:25]
	v_fmac_f64_e32 v[18:19], v[22:23], v[16:17]
	s_delay_alu instid0(VALU_DEP_2) | instskip(NEXT) | instid1(VALU_DEP_2)
	v_add_f64_e64 v[0:1], v[0:1], -v[20:21]
	v_add_f64_e64 v[2:3], v[2:3], -v[18:19]
	scratch_store_b128 off, v[0:3], s26
	s_cbranch_scc0 .LBB222_32
; %bb.33:                               ;   in Loop: Header=BB222_30 Depth=4
	s_sub_co_i32 s28, s18, s47
	s_delay_alu instid0(SALU_CYCLE_1)
	s_ashr_i32 s29, s28, 31
	s_wait_xcnt 0x0
	s_mov_b64 s[26:27], s[28:29]
	s_branch .LBB222_29
.LBB222_34:                             ;   in Loop: Header=BB222_30 Depth=4
                                        ; implicit-def: $vgpr0_vgpr1
                                        ; implicit-def: $sgpr28
                                        ; implicit-def: $sgpr26_sgpr27
	s_cbranch_execz .LBB222_29
; %bb.35:                               ;   in Loop: Header=BB222_30 Depth=4
	scratch_load_b128 v[0:3], off, off
	s_mov_b64 s[26:27], s[18:19]
	s_mov_b32 s28, s18
	s_branch .LBB222_29
.LBB222_36:                             ;   in Loop: Header=BB222_4 Depth=1
	s_mov_b32 s18, 0
.LBB222_37:                             ;   in Loop: Header=BB222_4 Depth=1
	s_delay_alu instid0(SALU_CYCLE_1)
	s_and_b32 vcc_lo, exec_lo, s18
	s_cbranch_vccz .LBB222_2
; %bb.38:                               ;   in Loop: Header=BB222_4 Depth=1
	v_add_nc_u64_e32 v[6:7], s[16:17], v[14:15]
	s_mov_b32 s16, 0
	s_mov_b32 s21, 0
	s_branch .LBB222_40
.LBB222_39:                             ;   in Loop: Header=BB222_40 Depth=2
	s_cmp_lt_i32 s16, s30
	s_cselect_b32 s17, -1, 0
	s_add_co_i32 s18, s21, 1
	s_cmp_lt_u32 s21, 2
	s_wait_xcnt 0x0
	s_mov_b32 s21, s18
	s_cselect_b32 s19, -1, 0
	s_delay_alu instid0(SALU_CYCLE_1) | instskip(NEXT) | instid1(SALU_CYCLE_1)
	s_and_b32 s17, s17, s19
	s_and_not1_b32 vcc_lo, exec_lo, s17
	s_cbranch_vccnz .LBB222_2
.LBB222_40:                             ;   Parent Loop BB222_4 Depth=1
                                        ; =>  This Loop Header: Depth=2
                                        ;       Child Loop BB222_43 Depth 3
                                        ;         Child Loop BB222_44 Depth 4
                                        ;         Child Loop BB222_47 Depth 4
                                        ;           Child Loop BB222_48 Depth 5
                                        ;         Child Loop BB222_52 Depth 4
                                        ;           Child Loop BB222_54 Depth 5
	s_load_b32 s18, s[12:13], s21 offset:0x0 scale_offset
	s_wait_kmcnt 0x0
	s_add_co_i32 s28, s18, -1
	s_delay_alu instid0(SALU_CYCLE_1) | instskip(NEXT) | instid1(SALU_CYCLE_1)
	s_add_co_i32 s17, s28, s16
	s_cmp_ge_i32 s17, s30
	s_cbranch_scc1 .LBB222_39
; %bb.41:                               ;   in Loop: Header=BB222_40 Depth=2
	s_ashr_i32 s17, s16, 31
	s_ashr_i32 s19, s18, 31
	v_lshl_add_u64 v[16:17], s[16:17], 4, v[6:7]
	s_max_i32 s29, s18, 1
	s_lshl_b64 s[26:27], s[18:19], 4
	s_lshl_b32 s17, s16, 4
	s_lshl_b32 s19, s18, 4
	s_mul_i32 s41, s16, 0x150
	s_mul_i32 s42, s18, 0x150
	s_branch .LBB222_43
.LBB222_42:                             ;   in Loop: Header=BB222_43 Depth=3
	v_add_nc_u64_e32 v[16:17], s[26:27], v[16:17]
	s_add_co_i32 s16, s16, s18
	s_add_co_i32 s17, s17, s19
	;; [unrolled: 1-line block ×4, first 2 shown]
	s_cmp_ge_i32 s22, s30
	s_cbranch_scc1 .LBB222_39
.LBB222_43:                             ;   Parent Loop BB222_4 Depth=1
                                        ;     Parent Loop BB222_40 Depth=2
                                        ; =>    This Loop Header: Depth=3
                                        ;         Child Loop BB222_44 Depth 4
                                        ;         Child Loop BB222_47 Depth 4
                                        ;           Child Loop BB222_48 Depth 5
                                        ;         Child Loop BB222_52 Depth 4
                                        ;           Child Loop BB222_54 Depth 5
	s_wait_xcnt 0x0
	v_mov_b64_e32 v[0:1], v[16:17]
	s_mov_b32 s22, 8
	s_mov_b32 s43, s29
.LBB222_44:                             ;   Parent Loop BB222_4 Depth=1
                                        ;     Parent Loop BB222_40 Depth=2
                                        ;       Parent Loop BB222_43 Depth=3
                                        ; =>      This Inner Loop Header: Depth=4
	global_load_b128 v[18:21], v[0:1], off offset:-8
	s_wait_xcnt 0x0
	v_add_nc_u64_e32 v[0:1], 16, v[0:1]
	s_add_co_i32 s43, s43, -1
	s_mov_b32 s44, s22
	s_add_co_i32 s22, s22, 16
	s_cmp_eq_u32 s43, 0
	s_wait_loadcnt 0x0
	v_mul_f64_e32 v[2:3], s[6:7], v[20:21]
	v_mul_f64_e32 v[22:23], s[4:5], v[20:21]
	s_delay_alu instid0(VALU_DEP_2) | instskip(NEXT) | instid1(VALU_DEP_2)
	v_fma_f64 v[20:21], s[4:5], v[18:19], -v[2:3]
	v_fmac_f64_e32 v[22:23], s[6:7], v[18:19]
	scratch_store_b128 off, v[20:23], s44 offset:-8
	s_cbranch_scc0 .LBB222_44
; %bb.45:                               ;   in Loop: Header=BB222_43 Depth=3
	s_cmp_lt_i32 s16, 1
	s_cbranch_scc1 .LBB222_50
; %bb.46:                               ;   in Loop: Header=BB222_43 Depth=3
	s_mov_b32 s22, 0
	s_mov_b32 s43, s17
.LBB222_47:                             ;   Parent Loop BB222_4 Depth=1
                                        ;     Parent Loop BB222_40 Depth=2
                                        ;       Parent Loop BB222_43 Depth=3
                                        ; =>      This Loop Header: Depth=4
                                        ;           Child Loop BB222_48 Depth 5
	v_lshl_add_u64 v[0:1], s[22:23], 4, v[4:5]
	s_wait_xcnt 0x0
	s_mov_b32 s44, s35
	s_mov_b32 s45, s43
	;; [unrolled: 1-line block ×3, first 2 shown]
	global_load_b128 v[0:3], v[0:1], off
.LBB222_48:                             ;   Parent Loop BB222_4 Depth=1
                                        ;     Parent Loop BB222_40 Depth=2
                                        ;       Parent Loop BB222_43 Depth=3
                                        ;         Parent Loop BB222_47 Depth=4
                                        ; =>        This Inner Loop Header: Depth=5
	scratch_load_b128 v[18:21], off, s44 offset:-8
	v_mov_b32_e32 v22, s45
	s_add_co_i32 s46, s46, -1
	s_add_co_i32 s45, s45, 16
	ds_load_b128 v[22:25], v22
	s_wait_loadcnt_dscnt 0x100
	v_mul_f64_e32 v[26:27], v[2:3], v[24:25]
	v_mul_f64_e32 v[24:25], v[0:1], v[24:25]
	s_delay_alu instid0(VALU_DEP_2) | instskip(NEXT) | instid1(VALU_DEP_2)
	v_fma_f64 v[26:27], v[0:1], v[22:23], -v[26:27]
	v_fmac_f64_e32 v[24:25], v[2:3], v[22:23]
	s_wait_loadcnt 0x0
	s_delay_alu instid0(VALU_DEP_2) | instskip(NEXT) | instid1(VALU_DEP_2)
	v_add_f64_e64 v[18:19], v[18:19], -v[26:27]
	v_add_f64_e64 v[20:21], v[20:21], -v[24:25]
	scratch_store_b128 off, v[18:21], s44 offset:-8
	s_wait_xcnt 0x0
	s_add_co_i32 s44, s44, 16
	s_cmp_eq_u32 s46, 0
	s_cbranch_scc0 .LBB222_48
; %bb.49:                               ;   in Loop: Header=BB222_47 Depth=4
	s_add_co_i32 s22, s22, 1
	s_addk_co_i32 s43, 0x140
	s_cmp_eq_u32 s22, s16
	s_cbranch_scc0 .LBB222_47
.LBB222_50:                             ;   in Loop: Header=BB222_43 Depth=3
	s_mov_b32 s22, 0
	s_mov_b32 s43, s41
	s_branch .LBB222_52
.LBB222_51:                             ;   in Loop: Header=BB222_52 Depth=4
	s_add_co_i32 s44, s22, s16
	s_lshl_b32 s46, s22, 4
	s_mul_i32 s45, s44, 0x150
	s_add_co_i32 s22, s22, 1
	v_mov_b32_e32 v18, s45
	s_ashr_i32 s45, s44, 31
	s_add_co_i32 s43, s43, 16
	s_cmp_eq_u32 s22, s29
	ds_load_b128 v[18:21], v18
	s_wait_loadcnt_dscnt 0x0
	v_mul_f64_e32 v[22:23], v[20:21], v[2:3]
	v_mul_f64_e32 v[24:25], v[18:19], v[2:3]
	s_delay_alu instid0(VALU_DEP_2) | instskip(NEXT) | instid1(VALU_DEP_2)
	v_fma_f64 v[22:23], v[18:19], v[0:1], -v[22:23]
	v_fmac_f64_e32 v[24:25], v[20:21], v[0:1]
	v_lshl_add_u64 v[0:1], s[44:45], 4, v[4:5]
	scratch_store_b128 off, v[22:25], s46
	global_store_b128 v[0:1], v[22:25], off
	s_cbranch_scc1 .LBB222_42
.LBB222_52:                             ;   Parent Loop BB222_4 Depth=1
                                        ;     Parent Loop BB222_40 Depth=2
                                        ;       Parent Loop BB222_43 Depth=3
                                        ; =>      This Loop Header: Depth=4
                                        ;           Child Loop BB222_54 Depth 5
	s_cmp_lg_u32 s22, 0
	s_cbranch_scc0 .LBB222_56
; %bb.53:                               ;   in Loop: Header=BB222_52 Depth=4
	s_wait_xcnt 0x0
	s_lshl_b32 s44, s22, 4
	s_mov_b32 s45, s35
	scratch_load_b128 v[0:3], off, s44
	s_mov_b32 s46, s43
	s_mov_b32 s47, s22
.LBB222_54:                             ;   Parent Loop BB222_4 Depth=1
                                        ;     Parent Loop BB222_40 Depth=2
                                        ;       Parent Loop BB222_43 Depth=3
                                        ;         Parent Loop BB222_52 Depth=4
                                        ; =>        This Inner Loop Header: Depth=5
	scratch_load_b128 v[18:21], off, s45 offset:-8
	v_mov_b32_e32 v22, s46
	s_add_co_i32 s47, s47, -1
	s_addk_co_i32 s46, 0x140
	s_wait_xcnt 0x0
	s_add_co_i32 s45, s45, 16
	s_cmp_eq_u32 s47, 0
	ds_load_b128 v[22:25], v22
	s_wait_loadcnt_dscnt 0x0
	v_mul_f64_e32 v[26:27], v[24:25], v[20:21]
	v_mul_f64_e32 v[20:21], v[22:23], v[20:21]
	s_delay_alu instid0(VALU_DEP_2) | instskip(NEXT) | instid1(VALU_DEP_2)
	v_fma_f64 v[22:23], v[22:23], v[18:19], -v[26:27]
	v_fmac_f64_e32 v[20:21], v[24:25], v[18:19]
	s_delay_alu instid0(VALU_DEP_2) | instskip(NEXT) | instid1(VALU_DEP_2)
	v_add_f64_e64 v[0:1], v[0:1], -v[22:23]
	v_add_f64_e64 v[2:3], v[2:3], -v[20:21]
	scratch_store_b128 off, v[0:3], s44
	s_cbranch_scc0 .LBB222_54
; %bb.55:                               ;   in Loop: Header=BB222_52 Depth=4
	s_wait_xcnt 0x0
	s_branch .LBB222_51
.LBB222_56:                             ;   in Loop: Header=BB222_52 Depth=4
	s_wait_xcnt 0x0
                                        ; implicit-def: $vgpr0_vgpr1
	s_cbranch_execz .LBB222_51
; %bb.57:                               ;   in Loop: Header=BB222_52 Depth=4
	scratch_load_b128 v[0:3], off, off
	s_branch .LBB222_51
.LBB222_58:
	s_or_b32 exec_lo, exec_lo, s37
	s_and_saveexec_b32 s0, s38
	s_delay_alu instid0(SALU_CYCLE_1)
	s_xor_b32 s0, exec_lo, s0
.LBB222_59:
	s_endpgm
	.section	.rodata,"a",@progbits
	.p2align	6, 0x0
	.amdhsa_kernel _ZL30rocblas_trsm_small_left_deviceILi20ELi20ELb1E19rocblas_complex_numIdES1_PKS1_PS1_Ev13rocblas_fill_18rocblas_operation_17rocblas_diagonal_iiT3_T4_lilT5_lili
		.amdhsa_group_segment_fixed_size 6400
		.amdhsa_private_segment_fixed_size 336
		.amdhsa_kernarg_size 368
		.amdhsa_user_sgpr_count 2
		.amdhsa_user_sgpr_dispatch_ptr 0
		.amdhsa_user_sgpr_queue_ptr 0
		.amdhsa_user_sgpr_kernarg_segment_ptr 1
		.amdhsa_user_sgpr_dispatch_id 0
		.amdhsa_user_sgpr_kernarg_preload_length 0
		.amdhsa_user_sgpr_kernarg_preload_offset 0
		.amdhsa_user_sgpr_private_segment_size 0
		.amdhsa_wavefront_size32 1
		.amdhsa_uses_dynamic_stack 0
		.amdhsa_enable_private_segment 1
		.amdhsa_system_sgpr_workgroup_id_x 1
		.amdhsa_system_sgpr_workgroup_id_y 0
		.amdhsa_system_sgpr_workgroup_id_z 1
		.amdhsa_system_sgpr_workgroup_info 0
		.amdhsa_system_vgpr_workitem_id 0
		.amdhsa_next_free_vgpr 28
		.amdhsa_next_free_sgpr 49
		.amdhsa_named_barrier_count 0
		.amdhsa_reserve_vcc 1
		.amdhsa_float_round_mode_32 0
		.amdhsa_float_round_mode_16_64 0
		.amdhsa_float_denorm_mode_32 3
		.amdhsa_float_denorm_mode_16_64 3
		.amdhsa_fp16_overflow 0
		.amdhsa_memory_ordered 1
		.amdhsa_forward_progress 1
		.amdhsa_inst_pref_size 22
		.amdhsa_round_robin_scheduling 0
		.amdhsa_exception_fp_ieee_invalid_op 0
		.amdhsa_exception_fp_denorm_src 0
		.amdhsa_exception_fp_ieee_div_zero 0
		.amdhsa_exception_fp_ieee_overflow 0
		.amdhsa_exception_fp_ieee_underflow 0
		.amdhsa_exception_fp_ieee_inexact 0
		.amdhsa_exception_int_div_zero 0
	.end_amdhsa_kernel
	.section	.text._ZL30rocblas_trsm_small_left_deviceILi20ELi20ELb1E19rocblas_complex_numIdES1_PKS1_PS1_Ev13rocblas_fill_18rocblas_operation_17rocblas_diagonal_iiT3_T4_lilT5_lili,"axG",@progbits,_ZL30rocblas_trsm_small_left_deviceILi20ELi20ELb1E19rocblas_complex_numIdES1_PKS1_PS1_Ev13rocblas_fill_18rocblas_operation_17rocblas_diagonal_iiT3_T4_lilT5_lili,comdat
.Lfunc_end222:
	.size	_ZL30rocblas_trsm_small_left_deviceILi20ELi20ELb1E19rocblas_complex_numIdES1_PKS1_PS1_Ev13rocblas_fill_18rocblas_operation_17rocblas_diagonal_iiT3_T4_lilT5_lili, .Lfunc_end222-_ZL30rocblas_trsm_small_left_deviceILi20ELi20ELb1E19rocblas_complex_numIdES1_PKS1_PS1_Ev13rocblas_fill_18rocblas_operation_17rocblas_diagonal_iiT3_T4_lilT5_lili
                                        ; -- End function
	.set _ZL30rocblas_trsm_small_left_deviceILi20ELi20ELb1E19rocblas_complex_numIdES1_PKS1_PS1_Ev13rocblas_fill_18rocblas_operation_17rocblas_diagonal_iiT3_T4_lilT5_lili.num_vgpr, 28
	.set _ZL30rocblas_trsm_small_left_deviceILi20ELi20ELb1E19rocblas_complex_numIdES1_PKS1_PS1_Ev13rocblas_fill_18rocblas_operation_17rocblas_diagonal_iiT3_T4_lilT5_lili.num_agpr, 0
	.set _ZL30rocblas_trsm_small_left_deviceILi20ELi20ELb1E19rocblas_complex_numIdES1_PKS1_PS1_Ev13rocblas_fill_18rocblas_operation_17rocblas_diagonal_iiT3_T4_lilT5_lili.numbered_sgpr, 49
	.set _ZL30rocblas_trsm_small_left_deviceILi20ELi20ELb1E19rocblas_complex_numIdES1_PKS1_PS1_Ev13rocblas_fill_18rocblas_operation_17rocblas_diagonal_iiT3_T4_lilT5_lili.num_named_barrier, 0
	.set _ZL30rocblas_trsm_small_left_deviceILi20ELi20ELb1E19rocblas_complex_numIdES1_PKS1_PS1_Ev13rocblas_fill_18rocblas_operation_17rocblas_diagonal_iiT3_T4_lilT5_lili.private_seg_size, 336
	.set _ZL30rocblas_trsm_small_left_deviceILi20ELi20ELb1E19rocblas_complex_numIdES1_PKS1_PS1_Ev13rocblas_fill_18rocblas_operation_17rocblas_diagonal_iiT3_T4_lilT5_lili.uses_vcc, 1
	.set _ZL30rocblas_trsm_small_left_deviceILi20ELi20ELb1E19rocblas_complex_numIdES1_PKS1_PS1_Ev13rocblas_fill_18rocblas_operation_17rocblas_diagonal_iiT3_T4_lilT5_lili.uses_flat_scratch, 0
	.set _ZL30rocblas_trsm_small_left_deviceILi20ELi20ELb1E19rocblas_complex_numIdES1_PKS1_PS1_Ev13rocblas_fill_18rocblas_operation_17rocblas_diagonal_iiT3_T4_lilT5_lili.has_dyn_sized_stack, 0
	.set _ZL30rocblas_trsm_small_left_deviceILi20ELi20ELb1E19rocblas_complex_numIdES1_PKS1_PS1_Ev13rocblas_fill_18rocblas_operation_17rocblas_diagonal_iiT3_T4_lilT5_lili.has_recursion, 0
	.set _ZL30rocblas_trsm_small_left_deviceILi20ELi20ELb1E19rocblas_complex_numIdES1_PKS1_PS1_Ev13rocblas_fill_18rocblas_operation_17rocblas_diagonal_iiT3_T4_lilT5_lili.has_indirect_call, 0
	.section	.AMDGPU.csdata,"",@progbits
; Kernel info:
; codeLenInByte = 2696
; TotalNumSgprs: 51
; NumVgprs: 28
; ScratchSize: 336
; MemoryBound: 0
; FloatMode: 240
; IeeeMode: 1
; LDSByteSize: 6400 bytes/workgroup (compile time only)
; SGPRBlocks: 0
; VGPRBlocks: 1
; NumSGPRsForWavesPerEU: 51
; NumVGPRsForWavesPerEU: 28
; NamedBarCnt: 0
; Occupancy: 13
; WaveLimiterHint : 0
; COMPUTE_PGM_RSRC2:SCRATCH_EN: 1
; COMPUTE_PGM_RSRC2:USER_SGPR: 2
; COMPUTE_PGM_RSRC2:TRAP_HANDLER: 0
; COMPUTE_PGM_RSRC2:TGID_X_EN: 1
; COMPUTE_PGM_RSRC2:TGID_Y_EN: 0
; COMPUTE_PGM_RSRC2:TGID_Z_EN: 1
; COMPUTE_PGM_RSRC2:TIDIG_COMP_CNT: 0
	.section	.text._ZL31rocblas_trsm_small_right_deviceI19rocblas_complex_numIdES1_PKS1_PS1_Li20EEv13rocblas_fill_18rocblas_operation_17rocblas_diagonal_iiT0_T1_lilT2_lili,"axG",@progbits,_ZL31rocblas_trsm_small_right_deviceI19rocblas_complex_numIdES1_PKS1_PS1_Li20EEv13rocblas_fill_18rocblas_operation_17rocblas_diagonal_iiT0_T1_lilT2_lili,comdat
	.globl	_ZL31rocblas_trsm_small_right_deviceI19rocblas_complex_numIdES1_PKS1_PS1_Li20EEv13rocblas_fill_18rocblas_operation_17rocblas_diagonal_iiT0_T1_lilT2_lili ; -- Begin function _ZL31rocblas_trsm_small_right_deviceI19rocblas_complex_numIdES1_PKS1_PS1_Li20EEv13rocblas_fill_18rocblas_operation_17rocblas_diagonal_iiT0_T1_lilT2_lili
	.p2align	8
	.type	_ZL31rocblas_trsm_small_right_deviceI19rocblas_complex_numIdES1_PKS1_PS1_Li20EEv13rocblas_fill_18rocblas_operation_17rocblas_diagonal_iiT0_T1_lilT2_lili,@function
_ZL31rocblas_trsm_small_right_deviceI19rocblas_complex_numIdES1_PKS1_PS1_Li20EEv13rocblas_fill_18rocblas_operation_17rocblas_diagonal_iiT0_T1_lilT2_lili: ; @_ZL31rocblas_trsm_small_right_deviceI19rocblas_complex_numIdES1_PKS1_PS1_Li20EEv13rocblas_fill_18rocblas_operation_17rocblas_diagonal_iiT0_T1_lilT2_lili
; %bb.0:
	s_load_b32 s23, s[0:1], 0x68
	s_bfe_u32 s2, ttmp6, 0x40014
	s_lshr_b32 s3, ttmp7, 16
	s_add_co_i32 s2, s2, 1
	s_bfe_u32 s4, ttmp6, 0x40008
	s_mul_i32 s2, s3, s2
	s_getreg_b32 s31, hwreg(HW_REG_IB_STS2, 6, 4)
	s_add_co_i32 s4, s4, s2
	s_cmp_eq_u32 s31, 0
	s_cselect_b32 s2, s3, s4
	s_mov_b32 s3, 0
	s_wait_kmcnt 0x0
	s_cmp_ge_u32 s2, s23
	s_cbranch_scc1 .LBB223_146
; %bb.1:
	s_clause 0x7
	s_load_b32 s24, s[0:1], 0x38
	s_load_b96 s[20:22], s[0:1], 0x50
	s_load_b128 s[12:15], s[0:1], 0x0
	s_load_b32 s28, s[0:1], 0x10
	s_load_b32 s30, s[0:1], 0x70
	s_load_b64 s[26:27], s[0:1], 0x60
	s_load_b256 s[4:11], s[0:1], 0x18
	s_load_b128 s[16:19], s[0:1], 0x40
	v_dual_lshlrev_b32 v28, 4, v0 :: v_dual_mov_b32 v2, 0
	v_mul_u32_u24_e32 v3, 0x140, v0
	s_delay_alu instid0(VALU_DEP_2)
	v_dual_mov_b32 v29, v2 :: v_dual_add_nc_u32 v34, 0x1900, v28
	s_wait_kmcnt 0x0
	s_ashr_i32 s25, s24, 31
	s_ashr_i32 s37, s22, 31
	s_cmp_lg_u32 s12, 0x7a
	s_mov_b32 s36, s22
	s_cselect_b32 s33, -1, 0
	s_cmp_eq_u32 s13, 0x71
	s_cselect_b32 s0, -1, 0
	s_bfe_u32 s1, ttmp6, 0x4000c
	s_min_i32 s29, s28, 20
	s_add_co_i32 s1, s1, 1
	s_and_b32 s34, ttmp6, 15
	s_mul_i32 s1, ttmp9, s1
	s_add_co_i32 s35, s30, -1
	s_add_co_i32 s30, s29, -1
	s_add_co_i32 s34, s34, s1
	s_cmp_eq_u32 s31, 0
	s_mul_i32 s39, s29, 0x140
	s_cselect_b32 s34, ttmp9, s34
	v_add3_u32 v35, s39, v28, 0x17c0
	s_mul_i32 s1, s34, 0xffffffec
	s_mul_i32 s38, s29, 0x150
	s_add_co_i32 s15, s15, s1
	s_cmp_ge_u32 s34, s35
	v_cmp_gt_i32_e64 s1, s29, v0
	s_cselect_b32 s15, s15, 20
	s_ashr_i32 s35, s34, 31
	s_cmp_eq_u32 s14, 0x84
	v_cmp_gt_i32_e32 vcc_lo, s15, v0
	s_cselect_b32 s22, -1, 0
	s_cmp_gt_i32 s28, 0
	s_cselect_b32 s14, -1, 0
	s_cmp_lg_u32 s13, 0x6f
	s_cselect_b32 s13, -1, 0
	s_cmp_lg_u32 s12, 0x79
	s_cselect_b32 s12, -1, 0
	s_or_b32 s31, s33, s13
	s_or_b32 s33, s12, s13
	s_cmp_gt_i32 s28, 3
	v_cndmask_b32_e64 v36, 0, 1, s12
	s_mul_u64 s[12:13], s[34:35], 0x140
	s_cselect_b32 s34, -1, 0
	s_and_b32 s35, vcc_lo, s14
	s_lshl_b64 s[14:15], s[20:21], 4
	s_lshl_b64 s[10:11], s[10:11], 4
	s_add_nc_u64 s[12:13], s[12:13], s[14:15]
	s_add_nc_u64 s[8:9], s[8:9], s[10:11]
	;; [unrolled: 1-line block ×3, first 2 shown]
	v_add_nc_u64_e32 v[4:5], s[8:9], v[28:29]
	v_add_nc_u64_e32 v[0:1], s[10:11], v[28:29]
	v_add_nc_u32_e32 v29, v28, v3
	v_mov_b32_e32 v3, 0x3ff00000
	s_lshl_b32 s21, s29, 4
	s_lshl_b64 s[8:9], s[16:17], 4
	s_lshl_b64 s[10:11], s[24:25], 4
	v_add_nc_u64_e32 v[30:31], 8, v[4:5]
	v_add_nc_u64_e32 v[32:33], 8, v[0:1]
	s_lshl_b64 s[12:13], s[26:27], 4
	s_lshl_b64 s[14:15], s[36:37], 4
	s_add_co_i32 s18, s38, 0xfffffe80
	s_add_co_i32 s19, s39, 0xfffffec0
	;; [unrolled: 1-line block ×3, first 2 shown]
	s_add_co_i32 s21, s21, -16
	s_branch .LBB223_3
.LBB223_2:                              ;   in Loop: Header=BB223_3 Depth=1
	s_or_b32 exec_lo, exec_lo, s24
	s_add_co_i32 s2, s2, 0x10000
	s_delay_alu instid0(SALU_CYCLE_1)
	s_cmp_lt_u32 s2, s23
	s_cbranch_scc0 .LBB223_146
.LBB223_3:                              ; =>This Loop Header: Depth=1
                                        ;     Child Loop BB223_5 Depth 2
                                        ;     Child Loop BB223_10 Depth 2
	;; [unrolled: 1-line block ×3, first 2 shown]
                                        ;       Child Loop BB223_17 Depth 3
                                        ;     Child Loop BB223_39 Depth 2
                                        ;       Child Loop BB223_40 Depth 3
                                        ;     Child Loop BB223_48 Depth 2
	;; [unrolled: 2-line block ×8, first 2 shown]
	s_and_saveexec_b32 s16, s1
	s_cbranch_execz .LBB223_8
; %bb.4:                                ;   in Loop: Header=BB223_3 Depth=1
	v_mad_nc_u64_u32 v[4:5], s8, s2, v[30:31]
	v_mov_b32_e32 v6, v28
	s_mov_b32 s17, s29
	s_delay_alu instid0(VALU_DEP_2)
	v_mad_u32 v5, s9, s2, v5
.LBB223_5:                              ;   Parent Loop BB223_3 Depth=1
                                        ; =>  This Inner Loop Header: Depth=2
	global_load_b128 v[8:11], v[4:5], off offset:-8
	s_wait_xcnt 0x0
	v_add_nc_u64_e32 v[4:5], s[10:11], v[4:5]
	s_add_co_i32 s17, s17, -1
	s_delay_alu instid0(SALU_CYCLE_1) | instskip(SKIP_2) | instid1(VALU_DEP_1)
	s_cmp_eq_u32 s17, 0
	s_wait_loadcnt 0x0
	v_xor_b32_e32 v7, 0x80000000, v11
	v_cndmask_b32_e64 v11, v11, v7, s0
	ds_store_b128 v6, v[8:11]
	v_add_nc_u32_e32 v6, 0x140, v6
	s_cbranch_scc0 .LBB223_5
; %bb.6:                                ;   in Loop: Header=BB223_3 Depth=1
	s_and_b32 vcc_lo, exec_lo, s22
	s_cbranch_vccz .LBB223_8
; %bb.7:                                ;   in Loop: Header=BB223_3 Depth=1
	v_dual_mov_b32 v4, v2 :: v_dual_mov_b32 v5, v2
	ds_store_b128 v29, v[2:5]
.LBB223_8:                              ;   in Loop: Header=BB223_3 Depth=1
	s_or_b32 exec_lo, exec_lo, s16
	s_mul_u64 s[16:17], s[12:13], s[2:3]
	s_and_saveexec_b32 s24, s35
	s_cbranch_execz .LBB223_11
; %bb.9:                                ;   in Loop: Header=BB223_3 Depth=1
	v_add_nc_u64_e32 v[4:5], s[16:17], v[32:33]
	v_mov_b32_e32 v6, v34
	s_mov_b32 s25, s28
.LBB223_10:                             ;   Parent Loop BB223_3 Depth=1
                                        ; =>  This Inner Loop Header: Depth=2
	global_load_b128 v[8:11], v[4:5], off offset:-8
	s_wait_xcnt 0x0
	v_add_nc_u64_e32 v[4:5], s[14:15], v[4:5]
	s_add_co_i32 s25, s25, -1
	s_delay_alu instid0(SALU_CYCLE_1) | instskip(SKIP_3) | instid1(VALU_DEP_2)
	s_cmp_lg_u32 s25, 0
	s_wait_loadcnt 0x0
	v_mul_f64_e32 v[14:15], s[6:7], v[10:11]
	v_mul_f64_e32 v[12:13], s[4:5], v[10:11]
	v_fma_f64 v[10:11], s[4:5], v[8:9], -v[14:15]
	s_delay_alu instid0(VALU_DEP_2)
	v_fmac_f64_e32 v[12:13], s[6:7], v[8:9]
	ds_store_b128 v6, v[10:13]
	v_add_nc_u32_e32 v6, 0x140, v6
	s_cbranch_scc1 .LBB223_10
.LBB223_11:                             ;   in Loop: Header=BB223_3 Depth=1
	s_or_b32 exec_lo, exec_lo, s24
	s_delay_alu instid0(SALU_CYCLE_1)
	s_and_b32 vcc_lo, exec_lo, s33
	s_mov_b32 s24, -1
	s_wait_dscnt 0x0
	; wave barrier
	s_cbranch_vccz .LBB223_111
; %bb.12:                               ;   in Loop: Header=BB223_3 Depth=1
	s_and_b32 vcc_lo, exec_lo, s31
	s_cbranch_vccz .LBB223_79
; %bb.13:                               ;   in Loop: Header=BB223_3 Depth=1
	v_cmp_ne_u32_e32 vcc_lo, 1, v36
	s_cbranch_vccnz .LBB223_46
; %bb.14:                               ;   in Loop: Header=BB223_3 Depth=1
	s_and_not1_b32 vcc_lo, exec_lo, s34
	s_mov_b32 s26, 0
	s_cbranch_vccnz .LBB223_36
; %bb.15:                               ;   in Loop: Header=BB223_3 Depth=1
	s_mov_b32 s24, 0
	s_mov_b32 s25, 0
.LBB223_16:                             ;   Parent Loop BB223_3 Depth=1
                                        ; =>  This Loop Header: Depth=2
                                        ;       Child Loop BB223_17 Depth 3
	s_delay_alu instid0(SALU_CYCLE_1) | instskip(SKIP_3) | instid1(SALU_CYCLE_1)
	v_mad_u32 v38, 0x140, s25, v34
	s_or_b32 s26, s25, 3
	s_cmp_eq_u32 s25, 0
	s_mulk_i32 s26, 0x140
	v_dual_mov_b32 v12, v34 :: v_dual_add_nc_u32 v37, s26, v34
	s_mov_b32 s26, s24
	s_mov_b32 s27, s25
	ds_load_b128 v[20:23], v38
	ds_load_b128 v[16:19], v38 offset:320
	ds_load_b128 v[8:11], v38 offset:640
	ds_load_b128 v[4:7], v37
	s_cbranch_scc1 .LBB223_18
.LBB223_17:                             ;   Parent Loop BB223_3 Depth=1
                                        ;     Parent Loop BB223_16 Depth=2
                                        ; =>    This Inner Loop Header: Depth=3
	v_mov_b32_e32 v13, s26
	s_add_co_i32 s27, s27, -1
	s_addk_co_i32 s26, 0x140
	s_cmp_eq_u32 s27, 0
	ds_load_b128 v[24:27], v12
	ds_load_b128 v[40:43], v13
	ds_load_b128 v[44:47], v13 offset:16
	ds_load_b128 v[48:51], v13 offset:32
	;; [unrolled: 1-line block ×3, first 2 shown]
	v_add_nc_u32_e32 v12, 0x140, v12
	s_wait_dscnt 0x3
	v_mul_f64_e32 v[14:15], v[26:27], v[42:43]
	v_mul_f64_e32 v[42:43], v[24:25], v[42:43]
	s_wait_dscnt 0x2
	v_mul_f64_e32 v[56:57], v[26:27], v[46:47]
	v_mul_f64_e32 v[46:47], v[24:25], v[46:47]
	;; [unrolled: 3-line block ×4, first 2 shown]
	v_fma_f64 v[14:15], v[24:25], v[40:41], -v[14:15]
	v_fmac_f64_e32 v[42:43], v[26:27], v[40:41]
	v_fma_f64 v[40:41], v[24:25], v[44:45], -v[56:57]
	v_fmac_f64_e32 v[46:47], v[26:27], v[44:45]
	;; [unrolled: 2-line block ×4, first 2 shown]
	v_add_f64_e64 v[20:21], v[20:21], -v[14:15]
	v_add_f64_e64 v[22:23], v[22:23], -v[42:43]
	v_add_f64_e64 v[16:17], v[16:17], -v[40:41]
	v_add_f64_e64 v[18:19], v[18:19], -v[46:47]
	v_add_f64_e64 v[8:9], v[8:9], -v[44:45]
	v_add_f64_e64 v[10:11], v[10:11], -v[50:51]
	v_add_f64_e64 v[4:5], v[4:5], -v[24:25]
	v_add_f64_e64 v[6:7], v[6:7], -v[54:55]
	s_cbranch_scc0 .LBB223_17
.LBB223_18:                             ;   in Loop: Header=BB223_16 Depth=2
	s_lshl_b32 s26, s25, 4
	s_mul_i32 s27, s25, 0x140
	s_delay_alu instid0(SALU_CYCLE_1) | instskip(NEXT) | instid1(SALU_CYCLE_1)
	s_add_co_i32 s27, s26, s27
	v_mov_b32_e32 v12, s27
	ds_load_b128 v[24:27], v12
                                        ; implicit-def: $vgpr14_vgpr15
	s_wait_dscnt 0x0
	v_cmp_ngt_f64_e64 s36, |v[24:25]|, |v[26:27]|
	s_and_b32 vcc_lo, exec_lo, s36
	s_mov_b32 s36, -1
	s_cbranch_vccz .LBB223_20
; %bb.19:                               ;   in Loop: Header=BB223_16 Depth=2
	v_div_scale_f64 v[12:13], null, v[26:27], v[26:27], v[24:25]
	v_div_scale_f64 v[42:43], vcc_lo, v[24:25], v[26:27], v[24:25]
	s_mov_b32 s36, 0
	v_rcp_f64_e32 v[14:15], v[12:13]
	v_nop
	s_delay_alu instid0(TRANS32_DEP_1) | instskip(NEXT) | instid1(VALU_DEP_1)
	v_fma_f64 v[40:41], -v[12:13], v[14:15], 1.0
	v_fmac_f64_e32 v[14:15], v[14:15], v[40:41]
	s_delay_alu instid0(VALU_DEP_1) | instskip(NEXT) | instid1(VALU_DEP_1)
	v_fma_f64 v[40:41], -v[12:13], v[14:15], 1.0
	v_fmac_f64_e32 v[14:15], v[14:15], v[40:41]
	s_delay_alu instid0(VALU_DEP_1) | instskip(NEXT) | instid1(VALU_DEP_1)
	v_mul_f64_e32 v[40:41], v[42:43], v[14:15]
	v_fma_f64 v[12:13], -v[12:13], v[40:41], v[42:43]
	s_delay_alu instid0(VALU_DEP_1) | instskip(NEXT) | instid1(VALU_DEP_1)
	v_div_fmas_f64 v[12:13], v[12:13], v[14:15], v[40:41]
	v_div_fixup_f64 v[12:13], v[12:13], v[26:27], v[24:25]
	s_delay_alu instid0(VALU_DEP_1) | instskip(NEXT) | instid1(VALU_DEP_1)
	v_fma_f64 v[14:15], v[24:25], v[12:13], v[26:27]
	v_div_scale_f64 v[40:41], null, v[14:15], v[14:15], 1.0
	v_div_scale_f64 v[46:47], vcc_lo, 1.0, v[14:15], 1.0
	s_delay_alu instid0(VALU_DEP_2) | instskip(SKIP_1) | instid1(TRANS32_DEP_1)
	v_rcp_f64_e32 v[42:43], v[40:41]
	v_nop
	v_fma_f64 v[44:45], -v[40:41], v[42:43], 1.0
	s_delay_alu instid0(VALU_DEP_1) | instskip(NEXT) | instid1(VALU_DEP_1)
	v_fmac_f64_e32 v[42:43], v[42:43], v[44:45]
	v_fma_f64 v[44:45], -v[40:41], v[42:43], 1.0
	s_delay_alu instid0(VALU_DEP_1) | instskip(NEXT) | instid1(VALU_DEP_1)
	v_fmac_f64_e32 v[42:43], v[42:43], v[44:45]
	v_mul_f64_e32 v[44:45], v[46:47], v[42:43]
	s_delay_alu instid0(VALU_DEP_1) | instskip(NEXT) | instid1(VALU_DEP_1)
	v_fma_f64 v[40:41], -v[40:41], v[44:45], v[46:47]
	v_div_fmas_f64 v[40:41], v[40:41], v[42:43], v[44:45]
	v_fma_f64 v[42:43], v[20:21], v[12:13], v[22:23]
	s_delay_alu instid0(VALU_DEP_2) | instskip(SKIP_1) | instid1(VALU_DEP_2)
	v_div_fixup_f64 v[14:15], v[40:41], v[14:15], 1.0
	v_fma_f64 v[40:41], v[22:23], v[12:13], -v[20:21]
	v_mul_f64_e32 v[12:13], v[42:43], v[14:15]
	s_delay_alu instid0(VALU_DEP_2)
	v_mul_f64_e32 v[14:15], v[40:41], v[14:15]
.LBB223_20:                             ;   in Loop: Header=BB223_16 Depth=2
	s_and_not1_b32 vcc_lo, exec_lo, s36
	s_cbranch_vccnz .LBB223_22
; %bb.21:                               ;   in Loop: Header=BB223_16 Depth=2
	v_div_scale_f64 v[12:13], null, v[24:25], v[24:25], v[26:27]
	v_div_scale_f64 v[42:43], vcc_lo, v[26:27], v[24:25], v[26:27]
	s_delay_alu instid0(VALU_DEP_2) | instskip(SKIP_1) | instid1(TRANS32_DEP_1)
	v_rcp_f64_e32 v[14:15], v[12:13]
	v_nop
	v_fma_f64 v[40:41], -v[12:13], v[14:15], 1.0
	s_delay_alu instid0(VALU_DEP_1) | instskip(NEXT) | instid1(VALU_DEP_1)
	v_fmac_f64_e32 v[14:15], v[14:15], v[40:41]
	v_fma_f64 v[40:41], -v[12:13], v[14:15], 1.0
	s_delay_alu instid0(VALU_DEP_1) | instskip(NEXT) | instid1(VALU_DEP_1)
	v_fmac_f64_e32 v[14:15], v[14:15], v[40:41]
	v_mul_f64_e32 v[40:41], v[42:43], v[14:15]
	s_delay_alu instid0(VALU_DEP_1) | instskip(NEXT) | instid1(VALU_DEP_1)
	v_fma_f64 v[12:13], -v[12:13], v[40:41], v[42:43]
	v_div_fmas_f64 v[12:13], v[12:13], v[14:15], v[40:41]
	s_delay_alu instid0(VALU_DEP_1) | instskip(NEXT) | instid1(VALU_DEP_1)
	v_div_fixup_f64 v[12:13], v[12:13], v[24:25], v[26:27]
	v_fmac_f64_e32 v[24:25], v[26:27], v[12:13]
	s_delay_alu instid0(VALU_DEP_1) | instskip(SKIP_1) | instid1(VALU_DEP_2)
	v_div_scale_f64 v[14:15], null, v[24:25], v[24:25], 1.0
	v_div_scale_f64 v[42:43], vcc_lo, 1.0, v[24:25], 1.0
	v_rcp_f64_e32 v[26:27], v[14:15]
	v_nop
	s_delay_alu instid0(TRANS32_DEP_1) | instskip(NEXT) | instid1(VALU_DEP_1)
	v_fma_f64 v[40:41], -v[14:15], v[26:27], 1.0
	v_fmac_f64_e32 v[26:27], v[26:27], v[40:41]
	s_delay_alu instid0(VALU_DEP_1) | instskip(NEXT) | instid1(VALU_DEP_1)
	v_fma_f64 v[40:41], -v[14:15], v[26:27], 1.0
	v_fmac_f64_e32 v[26:27], v[26:27], v[40:41]
	s_delay_alu instid0(VALU_DEP_1) | instskip(NEXT) | instid1(VALU_DEP_1)
	v_mul_f64_e32 v[40:41], v[42:43], v[26:27]
	v_fma_f64 v[14:15], -v[14:15], v[40:41], v[42:43]
	s_delay_alu instid0(VALU_DEP_1) | instskip(SKIP_2) | instid1(VALU_DEP_3)
	v_div_fmas_f64 v[14:15], v[14:15], v[26:27], v[40:41]
	v_fma_f64 v[26:27], v[22:23], v[12:13], v[20:21]
	v_fma_f64 v[20:21], -v[20:21], v[12:13], v[22:23]
	v_div_fixup_f64 v[14:15], v[14:15], v[24:25], 1.0
	s_delay_alu instid0(VALU_DEP_1) | instskip(NEXT) | instid1(VALU_DEP_3)
	v_mul_f64_e32 v[12:13], v[26:27], v[14:15]
	v_mul_f64_e32 v[14:15], v[20:21], v[14:15]
.LBB223_22:                             ;   in Loop: Header=BB223_16 Depth=2
	v_mov_b32_e32 v20, s27
	ds_load_b128 v[24:27], v20 offset:16
	ds_load_b128 v[20:23], v20 offset:336
	ds_store_b128 v38, v[12:15]
	s_wait_dscnt 0x2
	v_mul_f64_e32 v[40:41], v[14:15], v[26:27]
	v_mul_f64_e32 v[26:27], v[12:13], v[26:27]
	s_wait_dscnt 0x1
	v_cmp_ngt_f64_e64 s36, |v[20:21]|, |v[22:23]|
	s_delay_alu instid0(VALU_DEP_3) | instskip(NEXT) | instid1(VALU_DEP_3)
	v_fma_f64 v[40:41], v[12:13], v[24:25], -v[40:41]
	v_fmac_f64_e32 v[26:27], v[14:15], v[24:25]
	s_and_b32 vcc_lo, exec_lo, s36
	s_mov_b32 s36, -1
	s_delay_alu instid0(VALU_DEP_2) | instskip(NEXT) | instid1(VALU_DEP_2)
	v_add_f64_e64 v[24:25], v[16:17], -v[40:41]
	v_add_f64_e64 v[26:27], v[18:19], -v[26:27]
                                        ; implicit-def: $vgpr18_vgpr19
	s_cbranch_vccz .LBB223_24
; %bb.23:                               ;   in Loop: Header=BB223_16 Depth=2
	v_div_scale_f64 v[16:17], null, v[22:23], v[22:23], v[20:21]
	v_div_scale_f64 v[42:43], vcc_lo, v[20:21], v[22:23], v[20:21]
	s_mov_b32 s36, 0
	v_rcp_f64_e32 v[18:19], v[16:17]
	v_nop
	s_delay_alu instid0(TRANS32_DEP_1) | instskip(NEXT) | instid1(VALU_DEP_1)
	v_fma_f64 v[40:41], -v[16:17], v[18:19], 1.0
	v_fmac_f64_e32 v[18:19], v[18:19], v[40:41]
	s_delay_alu instid0(VALU_DEP_1) | instskip(NEXT) | instid1(VALU_DEP_1)
	v_fma_f64 v[40:41], -v[16:17], v[18:19], 1.0
	v_fmac_f64_e32 v[18:19], v[18:19], v[40:41]
	s_delay_alu instid0(VALU_DEP_1) | instskip(NEXT) | instid1(VALU_DEP_1)
	v_mul_f64_e32 v[40:41], v[42:43], v[18:19]
	v_fma_f64 v[16:17], -v[16:17], v[40:41], v[42:43]
	s_delay_alu instid0(VALU_DEP_1) | instskip(NEXT) | instid1(VALU_DEP_1)
	v_div_fmas_f64 v[16:17], v[16:17], v[18:19], v[40:41]
	v_div_fixup_f64 v[16:17], v[16:17], v[22:23], v[20:21]
	s_delay_alu instid0(VALU_DEP_1) | instskip(NEXT) | instid1(VALU_DEP_1)
	v_fma_f64 v[18:19], v[20:21], v[16:17], v[22:23]
	v_div_scale_f64 v[40:41], null, v[18:19], v[18:19], 1.0
	v_div_scale_f64 v[46:47], vcc_lo, 1.0, v[18:19], 1.0
	s_delay_alu instid0(VALU_DEP_2) | instskip(SKIP_1) | instid1(TRANS32_DEP_1)
	v_rcp_f64_e32 v[42:43], v[40:41]
	v_nop
	v_fma_f64 v[44:45], -v[40:41], v[42:43], 1.0
	s_delay_alu instid0(VALU_DEP_1) | instskip(NEXT) | instid1(VALU_DEP_1)
	v_fmac_f64_e32 v[42:43], v[42:43], v[44:45]
	v_fma_f64 v[44:45], -v[40:41], v[42:43], 1.0
	s_delay_alu instid0(VALU_DEP_1) | instskip(NEXT) | instid1(VALU_DEP_1)
	v_fmac_f64_e32 v[42:43], v[42:43], v[44:45]
	v_mul_f64_e32 v[44:45], v[46:47], v[42:43]
	s_delay_alu instid0(VALU_DEP_1) | instskip(NEXT) | instid1(VALU_DEP_1)
	v_fma_f64 v[40:41], -v[40:41], v[44:45], v[46:47]
	v_div_fmas_f64 v[40:41], v[40:41], v[42:43], v[44:45]
	v_fma_f64 v[42:43], v[16:17], v[24:25], v[26:27]
	s_delay_alu instid0(VALU_DEP_2) | instskip(SKIP_1) | instid1(VALU_DEP_2)
	v_div_fixup_f64 v[18:19], v[40:41], v[18:19], 1.0
	v_fma_f64 v[40:41], v[16:17], v[26:27], -v[24:25]
	v_mul_f64_e32 v[16:17], v[42:43], v[18:19]
	s_delay_alu instid0(VALU_DEP_2)
	v_mul_f64_e32 v[18:19], v[40:41], v[18:19]
.LBB223_24:                             ;   in Loop: Header=BB223_16 Depth=2
	s_and_not1_b32 vcc_lo, exec_lo, s36
	s_cbranch_vccnz .LBB223_26
; %bb.25:                               ;   in Loop: Header=BB223_16 Depth=2
	v_div_scale_f64 v[16:17], null, v[20:21], v[20:21], v[22:23]
	v_div_scale_f64 v[42:43], vcc_lo, v[22:23], v[20:21], v[22:23]
	s_delay_alu instid0(VALU_DEP_2) | instskip(SKIP_1) | instid1(TRANS32_DEP_1)
	v_rcp_f64_e32 v[18:19], v[16:17]
	v_nop
	v_fma_f64 v[40:41], -v[16:17], v[18:19], 1.0
	s_delay_alu instid0(VALU_DEP_1) | instskip(NEXT) | instid1(VALU_DEP_1)
	v_fmac_f64_e32 v[18:19], v[18:19], v[40:41]
	v_fma_f64 v[40:41], -v[16:17], v[18:19], 1.0
	s_delay_alu instid0(VALU_DEP_1) | instskip(NEXT) | instid1(VALU_DEP_1)
	v_fmac_f64_e32 v[18:19], v[18:19], v[40:41]
	v_mul_f64_e32 v[40:41], v[42:43], v[18:19]
	s_delay_alu instid0(VALU_DEP_1) | instskip(NEXT) | instid1(VALU_DEP_1)
	v_fma_f64 v[16:17], -v[16:17], v[40:41], v[42:43]
	v_div_fmas_f64 v[16:17], v[16:17], v[18:19], v[40:41]
	s_delay_alu instid0(VALU_DEP_1) | instskip(NEXT) | instid1(VALU_DEP_1)
	v_div_fixup_f64 v[16:17], v[16:17], v[20:21], v[22:23]
	v_fmac_f64_e32 v[20:21], v[22:23], v[16:17]
	s_delay_alu instid0(VALU_DEP_1) | instskip(SKIP_1) | instid1(VALU_DEP_2)
	v_div_scale_f64 v[18:19], null, v[20:21], v[20:21], 1.0
	v_div_scale_f64 v[42:43], vcc_lo, 1.0, v[20:21], 1.0
	v_rcp_f64_e32 v[22:23], v[18:19]
	v_nop
	s_delay_alu instid0(TRANS32_DEP_1) | instskip(NEXT) | instid1(VALU_DEP_1)
	v_fma_f64 v[40:41], -v[18:19], v[22:23], 1.0
	v_fmac_f64_e32 v[22:23], v[22:23], v[40:41]
	s_delay_alu instid0(VALU_DEP_1) | instskip(NEXT) | instid1(VALU_DEP_1)
	v_fma_f64 v[40:41], -v[18:19], v[22:23], 1.0
	v_fmac_f64_e32 v[22:23], v[22:23], v[40:41]
	s_delay_alu instid0(VALU_DEP_1) | instskip(NEXT) | instid1(VALU_DEP_1)
	v_mul_f64_e32 v[40:41], v[42:43], v[22:23]
	v_fma_f64 v[18:19], -v[18:19], v[40:41], v[42:43]
	s_delay_alu instid0(VALU_DEP_1) | instskip(SKIP_1) | instid1(VALU_DEP_2)
	v_div_fmas_f64 v[18:19], v[18:19], v[22:23], v[40:41]
	v_fma_f64 v[22:23], v[16:17], v[26:27], v[24:25]
	v_div_fixup_f64 v[18:19], v[18:19], v[20:21], 1.0
	v_fma_f64 v[20:21], -v[16:17], v[24:25], v[26:27]
	s_delay_alu instid0(VALU_DEP_2) | instskip(NEXT) | instid1(VALU_DEP_2)
	v_mul_f64_e32 v[16:17], v[22:23], v[18:19]
	v_mul_f64_e32 v[18:19], v[20:21], v[18:19]
.LBB223_26:                             ;   in Loop: Header=BB223_16 Depth=2
	v_mov_b32_e32 v20, s27
	s_add_co_i32 s36, s27, 0x150
	s_or_b32 s37, s26, 16
	ds_store_b128 v38, v[16:19] offset:320
	s_sub_co_i32 s37, s36, s37
	ds_load_b128 v[24:27], v20 offset:32
	s_add_co_i32 s37, s37, s26
	s_delay_alu instid0(SALU_CYCLE_1)
	v_mov_b32_e32 v39, s37
	ds_load_b128 v[40:43], v39 offset:32
	s_wait_dscnt 0x1
	v_mul_f64_e32 v[44:45], v[14:15], v[26:27]
	v_mul_f64_e32 v[26:27], v[12:13], v[26:27]
	ds_load_b128 v[20:23], v20 offset:672
	s_wait_dscnt 0x1
	v_mul_f64_e32 v[46:47], v[18:19], v[42:43]
	v_mul_f64_e32 v[42:43], v[16:17], v[42:43]
	s_wait_dscnt 0x0
	v_cmp_ngt_f64_e64 s38, |v[20:21]|, |v[22:23]|
	v_fma_f64 v[44:45], v[12:13], v[24:25], -v[44:45]
	v_fmac_f64_e32 v[26:27], v[14:15], v[24:25]
	v_fma_f64 v[24:25], v[16:17], v[40:41], -v[46:47]
	v_fmac_f64_e32 v[42:43], v[18:19], v[40:41]
	s_and_b32 vcc_lo, exec_lo, s38
	s_mov_b32 s38, -1
	s_delay_alu instid0(VALU_DEP_4) | instskip(NEXT) | instid1(VALU_DEP_4)
	v_add_f64_e64 v[8:9], v[8:9], -v[44:45]
	v_add_f64_e64 v[10:11], v[10:11], -v[26:27]
	s_delay_alu instid0(VALU_DEP_2) | instskip(NEXT) | instid1(VALU_DEP_2)
	v_add_f64_e64 v[8:9], v[8:9], -v[24:25]
	v_add_f64_e64 v[10:11], v[10:11], -v[42:43]
                                        ; implicit-def: $vgpr26_vgpr27
	s_cbranch_vccz .LBB223_28
; %bb.27:                               ;   in Loop: Header=BB223_16 Depth=2
	v_div_scale_f64 v[24:25], null, v[22:23], v[22:23], v[20:21]
	v_div_scale_f64 v[42:43], vcc_lo, v[20:21], v[22:23], v[20:21]
	s_mov_b32 s38, 0
	v_rcp_f64_e32 v[26:27], v[24:25]
	v_nop
	s_delay_alu instid0(TRANS32_DEP_1) | instskip(NEXT) | instid1(VALU_DEP_1)
	v_fma_f64 v[40:41], -v[24:25], v[26:27], 1.0
	v_fmac_f64_e32 v[26:27], v[26:27], v[40:41]
	s_delay_alu instid0(VALU_DEP_1) | instskip(NEXT) | instid1(VALU_DEP_1)
	v_fma_f64 v[40:41], -v[24:25], v[26:27], 1.0
	v_fmac_f64_e32 v[26:27], v[26:27], v[40:41]
	s_delay_alu instid0(VALU_DEP_1) | instskip(NEXT) | instid1(VALU_DEP_1)
	v_mul_f64_e32 v[40:41], v[42:43], v[26:27]
	v_fma_f64 v[24:25], -v[24:25], v[40:41], v[42:43]
	s_delay_alu instid0(VALU_DEP_1) | instskip(NEXT) | instid1(VALU_DEP_1)
	v_div_fmas_f64 v[24:25], v[24:25], v[26:27], v[40:41]
	v_div_fixup_f64 v[24:25], v[24:25], v[22:23], v[20:21]
	s_delay_alu instid0(VALU_DEP_1) | instskip(NEXT) | instid1(VALU_DEP_1)
	v_fma_f64 v[26:27], v[20:21], v[24:25], v[22:23]
	v_div_scale_f64 v[40:41], null, v[26:27], v[26:27], 1.0
	v_div_scale_f64 v[46:47], vcc_lo, 1.0, v[26:27], 1.0
	s_delay_alu instid0(VALU_DEP_2) | instskip(SKIP_1) | instid1(TRANS32_DEP_1)
	v_rcp_f64_e32 v[42:43], v[40:41]
	v_nop
	v_fma_f64 v[44:45], -v[40:41], v[42:43], 1.0
	s_delay_alu instid0(VALU_DEP_1) | instskip(NEXT) | instid1(VALU_DEP_1)
	v_fmac_f64_e32 v[42:43], v[42:43], v[44:45]
	v_fma_f64 v[44:45], -v[40:41], v[42:43], 1.0
	s_delay_alu instid0(VALU_DEP_1) | instskip(NEXT) | instid1(VALU_DEP_1)
	v_fmac_f64_e32 v[42:43], v[42:43], v[44:45]
	v_mul_f64_e32 v[44:45], v[46:47], v[42:43]
	s_delay_alu instid0(VALU_DEP_1) | instskip(NEXT) | instid1(VALU_DEP_1)
	v_fma_f64 v[40:41], -v[40:41], v[44:45], v[46:47]
	v_div_fmas_f64 v[40:41], v[40:41], v[42:43], v[44:45]
	v_fma_f64 v[42:43], v[24:25], v[8:9], v[10:11]
	s_delay_alu instid0(VALU_DEP_2) | instskip(SKIP_1) | instid1(VALU_DEP_2)
	v_div_fixup_f64 v[26:27], v[40:41], v[26:27], 1.0
	v_fma_f64 v[40:41], v[24:25], v[10:11], -v[8:9]
	v_mul_f64_e32 v[24:25], v[42:43], v[26:27]
	s_delay_alu instid0(VALU_DEP_2)
	v_mul_f64_e32 v[26:27], v[40:41], v[26:27]
.LBB223_28:                             ;   in Loop: Header=BB223_16 Depth=2
	s_and_not1_b32 vcc_lo, exec_lo, s38
	s_cbranch_vccnz .LBB223_30
; %bb.29:                               ;   in Loop: Header=BB223_16 Depth=2
	v_div_scale_f64 v[24:25], null, v[20:21], v[20:21], v[22:23]
	v_div_scale_f64 v[42:43], vcc_lo, v[22:23], v[20:21], v[22:23]
	s_delay_alu instid0(VALU_DEP_2) | instskip(SKIP_1) | instid1(TRANS32_DEP_1)
	v_rcp_f64_e32 v[26:27], v[24:25]
	v_nop
	v_fma_f64 v[40:41], -v[24:25], v[26:27], 1.0
	s_delay_alu instid0(VALU_DEP_1) | instskip(NEXT) | instid1(VALU_DEP_1)
	v_fmac_f64_e32 v[26:27], v[26:27], v[40:41]
	v_fma_f64 v[40:41], -v[24:25], v[26:27], 1.0
	s_delay_alu instid0(VALU_DEP_1) | instskip(NEXT) | instid1(VALU_DEP_1)
	v_fmac_f64_e32 v[26:27], v[26:27], v[40:41]
	v_mul_f64_e32 v[40:41], v[42:43], v[26:27]
	s_delay_alu instid0(VALU_DEP_1) | instskip(NEXT) | instid1(VALU_DEP_1)
	v_fma_f64 v[24:25], -v[24:25], v[40:41], v[42:43]
	v_div_fmas_f64 v[24:25], v[24:25], v[26:27], v[40:41]
	s_delay_alu instid0(VALU_DEP_1) | instskip(NEXT) | instid1(VALU_DEP_1)
	v_div_fixup_f64 v[24:25], v[24:25], v[20:21], v[22:23]
	v_fmac_f64_e32 v[20:21], v[22:23], v[24:25]
	s_delay_alu instid0(VALU_DEP_1) | instskip(SKIP_1) | instid1(VALU_DEP_2)
	v_div_scale_f64 v[22:23], null, v[20:21], v[20:21], 1.0
	v_div_scale_f64 v[42:43], vcc_lo, 1.0, v[20:21], 1.0
	v_rcp_f64_e32 v[26:27], v[22:23]
	v_nop
	s_delay_alu instid0(TRANS32_DEP_1) | instskip(NEXT) | instid1(VALU_DEP_1)
	v_fma_f64 v[40:41], -v[22:23], v[26:27], 1.0
	v_fmac_f64_e32 v[26:27], v[26:27], v[40:41]
	s_delay_alu instid0(VALU_DEP_1) | instskip(NEXT) | instid1(VALU_DEP_1)
	v_fma_f64 v[40:41], -v[22:23], v[26:27], 1.0
	v_fmac_f64_e32 v[26:27], v[26:27], v[40:41]
	s_delay_alu instid0(VALU_DEP_1) | instskip(NEXT) | instid1(VALU_DEP_1)
	v_mul_f64_e32 v[40:41], v[42:43], v[26:27]
	v_fma_f64 v[22:23], -v[22:23], v[40:41], v[42:43]
	s_delay_alu instid0(VALU_DEP_1) | instskip(SKIP_2) | instid1(VALU_DEP_3)
	v_div_fmas_f64 v[22:23], v[22:23], v[26:27], v[40:41]
	v_fma_f64 v[26:27], v[24:25], v[10:11], v[8:9]
	v_fma_f64 v[8:9], -v[24:25], v[8:9], v[10:11]
	v_div_fixup_f64 v[20:21], v[22:23], v[20:21], 1.0
	s_delay_alu instid0(VALU_DEP_1) | instskip(NEXT) | instid1(VALU_DEP_3)
	v_mul_f64_e32 v[24:25], v[26:27], v[20:21]
	v_mul_f64_e32 v[26:27], v[8:9], v[20:21]
.LBB223_30:                             ;   in Loop: Header=BB223_16 Depth=2
	v_mov_b32_e32 v8, s27
	s_or_b32 s27, s26, 32
	ds_load_b128 v[20:23], v8 offset:48
	ds_load_b128 v[8:11], v8 offset:1008
	s_sub_co_i32 s27, s36, s27
	ds_store_b128 v38, v[24:27] offset:640
	s_add_co_i32 s26, s27, s26
	v_mov_b32_e32 v39, s37
	ds_load_b128 v[40:43], v39 offset:48
	s_wait_dscnt 0x3
	v_dual_mul_f64 v[48:49], v[14:15], v[22:23] :: v_dual_mov_b32 v39, s26
	v_mul_f64_e32 v[22:23], v[12:13], v[22:23]
	s_wait_dscnt 0x2
	v_cmp_ngt_f64_e64 s26, |v[8:9]|, |v[10:11]|
	s_wait_dscnt 0x0
	v_mul_f64_e32 v[50:51], v[18:19], v[42:43]
	v_mul_f64_e32 v[42:43], v[16:17], v[42:43]
	ds_load_b128 v[44:47], v39 offset:384
	v_fma_f64 v[12:13], v[12:13], v[20:21], -v[48:49]
	v_fmac_f64_e32 v[22:23], v[14:15], v[20:21]
	s_and_b32 vcc_lo, exec_lo, s26
	s_mov_b32 s26, -1
	s_wait_dscnt 0x0
	v_mul_f64_e32 v[14:15], v[26:27], v[46:47]
	v_mul_f64_e32 v[20:21], v[24:25], v[46:47]
	v_fma_f64 v[16:17], v[16:17], v[40:41], -v[50:51]
	v_fmac_f64_e32 v[42:43], v[18:19], v[40:41]
	v_add_f64_e64 v[4:5], v[4:5], -v[12:13]
	v_add_f64_e64 v[6:7], v[6:7], -v[22:23]
	v_fma_f64 v[12:13], v[24:25], v[44:45], -v[14:15]
	v_fmac_f64_e32 v[20:21], v[26:27], v[44:45]
	s_delay_alu instid0(VALU_DEP_4) | instskip(NEXT) | instid1(VALU_DEP_4)
	v_add_f64_e64 v[4:5], v[4:5], -v[16:17]
	v_add_f64_e64 v[6:7], v[6:7], -v[42:43]
	s_delay_alu instid0(VALU_DEP_2) | instskip(NEXT) | instid1(VALU_DEP_2)
	v_add_f64_e64 v[12:13], v[4:5], -v[12:13]
	v_add_f64_e64 v[14:15], v[6:7], -v[20:21]
                                        ; implicit-def: $vgpr6_vgpr7
	s_cbranch_vccz .LBB223_32
; %bb.31:                               ;   in Loop: Header=BB223_16 Depth=2
	v_div_scale_f64 v[4:5], null, v[10:11], v[10:11], v[8:9]
	v_div_scale_f64 v[18:19], vcc_lo, v[8:9], v[10:11], v[8:9]
	s_mov_b32 s26, 0
	v_rcp_f64_e32 v[6:7], v[4:5]
	v_nop
	s_delay_alu instid0(TRANS32_DEP_1) | instskip(NEXT) | instid1(VALU_DEP_1)
	v_fma_f64 v[16:17], -v[4:5], v[6:7], 1.0
	v_fmac_f64_e32 v[6:7], v[6:7], v[16:17]
	s_delay_alu instid0(VALU_DEP_1) | instskip(NEXT) | instid1(VALU_DEP_1)
	v_fma_f64 v[16:17], -v[4:5], v[6:7], 1.0
	v_fmac_f64_e32 v[6:7], v[6:7], v[16:17]
	s_delay_alu instid0(VALU_DEP_1) | instskip(NEXT) | instid1(VALU_DEP_1)
	v_mul_f64_e32 v[16:17], v[18:19], v[6:7]
	v_fma_f64 v[4:5], -v[4:5], v[16:17], v[18:19]
	s_delay_alu instid0(VALU_DEP_1) | instskip(NEXT) | instid1(VALU_DEP_1)
	v_div_fmas_f64 v[4:5], v[4:5], v[6:7], v[16:17]
	v_div_fixup_f64 v[4:5], v[4:5], v[10:11], v[8:9]
	s_delay_alu instid0(VALU_DEP_1) | instskip(NEXT) | instid1(VALU_DEP_1)
	v_fma_f64 v[6:7], v[8:9], v[4:5], v[10:11]
	v_div_scale_f64 v[16:17], null, v[6:7], v[6:7], 1.0
	v_div_scale_f64 v[22:23], vcc_lo, 1.0, v[6:7], 1.0
	s_delay_alu instid0(VALU_DEP_2) | instskip(SKIP_1) | instid1(TRANS32_DEP_1)
	v_rcp_f64_e32 v[18:19], v[16:17]
	v_nop
	v_fma_f64 v[20:21], -v[16:17], v[18:19], 1.0
	s_delay_alu instid0(VALU_DEP_1) | instskip(NEXT) | instid1(VALU_DEP_1)
	v_fmac_f64_e32 v[18:19], v[18:19], v[20:21]
	v_fma_f64 v[20:21], -v[16:17], v[18:19], 1.0
	s_delay_alu instid0(VALU_DEP_1) | instskip(NEXT) | instid1(VALU_DEP_1)
	v_fmac_f64_e32 v[18:19], v[18:19], v[20:21]
	v_mul_f64_e32 v[20:21], v[22:23], v[18:19]
	s_delay_alu instid0(VALU_DEP_1) | instskip(NEXT) | instid1(VALU_DEP_1)
	v_fma_f64 v[16:17], -v[16:17], v[20:21], v[22:23]
	v_div_fmas_f64 v[16:17], v[16:17], v[18:19], v[20:21]
	v_fma_f64 v[18:19], v[4:5], v[12:13], v[14:15]
	s_delay_alu instid0(VALU_DEP_2) | instskip(SKIP_1) | instid1(VALU_DEP_2)
	v_div_fixup_f64 v[6:7], v[16:17], v[6:7], 1.0
	v_fma_f64 v[16:17], v[4:5], v[14:15], -v[12:13]
	v_mul_f64_e32 v[4:5], v[18:19], v[6:7]
	s_delay_alu instid0(VALU_DEP_2)
	v_mul_f64_e32 v[6:7], v[16:17], v[6:7]
.LBB223_32:                             ;   in Loop: Header=BB223_16 Depth=2
	s_and_not1_b32 vcc_lo, exec_lo, s26
	s_cbranch_vccnz .LBB223_34
; %bb.33:                               ;   in Loop: Header=BB223_16 Depth=2
	v_div_scale_f64 v[4:5], null, v[8:9], v[8:9], v[10:11]
	v_div_scale_f64 v[18:19], vcc_lo, v[10:11], v[8:9], v[10:11]
	s_delay_alu instid0(VALU_DEP_2) | instskip(SKIP_1) | instid1(TRANS32_DEP_1)
	v_rcp_f64_e32 v[6:7], v[4:5]
	v_nop
	v_fma_f64 v[16:17], -v[4:5], v[6:7], 1.0
	s_delay_alu instid0(VALU_DEP_1) | instskip(NEXT) | instid1(VALU_DEP_1)
	v_fmac_f64_e32 v[6:7], v[6:7], v[16:17]
	v_fma_f64 v[16:17], -v[4:5], v[6:7], 1.0
	s_delay_alu instid0(VALU_DEP_1) | instskip(NEXT) | instid1(VALU_DEP_1)
	v_fmac_f64_e32 v[6:7], v[6:7], v[16:17]
	v_mul_f64_e32 v[16:17], v[18:19], v[6:7]
	s_delay_alu instid0(VALU_DEP_1) | instskip(NEXT) | instid1(VALU_DEP_1)
	v_fma_f64 v[4:5], -v[4:5], v[16:17], v[18:19]
	v_div_fmas_f64 v[4:5], v[4:5], v[6:7], v[16:17]
	s_delay_alu instid0(VALU_DEP_1) | instskip(NEXT) | instid1(VALU_DEP_1)
	v_div_fixup_f64 v[4:5], v[4:5], v[8:9], v[10:11]
	v_fmac_f64_e32 v[8:9], v[10:11], v[4:5]
	s_delay_alu instid0(VALU_DEP_1) | instskip(SKIP_1) | instid1(VALU_DEP_2)
	v_div_scale_f64 v[6:7], null, v[8:9], v[8:9], 1.0
	v_div_scale_f64 v[18:19], vcc_lo, 1.0, v[8:9], 1.0
	v_rcp_f64_e32 v[10:11], v[6:7]
	v_nop
	s_delay_alu instid0(TRANS32_DEP_1) | instskip(NEXT) | instid1(VALU_DEP_1)
	v_fma_f64 v[16:17], -v[6:7], v[10:11], 1.0
	v_fmac_f64_e32 v[10:11], v[10:11], v[16:17]
	s_delay_alu instid0(VALU_DEP_1) | instskip(NEXT) | instid1(VALU_DEP_1)
	v_fma_f64 v[16:17], -v[6:7], v[10:11], 1.0
	v_fmac_f64_e32 v[10:11], v[10:11], v[16:17]
	s_delay_alu instid0(VALU_DEP_1) | instskip(NEXT) | instid1(VALU_DEP_1)
	v_mul_f64_e32 v[16:17], v[18:19], v[10:11]
	v_fma_f64 v[6:7], -v[6:7], v[16:17], v[18:19]
	s_delay_alu instid0(VALU_DEP_1) | instskip(SKIP_1) | instid1(VALU_DEP_2)
	v_div_fmas_f64 v[6:7], v[6:7], v[10:11], v[16:17]
	v_fma_f64 v[10:11], v[4:5], v[14:15], v[12:13]
	v_div_fixup_f64 v[6:7], v[6:7], v[8:9], 1.0
	v_fma_f64 v[8:9], -v[4:5], v[12:13], v[14:15]
	s_delay_alu instid0(VALU_DEP_2) | instskip(NEXT) | instid1(VALU_DEP_2)
	v_mul_f64_e32 v[4:5], v[10:11], v[6:7]
	v_mul_f64_e32 v[6:7], v[8:9], v[6:7]
.LBB223_34:                             ;   in Loop: Header=BB223_16 Depth=2
	s_add_co_i32 s26, s25, 4
	s_add_co_i32 s25, s25, 7
	s_add_co_i32 s24, s24, 64
	s_cmp_ge_i32 s25, s29
	ds_store_b128 v37, v[4:7]
	s_cbranch_scc1 .LBB223_36
; %bb.35:                               ;   in Loop: Header=BB223_16 Depth=2
	s_mov_b32 s25, s26
	s_branch .LBB223_16
.LBB223_36:                             ;   in Loop: Header=BB223_3 Depth=1
	s_cmp_ge_i32 s26, s29
	s_cbranch_scc1 .LBB223_45
; %bb.37:                               ;   in Loop: Header=BB223_3 Depth=1
	s_lshl_b32 s24, s26, 4
	s_branch .LBB223_39
.LBB223_38:                             ;   in Loop: Header=BB223_39 Depth=2
	s_add_co_i32 s26, s26, 1
	s_add_co_i32 s24, s24, 16
	s_cmp_ge_i32 s26, s29
	ds_store_b128 v16, v[12:15]
	s_cbranch_scc1 .LBB223_45
.LBB223_39:                             ;   Parent Loop BB223_3 Depth=1
                                        ; =>  This Loop Header: Depth=2
                                        ;       Child Loop BB223_40 Depth 3
	s_mul_i32 s25, s26, 0x140
	s_cmp_eq_u32 s26, 0
	v_dual_add_nc_u32 v16, s25, v34 :: v_dual_mov_b32 v8, v34
	s_mov_b32 s27, s24
	s_mov_b32 s36, s26
	ds_load_b128 v[4:7], v16
	s_cbranch_scc1 .LBB223_41
.LBB223_40:                             ;   Parent Loop BB223_3 Depth=1
                                        ;     Parent Loop BB223_39 Depth=2
                                        ; =>    This Inner Loop Header: Depth=3
	v_mov_b32_e32 v9, s27
	s_add_co_i32 s36, s36, -1
	s_addk_co_i32 s27, 0x140
	s_cmp_eq_u32 s36, 0
	ds_load_b128 v[10:13], v8
	ds_load_b128 v[18:21], v9
	v_add_nc_u32_e32 v8, 0x140, v8
	s_wait_dscnt 0x0
	v_mul_f64_e32 v[14:15], v[20:21], v[12:13]
	v_mul_f64_e32 v[12:13], v[18:19], v[12:13]
	s_delay_alu instid0(VALU_DEP_2) | instskip(NEXT) | instid1(VALU_DEP_2)
	v_fma_f64 v[14:15], v[18:19], v[10:11], -v[14:15]
	v_fmac_f64_e32 v[12:13], v[20:21], v[10:11]
	s_delay_alu instid0(VALU_DEP_2) | instskip(NEXT) | instid1(VALU_DEP_2)
	v_add_f64_e64 v[4:5], v[4:5], -v[14:15]
	v_add_f64_e64 v[6:7], v[6:7], -v[12:13]
	s_cbranch_scc0 .LBB223_40
.LBB223_41:                             ;   in Loop: Header=BB223_39 Depth=2
	s_lshl_b32 s27, s26, 4
                                        ; implicit-def: $vgpr12_vgpr13
	s_delay_alu instid0(SALU_CYCLE_1) | instskip(NEXT) | instid1(SALU_CYCLE_1)
	s_add_co_i32 s25, s27, s25
	v_mov_b32_e32 v8, s25
	ds_load_b128 v[8:11], v8
	s_wait_dscnt 0x0
	v_cmp_ngt_f64_e64 s25, |v[8:9]|, |v[10:11]|
	s_and_b32 vcc_lo, exec_lo, s25
	s_mov_b32 s25, -1
	s_cbranch_vccz .LBB223_43
; %bb.42:                               ;   in Loop: Header=BB223_39 Depth=2
	v_div_scale_f64 v[12:13], null, v[10:11], v[10:11], v[8:9]
	v_div_scale_f64 v[20:21], vcc_lo, v[8:9], v[10:11], v[8:9]
	s_mov_b32 s25, 0
	v_rcp_f64_e32 v[14:15], v[12:13]
	v_nop
	s_delay_alu instid0(TRANS32_DEP_1) | instskip(NEXT) | instid1(VALU_DEP_1)
	v_fma_f64 v[18:19], -v[12:13], v[14:15], 1.0
	v_fmac_f64_e32 v[14:15], v[14:15], v[18:19]
	s_delay_alu instid0(VALU_DEP_1) | instskip(NEXT) | instid1(VALU_DEP_1)
	v_fma_f64 v[18:19], -v[12:13], v[14:15], 1.0
	v_fmac_f64_e32 v[14:15], v[14:15], v[18:19]
	s_delay_alu instid0(VALU_DEP_1) | instskip(NEXT) | instid1(VALU_DEP_1)
	v_mul_f64_e32 v[18:19], v[20:21], v[14:15]
	v_fma_f64 v[12:13], -v[12:13], v[18:19], v[20:21]
	s_delay_alu instid0(VALU_DEP_1) | instskip(NEXT) | instid1(VALU_DEP_1)
	v_div_fmas_f64 v[12:13], v[12:13], v[14:15], v[18:19]
	v_div_fixup_f64 v[12:13], v[12:13], v[10:11], v[8:9]
	s_delay_alu instid0(VALU_DEP_1) | instskip(NEXT) | instid1(VALU_DEP_1)
	v_fma_f64 v[14:15], v[8:9], v[12:13], v[10:11]
	v_div_scale_f64 v[18:19], null, v[14:15], v[14:15], 1.0
	v_div_scale_f64 v[24:25], vcc_lo, 1.0, v[14:15], 1.0
	s_delay_alu instid0(VALU_DEP_2) | instskip(SKIP_1) | instid1(TRANS32_DEP_1)
	v_rcp_f64_e32 v[20:21], v[18:19]
	v_nop
	v_fma_f64 v[22:23], -v[18:19], v[20:21], 1.0
	s_delay_alu instid0(VALU_DEP_1) | instskip(NEXT) | instid1(VALU_DEP_1)
	v_fmac_f64_e32 v[20:21], v[20:21], v[22:23]
	v_fma_f64 v[22:23], -v[18:19], v[20:21], 1.0
	s_delay_alu instid0(VALU_DEP_1) | instskip(NEXT) | instid1(VALU_DEP_1)
	v_fmac_f64_e32 v[20:21], v[20:21], v[22:23]
	v_mul_f64_e32 v[22:23], v[24:25], v[20:21]
	s_delay_alu instid0(VALU_DEP_1) | instskip(NEXT) | instid1(VALU_DEP_1)
	v_fma_f64 v[18:19], -v[18:19], v[22:23], v[24:25]
	v_div_fmas_f64 v[18:19], v[18:19], v[20:21], v[22:23]
	v_fma_f64 v[20:21], v[4:5], v[12:13], v[6:7]
	s_delay_alu instid0(VALU_DEP_2) | instskip(SKIP_1) | instid1(VALU_DEP_2)
	v_div_fixup_f64 v[14:15], v[18:19], v[14:15], 1.0
	v_fma_f64 v[18:19], v[6:7], v[12:13], -v[4:5]
	v_mul_f64_e32 v[12:13], v[20:21], v[14:15]
	s_delay_alu instid0(VALU_DEP_2)
	v_mul_f64_e32 v[14:15], v[18:19], v[14:15]
.LBB223_43:                             ;   in Loop: Header=BB223_39 Depth=2
	s_and_not1_b32 vcc_lo, exec_lo, s25
	s_cbranch_vccnz .LBB223_38
; %bb.44:                               ;   in Loop: Header=BB223_39 Depth=2
	v_div_scale_f64 v[12:13], null, v[8:9], v[8:9], v[10:11]
	v_div_scale_f64 v[20:21], vcc_lo, v[10:11], v[8:9], v[10:11]
	s_delay_alu instid0(VALU_DEP_2) | instskip(SKIP_1) | instid1(TRANS32_DEP_1)
	v_rcp_f64_e32 v[14:15], v[12:13]
	v_nop
	v_fma_f64 v[18:19], -v[12:13], v[14:15], 1.0
	s_delay_alu instid0(VALU_DEP_1) | instskip(NEXT) | instid1(VALU_DEP_1)
	v_fmac_f64_e32 v[14:15], v[14:15], v[18:19]
	v_fma_f64 v[18:19], -v[12:13], v[14:15], 1.0
	s_delay_alu instid0(VALU_DEP_1) | instskip(NEXT) | instid1(VALU_DEP_1)
	v_fmac_f64_e32 v[14:15], v[14:15], v[18:19]
	v_mul_f64_e32 v[18:19], v[20:21], v[14:15]
	s_delay_alu instid0(VALU_DEP_1) | instskip(NEXT) | instid1(VALU_DEP_1)
	v_fma_f64 v[12:13], -v[12:13], v[18:19], v[20:21]
	v_div_fmas_f64 v[12:13], v[12:13], v[14:15], v[18:19]
	s_delay_alu instid0(VALU_DEP_1) | instskip(NEXT) | instid1(VALU_DEP_1)
	v_div_fixup_f64 v[12:13], v[12:13], v[8:9], v[10:11]
	v_fmac_f64_e32 v[8:9], v[10:11], v[12:13]
	s_delay_alu instid0(VALU_DEP_1) | instskip(SKIP_1) | instid1(VALU_DEP_2)
	v_div_scale_f64 v[10:11], null, v[8:9], v[8:9], 1.0
	v_div_scale_f64 v[20:21], vcc_lo, 1.0, v[8:9], 1.0
	v_rcp_f64_e32 v[14:15], v[10:11]
	v_nop
	s_delay_alu instid0(TRANS32_DEP_1) | instskip(NEXT) | instid1(VALU_DEP_1)
	v_fma_f64 v[18:19], -v[10:11], v[14:15], 1.0
	v_fmac_f64_e32 v[14:15], v[14:15], v[18:19]
	s_delay_alu instid0(VALU_DEP_1) | instskip(NEXT) | instid1(VALU_DEP_1)
	v_fma_f64 v[18:19], -v[10:11], v[14:15], 1.0
	v_fmac_f64_e32 v[14:15], v[14:15], v[18:19]
	s_delay_alu instid0(VALU_DEP_1) | instskip(NEXT) | instid1(VALU_DEP_1)
	v_mul_f64_e32 v[18:19], v[20:21], v[14:15]
	v_fma_f64 v[10:11], -v[10:11], v[18:19], v[20:21]
	s_delay_alu instid0(VALU_DEP_1) | instskip(SKIP_2) | instid1(VALU_DEP_3)
	v_div_fmas_f64 v[10:11], v[10:11], v[14:15], v[18:19]
	v_fma_f64 v[14:15], v[6:7], v[12:13], v[4:5]
	v_fma_f64 v[4:5], -v[4:5], v[12:13], v[6:7]
	v_div_fixup_f64 v[8:9], v[10:11], v[8:9], 1.0
	s_delay_alu instid0(VALU_DEP_1) | instskip(NEXT) | instid1(VALU_DEP_3)
	v_mul_f64_e32 v[12:13], v[14:15], v[8:9]
	v_mul_f64_e32 v[14:15], v[4:5], v[8:9]
	s_branch .LBB223_38
.LBB223_45:                             ;   in Loop: Header=BB223_3 Depth=1
	s_mov_b32 s24, 0
.LBB223_46:                             ;   in Loop: Header=BB223_3 Depth=1
	s_delay_alu instid0(SALU_CYCLE_1)
	s_and_b32 vcc_lo, exec_lo, s24
	s_cbranch_vccz .LBB223_78
; %bb.47:                               ;   in Loop: Header=BB223_3 Depth=1
	s_mov_b32 s26, s30
	s_and_not1_b32 vcc_lo, exec_lo, s34
	s_mov_b32 s24, s18
	s_mov_b32 s25, s30
	s_cbranch_vccnz .LBB223_69
.LBB223_48:                             ;   Parent Loop BB223_3 Depth=1
                                        ; =>  This Loop Header: Depth=2
                                        ;       Child Loop BB223_49 Depth 3
	s_mul_i32 s27, s25, 0x140
	s_mov_b32 s36, s30
	s_add_co_i32 s26, s27, 0xfffffc40
	s_delay_alu instid0(SALU_CYCLE_1) | instskip(SKIP_2) | instid1(VALU_DEP_1)
	v_dual_add_nc_u32 v40, s27, v34 :: v_dual_add_nc_u32 v37, s26, v34
	s_cmp_le_i32 s30, s25
	s_mov_b32 s26, s24
	v_dual_mov_b32 v12, v35 :: v_dual_add_nc_u32 v39, 0xfffffec0, v40
	v_add_nc_u32_e32 v38, 0xfffffd80, v40
	ds_load_b128 v[20:23], v40
	ds_load_b128 v[16:19], v39
	;; [unrolled: 1-line block ×4, first 2 shown]
	s_cbranch_scc1 .LBB223_50
.LBB223_49:                             ;   Parent Loop BB223_3 Depth=1
                                        ;     Parent Loop BB223_48 Depth=2
                                        ; =>    This Inner Loop Header: Depth=3
	v_mov_b32_e32 v13, s26
	s_add_co_i32 s36, s36, -1
	s_addk_co_i32 s26, 0xfec0
	s_cmp_le_i32 s36, s25
	ds_load_b128 v[24:27], v12
	ds_load_b128 v[42:45], v13 offset:48
	ds_load_b128 v[46:49], v13 offset:32
	;; [unrolled: 1-line block ×3, first 2 shown]
	ds_load_b128 v[54:57], v13
	v_add_nc_u32_e32 v12, 0xfffffec0, v12
	s_wait_dscnt 0x3
	v_mul_f64_e32 v[14:15], v[26:27], v[44:45]
	v_mul_f64_e32 v[44:45], v[24:25], v[44:45]
	s_wait_dscnt 0x2
	v_mul_f64_e32 v[58:59], v[26:27], v[48:49]
	v_mul_f64_e32 v[48:49], v[24:25], v[48:49]
	;; [unrolled: 3-line block ×4, first 2 shown]
	v_fma_f64 v[14:15], v[24:25], v[42:43], -v[14:15]
	v_fmac_f64_e32 v[44:45], v[26:27], v[42:43]
	v_fma_f64 v[42:43], v[24:25], v[46:47], -v[58:59]
	v_fmac_f64_e32 v[48:49], v[26:27], v[46:47]
	;; [unrolled: 2-line block ×4, first 2 shown]
	v_add_f64_e64 v[20:21], v[20:21], -v[14:15]
	v_add_f64_e64 v[22:23], v[22:23], -v[44:45]
	;; [unrolled: 1-line block ×8, first 2 shown]
	s_cbranch_scc0 .LBB223_49
.LBB223_50:                             ;   in Loop: Header=BB223_48 Depth=2
	s_add_co_i32 s26, s25, -3
; %bb.51:                               ;   in Loop: Header=BB223_48 Depth=2
	s_lshl_b32 s36, s25, 4
	s_delay_alu instid0(SALU_CYCLE_1) | instskip(NEXT) | instid1(SALU_CYCLE_1)
	s_add_co_i32 s27, s36, s27
	v_mov_b32_e32 v12, s27
	ds_load_b128 v[24:27], v12
                                        ; implicit-def: $vgpr14_vgpr15
	s_wait_dscnt 0x0
	v_cmp_ngt_f64_e64 s36, |v[24:25]|, |v[26:27]|
	s_and_b32 vcc_lo, exec_lo, s36
	s_mov_b32 s36, -1
	s_cbranch_vccz .LBB223_53
; %bb.52:                               ;   in Loop: Header=BB223_48 Depth=2
	v_div_scale_f64 v[12:13], null, v[26:27], v[26:27], v[24:25]
	v_div_scale_f64 v[44:45], vcc_lo, v[24:25], v[26:27], v[24:25]
	s_mov_b32 s36, 0
	v_rcp_f64_e32 v[14:15], v[12:13]
	v_nop
	s_delay_alu instid0(TRANS32_DEP_1) | instskip(NEXT) | instid1(VALU_DEP_1)
	v_fma_f64 v[42:43], -v[12:13], v[14:15], 1.0
	v_fmac_f64_e32 v[14:15], v[14:15], v[42:43]
	s_delay_alu instid0(VALU_DEP_1) | instskip(NEXT) | instid1(VALU_DEP_1)
	v_fma_f64 v[42:43], -v[12:13], v[14:15], 1.0
	v_fmac_f64_e32 v[14:15], v[14:15], v[42:43]
	s_delay_alu instid0(VALU_DEP_1) | instskip(NEXT) | instid1(VALU_DEP_1)
	v_mul_f64_e32 v[42:43], v[44:45], v[14:15]
	v_fma_f64 v[12:13], -v[12:13], v[42:43], v[44:45]
	s_delay_alu instid0(VALU_DEP_1) | instskip(NEXT) | instid1(VALU_DEP_1)
	v_div_fmas_f64 v[12:13], v[12:13], v[14:15], v[42:43]
	v_div_fixup_f64 v[12:13], v[12:13], v[26:27], v[24:25]
	s_delay_alu instid0(VALU_DEP_1) | instskip(NEXT) | instid1(VALU_DEP_1)
	v_fma_f64 v[14:15], v[24:25], v[12:13], v[26:27]
	v_div_scale_f64 v[42:43], null, v[14:15], v[14:15], 1.0
	v_div_scale_f64 v[48:49], vcc_lo, 1.0, v[14:15], 1.0
	s_delay_alu instid0(VALU_DEP_2) | instskip(SKIP_1) | instid1(TRANS32_DEP_1)
	v_rcp_f64_e32 v[44:45], v[42:43]
	v_nop
	v_fma_f64 v[46:47], -v[42:43], v[44:45], 1.0
	s_delay_alu instid0(VALU_DEP_1) | instskip(NEXT) | instid1(VALU_DEP_1)
	v_fmac_f64_e32 v[44:45], v[44:45], v[46:47]
	v_fma_f64 v[46:47], -v[42:43], v[44:45], 1.0
	s_delay_alu instid0(VALU_DEP_1) | instskip(NEXT) | instid1(VALU_DEP_1)
	v_fmac_f64_e32 v[44:45], v[44:45], v[46:47]
	v_mul_f64_e32 v[46:47], v[48:49], v[44:45]
	s_delay_alu instid0(VALU_DEP_1) | instskip(NEXT) | instid1(VALU_DEP_1)
	v_fma_f64 v[42:43], -v[42:43], v[46:47], v[48:49]
	v_div_fmas_f64 v[42:43], v[42:43], v[44:45], v[46:47]
	v_fma_f64 v[44:45], v[20:21], v[12:13], v[22:23]
	s_delay_alu instid0(VALU_DEP_2) | instskip(SKIP_1) | instid1(VALU_DEP_2)
	v_div_fixup_f64 v[14:15], v[42:43], v[14:15], 1.0
	v_fma_f64 v[42:43], v[22:23], v[12:13], -v[20:21]
	v_mul_f64_e32 v[12:13], v[44:45], v[14:15]
	s_delay_alu instid0(VALU_DEP_2)
	v_mul_f64_e32 v[14:15], v[42:43], v[14:15]
.LBB223_53:                             ;   in Loop: Header=BB223_48 Depth=2
	s_and_not1_b32 vcc_lo, exec_lo, s36
	s_cbranch_vccnz .LBB223_55
; %bb.54:                               ;   in Loop: Header=BB223_48 Depth=2
	v_div_scale_f64 v[12:13], null, v[24:25], v[24:25], v[26:27]
	v_div_scale_f64 v[44:45], vcc_lo, v[26:27], v[24:25], v[26:27]
	s_delay_alu instid0(VALU_DEP_2) | instskip(SKIP_1) | instid1(TRANS32_DEP_1)
	v_rcp_f64_e32 v[14:15], v[12:13]
	v_nop
	v_fma_f64 v[42:43], -v[12:13], v[14:15], 1.0
	s_delay_alu instid0(VALU_DEP_1) | instskip(NEXT) | instid1(VALU_DEP_1)
	v_fmac_f64_e32 v[14:15], v[14:15], v[42:43]
	v_fma_f64 v[42:43], -v[12:13], v[14:15], 1.0
	s_delay_alu instid0(VALU_DEP_1) | instskip(NEXT) | instid1(VALU_DEP_1)
	v_fmac_f64_e32 v[14:15], v[14:15], v[42:43]
	v_mul_f64_e32 v[42:43], v[44:45], v[14:15]
	s_delay_alu instid0(VALU_DEP_1) | instskip(NEXT) | instid1(VALU_DEP_1)
	v_fma_f64 v[12:13], -v[12:13], v[42:43], v[44:45]
	v_div_fmas_f64 v[12:13], v[12:13], v[14:15], v[42:43]
	s_delay_alu instid0(VALU_DEP_1) | instskip(NEXT) | instid1(VALU_DEP_1)
	v_div_fixup_f64 v[12:13], v[12:13], v[24:25], v[26:27]
	v_fmac_f64_e32 v[24:25], v[26:27], v[12:13]
	s_delay_alu instid0(VALU_DEP_1) | instskip(SKIP_1) | instid1(VALU_DEP_2)
	v_div_scale_f64 v[14:15], null, v[24:25], v[24:25], 1.0
	v_div_scale_f64 v[44:45], vcc_lo, 1.0, v[24:25], 1.0
	v_rcp_f64_e32 v[26:27], v[14:15]
	v_nop
	s_delay_alu instid0(TRANS32_DEP_1) | instskip(NEXT) | instid1(VALU_DEP_1)
	v_fma_f64 v[42:43], -v[14:15], v[26:27], 1.0
	v_fmac_f64_e32 v[26:27], v[26:27], v[42:43]
	s_delay_alu instid0(VALU_DEP_1) | instskip(NEXT) | instid1(VALU_DEP_1)
	v_fma_f64 v[42:43], -v[14:15], v[26:27], 1.0
	v_fmac_f64_e32 v[26:27], v[26:27], v[42:43]
	s_delay_alu instid0(VALU_DEP_1) | instskip(NEXT) | instid1(VALU_DEP_1)
	v_mul_f64_e32 v[42:43], v[44:45], v[26:27]
	v_fma_f64 v[14:15], -v[14:15], v[42:43], v[44:45]
	s_delay_alu instid0(VALU_DEP_1) | instskip(SKIP_2) | instid1(VALU_DEP_3)
	v_div_fmas_f64 v[14:15], v[14:15], v[26:27], v[42:43]
	v_fma_f64 v[26:27], v[22:23], v[12:13], v[20:21]
	v_fma_f64 v[20:21], -v[20:21], v[12:13], v[22:23]
	v_div_fixup_f64 v[14:15], v[14:15], v[24:25], 1.0
	s_delay_alu instid0(VALU_DEP_1) | instskip(NEXT) | instid1(VALU_DEP_3)
	v_mul_f64_e32 v[12:13], v[26:27], v[14:15]
	v_mul_f64_e32 v[14:15], v[20:21], v[14:15]
.LBB223_55:                             ;   in Loop: Header=BB223_48 Depth=2
	s_add_co_i32 s36, s27, -16
	s_add_co_i32 s37, s27, 0xfffffeb0
	v_mov_b32_e32 v20, s36
	ds_store_b128 v40, v[12:15]
	ds_load_b128 v[24:27], v20
	s_wait_dscnt 0x0
	v_dual_mul_f64 v[42:43], v[14:15], v[26:27] :: v_dual_mov_b32 v20, s37
	v_mul_f64_e32 v[26:27], v[12:13], v[26:27]
	ds_load_b128 v[20:23], v20
	s_wait_dscnt 0x0
	v_cmp_ngt_f64_e64 s36, |v[20:21]|, |v[22:23]|
	v_fma_f64 v[42:43], v[12:13], v[24:25], -v[42:43]
	v_fmac_f64_e32 v[26:27], v[14:15], v[24:25]
	s_and_b32 vcc_lo, exec_lo, s36
	s_mov_b32 s36, -1
	s_delay_alu instid0(VALU_DEP_2) | instskip(NEXT) | instid1(VALU_DEP_2)
	v_add_f64_e64 v[24:25], v[16:17], -v[42:43]
	v_add_f64_e64 v[26:27], v[18:19], -v[26:27]
                                        ; implicit-def: $vgpr18_vgpr19
	s_cbranch_vccz .LBB223_57
; %bb.56:                               ;   in Loop: Header=BB223_48 Depth=2
	v_div_scale_f64 v[16:17], null, v[22:23], v[22:23], v[20:21]
	v_div_scale_f64 v[42:43], vcc_lo, v[20:21], v[22:23], v[20:21]
	s_mov_b32 s36, 0
	v_rcp_f64_e32 v[18:19], v[16:17]
	v_nop
	s_delay_alu instid0(TRANS32_DEP_1) | instskip(NEXT) | instid1(VALU_DEP_1)
	v_fma_f64 v[40:41], -v[16:17], v[18:19], 1.0
	v_fmac_f64_e32 v[18:19], v[18:19], v[40:41]
	s_delay_alu instid0(VALU_DEP_1) | instskip(NEXT) | instid1(VALU_DEP_1)
	v_fma_f64 v[40:41], -v[16:17], v[18:19], 1.0
	v_fmac_f64_e32 v[18:19], v[18:19], v[40:41]
	s_delay_alu instid0(VALU_DEP_1) | instskip(NEXT) | instid1(VALU_DEP_1)
	v_mul_f64_e32 v[40:41], v[42:43], v[18:19]
	v_fma_f64 v[16:17], -v[16:17], v[40:41], v[42:43]
	s_delay_alu instid0(VALU_DEP_1) | instskip(NEXT) | instid1(VALU_DEP_1)
	v_div_fmas_f64 v[16:17], v[16:17], v[18:19], v[40:41]
	v_div_fixup_f64 v[16:17], v[16:17], v[22:23], v[20:21]
	s_delay_alu instid0(VALU_DEP_1) | instskip(NEXT) | instid1(VALU_DEP_1)
	v_fma_f64 v[18:19], v[20:21], v[16:17], v[22:23]
	v_div_scale_f64 v[40:41], null, v[18:19], v[18:19], 1.0
	v_div_scale_f64 v[46:47], vcc_lo, 1.0, v[18:19], 1.0
	s_delay_alu instid0(VALU_DEP_2) | instskip(SKIP_1) | instid1(TRANS32_DEP_1)
	v_rcp_f64_e32 v[42:43], v[40:41]
	v_nop
	v_fma_f64 v[44:45], -v[40:41], v[42:43], 1.0
	s_delay_alu instid0(VALU_DEP_1) | instskip(NEXT) | instid1(VALU_DEP_1)
	v_fmac_f64_e32 v[42:43], v[42:43], v[44:45]
	v_fma_f64 v[44:45], -v[40:41], v[42:43], 1.0
	s_delay_alu instid0(VALU_DEP_1) | instskip(NEXT) | instid1(VALU_DEP_1)
	v_fmac_f64_e32 v[42:43], v[42:43], v[44:45]
	v_mul_f64_e32 v[44:45], v[46:47], v[42:43]
	s_delay_alu instid0(VALU_DEP_1) | instskip(NEXT) | instid1(VALU_DEP_1)
	v_fma_f64 v[40:41], -v[40:41], v[44:45], v[46:47]
	v_div_fmas_f64 v[40:41], v[40:41], v[42:43], v[44:45]
	v_fma_f64 v[42:43], v[16:17], v[24:25], v[26:27]
	s_delay_alu instid0(VALU_DEP_2) | instskip(SKIP_1) | instid1(VALU_DEP_2)
	v_div_fixup_f64 v[18:19], v[40:41], v[18:19], 1.0
	v_fma_f64 v[40:41], v[16:17], v[26:27], -v[24:25]
	v_mul_f64_e32 v[16:17], v[42:43], v[18:19]
	s_delay_alu instid0(VALU_DEP_2)
	v_mul_f64_e32 v[18:19], v[40:41], v[18:19]
.LBB223_57:                             ;   in Loop: Header=BB223_48 Depth=2
	s_and_not1_b32 vcc_lo, exec_lo, s36
	s_cbranch_vccnz .LBB223_59
; %bb.58:                               ;   in Loop: Header=BB223_48 Depth=2
	v_div_scale_f64 v[16:17], null, v[20:21], v[20:21], v[22:23]
	v_div_scale_f64 v[42:43], vcc_lo, v[22:23], v[20:21], v[22:23]
	s_delay_alu instid0(VALU_DEP_2) | instskip(SKIP_1) | instid1(TRANS32_DEP_1)
	v_rcp_f64_e32 v[18:19], v[16:17]
	v_nop
	v_fma_f64 v[40:41], -v[16:17], v[18:19], 1.0
	s_delay_alu instid0(VALU_DEP_1) | instskip(NEXT) | instid1(VALU_DEP_1)
	v_fmac_f64_e32 v[18:19], v[18:19], v[40:41]
	v_fma_f64 v[40:41], -v[16:17], v[18:19], 1.0
	s_delay_alu instid0(VALU_DEP_1) | instskip(NEXT) | instid1(VALU_DEP_1)
	v_fmac_f64_e32 v[18:19], v[18:19], v[40:41]
	v_mul_f64_e32 v[40:41], v[42:43], v[18:19]
	s_delay_alu instid0(VALU_DEP_1) | instskip(NEXT) | instid1(VALU_DEP_1)
	v_fma_f64 v[16:17], -v[16:17], v[40:41], v[42:43]
	v_div_fmas_f64 v[16:17], v[16:17], v[18:19], v[40:41]
	s_delay_alu instid0(VALU_DEP_1) | instskip(NEXT) | instid1(VALU_DEP_1)
	v_div_fixup_f64 v[16:17], v[16:17], v[20:21], v[22:23]
	v_fmac_f64_e32 v[20:21], v[22:23], v[16:17]
	s_delay_alu instid0(VALU_DEP_1) | instskip(SKIP_1) | instid1(VALU_DEP_2)
	v_div_scale_f64 v[18:19], null, v[20:21], v[20:21], 1.0
	v_div_scale_f64 v[42:43], vcc_lo, 1.0, v[20:21], 1.0
	v_rcp_f64_e32 v[22:23], v[18:19]
	v_nop
	s_delay_alu instid0(TRANS32_DEP_1) | instskip(NEXT) | instid1(VALU_DEP_1)
	v_fma_f64 v[40:41], -v[18:19], v[22:23], 1.0
	v_fmac_f64_e32 v[22:23], v[22:23], v[40:41]
	s_delay_alu instid0(VALU_DEP_1) | instskip(NEXT) | instid1(VALU_DEP_1)
	v_fma_f64 v[40:41], -v[18:19], v[22:23], 1.0
	v_fmac_f64_e32 v[22:23], v[22:23], v[40:41]
	s_delay_alu instid0(VALU_DEP_1) | instskip(NEXT) | instid1(VALU_DEP_1)
	v_mul_f64_e32 v[40:41], v[42:43], v[22:23]
	v_fma_f64 v[18:19], -v[18:19], v[40:41], v[42:43]
	s_delay_alu instid0(VALU_DEP_1) | instskip(SKIP_1) | instid1(VALU_DEP_2)
	v_div_fmas_f64 v[18:19], v[18:19], v[22:23], v[40:41]
	v_fma_f64 v[22:23], v[16:17], v[26:27], v[24:25]
	v_div_fixup_f64 v[18:19], v[18:19], v[20:21], 1.0
	v_fma_f64 v[20:21], -v[16:17], v[24:25], v[26:27]
	s_delay_alu instid0(VALU_DEP_2) | instskip(NEXT) | instid1(VALU_DEP_2)
	v_mul_f64_e32 v[16:17], v[22:23], v[18:19]
	v_mul_f64_e32 v[18:19], v[20:21], v[18:19]
.LBB223_59:                             ;   in Loop: Header=BB223_48 Depth=2
	s_sub_co_i32 s36, s27, 32
	s_add_co_i32 s38, s25, -2
	v_mov_b32_e32 v20, s36
	s_add_co_i32 s36, s25, -1
	ds_store_b128 v39, v[16:19]
	s_lshl_b32 s39, s36, 4
	s_lshl_b32 s36, s38, 4
	s_sub_co_i32 s38, s37, s39
	s_delay_alu instid0(SALU_CYCLE_1) | instskip(NEXT) | instid1(SALU_CYCLE_1)
	s_add_co_i32 s37, s38, s36
	v_mov_b32_e32 v24, s37
	ds_load_b128 v[20:23], v20
	s_add_co_i32 s37, s27, 0xfffffd60
	ds_load_b128 v[24:27], v24
	s_wait_dscnt 0x1
	v_mul_f64_e32 v[40:41], v[14:15], v[22:23]
	v_mul_f64_e32 v[22:23], v[12:13], v[22:23]
	s_wait_dscnt 0x0
	v_mul_f64_e32 v[42:43], v[18:19], v[26:27]
	v_mul_f64_e32 v[26:27], v[16:17], v[26:27]
	s_delay_alu instid0(VALU_DEP_4) | instskip(NEXT) | instid1(VALU_DEP_4)
	v_fma_f64 v[40:41], v[12:13], v[20:21], -v[40:41]
	v_fmac_f64_e32 v[22:23], v[14:15], v[20:21]
	s_delay_alu instid0(VALU_DEP_4) | instskip(NEXT) | instid1(VALU_DEP_4)
	v_fma_f64 v[20:21], v[16:17], v[24:25], -v[42:43]
	v_fmac_f64_e32 v[26:27], v[18:19], v[24:25]
	s_delay_alu instid0(VALU_DEP_4) | instskip(NEXT) | instid1(VALU_DEP_4)
	v_add_f64_e64 v[24:25], v[8:9], -v[40:41]
	v_dual_add_f64 v[22:23], v[10:11], -v[22:23] :: v_dual_mov_b32 v8, s37
	ds_load_b128 v[8:11], v8
	s_wait_dscnt 0x0
	v_cmp_ngt_f64_e64 s39, |v[8:9]|, |v[10:11]|
	v_add_f64_e64 v[24:25], v[24:25], -v[20:21]
	v_add_f64_e64 v[26:27], v[22:23], -v[26:27]
                                        ; implicit-def: $vgpr22_vgpr23
	s_and_b32 vcc_lo, exec_lo, s39
	s_mov_b32 s39, -1
	s_cbranch_vccz .LBB223_61
; %bb.60:                               ;   in Loop: Header=BB223_48 Depth=2
	v_div_scale_f64 v[20:21], null, v[10:11], v[10:11], v[8:9]
	v_div_scale_f64 v[42:43], vcc_lo, v[8:9], v[10:11], v[8:9]
	s_mov_b32 s39, 0
	v_rcp_f64_e32 v[22:23], v[20:21]
	v_nop
	s_delay_alu instid0(TRANS32_DEP_1) | instskip(NEXT) | instid1(VALU_DEP_1)
	v_fma_f64 v[40:41], -v[20:21], v[22:23], 1.0
	v_fmac_f64_e32 v[22:23], v[22:23], v[40:41]
	s_delay_alu instid0(VALU_DEP_1) | instskip(NEXT) | instid1(VALU_DEP_1)
	v_fma_f64 v[40:41], -v[20:21], v[22:23], 1.0
	v_fmac_f64_e32 v[22:23], v[22:23], v[40:41]
	s_delay_alu instid0(VALU_DEP_1) | instskip(NEXT) | instid1(VALU_DEP_1)
	v_mul_f64_e32 v[40:41], v[42:43], v[22:23]
	v_fma_f64 v[20:21], -v[20:21], v[40:41], v[42:43]
	s_delay_alu instid0(VALU_DEP_1) | instskip(NEXT) | instid1(VALU_DEP_1)
	v_div_fmas_f64 v[20:21], v[20:21], v[22:23], v[40:41]
	v_div_fixup_f64 v[20:21], v[20:21], v[10:11], v[8:9]
	s_delay_alu instid0(VALU_DEP_1) | instskip(NEXT) | instid1(VALU_DEP_1)
	v_fma_f64 v[22:23], v[8:9], v[20:21], v[10:11]
	v_div_scale_f64 v[40:41], null, v[22:23], v[22:23], 1.0
	v_div_scale_f64 v[46:47], vcc_lo, 1.0, v[22:23], 1.0
	s_delay_alu instid0(VALU_DEP_2) | instskip(SKIP_1) | instid1(TRANS32_DEP_1)
	v_rcp_f64_e32 v[42:43], v[40:41]
	v_nop
	v_fma_f64 v[44:45], -v[40:41], v[42:43], 1.0
	s_delay_alu instid0(VALU_DEP_1) | instskip(NEXT) | instid1(VALU_DEP_1)
	v_fmac_f64_e32 v[42:43], v[42:43], v[44:45]
	v_fma_f64 v[44:45], -v[40:41], v[42:43], 1.0
	s_delay_alu instid0(VALU_DEP_1) | instskip(NEXT) | instid1(VALU_DEP_1)
	v_fmac_f64_e32 v[42:43], v[42:43], v[44:45]
	v_mul_f64_e32 v[44:45], v[46:47], v[42:43]
	s_delay_alu instid0(VALU_DEP_1) | instskip(NEXT) | instid1(VALU_DEP_1)
	v_fma_f64 v[40:41], -v[40:41], v[44:45], v[46:47]
	v_div_fmas_f64 v[40:41], v[40:41], v[42:43], v[44:45]
	v_fma_f64 v[42:43], v[20:21], v[24:25], v[26:27]
	s_delay_alu instid0(VALU_DEP_2) | instskip(SKIP_1) | instid1(VALU_DEP_2)
	v_div_fixup_f64 v[22:23], v[40:41], v[22:23], 1.0
	v_fma_f64 v[40:41], v[20:21], v[26:27], -v[24:25]
	v_mul_f64_e32 v[20:21], v[42:43], v[22:23]
	s_delay_alu instid0(VALU_DEP_2)
	v_mul_f64_e32 v[22:23], v[40:41], v[22:23]
.LBB223_61:                             ;   in Loop: Header=BB223_48 Depth=2
	s_and_not1_b32 vcc_lo, exec_lo, s39
	s_cbranch_vccnz .LBB223_63
; %bb.62:                               ;   in Loop: Header=BB223_48 Depth=2
	v_div_scale_f64 v[20:21], null, v[8:9], v[8:9], v[10:11]
	v_div_scale_f64 v[42:43], vcc_lo, v[10:11], v[8:9], v[10:11]
	s_delay_alu instid0(VALU_DEP_2) | instskip(SKIP_1) | instid1(TRANS32_DEP_1)
	v_rcp_f64_e32 v[22:23], v[20:21]
	v_nop
	v_fma_f64 v[40:41], -v[20:21], v[22:23], 1.0
	s_delay_alu instid0(VALU_DEP_1) | instskip(NEXT) | instid1(VALU_DEP_1)
	v_fmac_f64_e32 v[22:23], v[22:23], v[40:41]
	v_fma_f64 v[40:41], -v[20:21], v[22:23], 1.0
	s_delay_alu instid0(VALU_DEP_1) | instskip(NEXT) | instid1(VALU_DEP_1)
	v_fmac_f64_e32 v[22:23], v[22:23], v[40:41]
	v_mul_f64_e32 v[40:41], v[42:43], v[22:23]
	s_delay_alu instid0(VALU_DEP_1) | instskip(NEXT) | instid1(VALU_DEP_1)
	v_fma_f64 v[20:21], -v[20:21], v[40:41], v[42:43]
	v_div_fmas_f64 v[20:21], v[20:21], v[22:23], v[40:41]
	s_delay_alu instid0(VALU_DEP_1) | instskip(NEXT) | instid1(VALU_DEP_1)
	v_div_fixup_f64 v[20:21], v[20:21], v[8:9], v[10:11]
	v_fmac_f64_e32 v[8:9], v[10:11], v[20:21]
	s_delay_alu instid0(VALU_DEP_1) | instskip(SKIP_1) | instid1(VALU_DEP_2)
	v_div_scale_f64 v[10:11], null, v[8:9], v[8:9], 1.0
	v_div_scale_f64 v[42:43], vcc_lo, 1.0, v[8:9], 1.0
	v_rcp_f64_e32 v[22:23], v[10:11]
	v_nop
	s_delay_alu instid0(TRANS32_DEP_1) | instskip(NEXT) | instid1(VALU_DEP_1)
	v_fma_f64 v[40:41], -v[10:11], v[22:23], 1.0
	v_fmac_f64_e32 v[22:23], v[22:23], v[40:41]
	s_delay_alu instid0(VALU_DEP_1) | instskip(NEXT) | instid1(VALU_DEP_1)
	v_fma_f64 v[40:41], -v[10:11], v[22:23], 1.0
	v_fmac_f64_e32 v[22:23], v[22:23], v[40:41]
	s_delay_alu instid0(VALU_DEP_1) | instskip(NEXT) | instid1(VALU_DEP_1)
	v_mul_f64_e32 v[40:41], v[42:43], v[22:23]
	v_fma_f64 v[10:11], -v[10:11], v[40:41], v[42:43]
	s_delay_alu instid0(VALU_DEP_1) | instskip(SKIP_1) | instid1(VALU_DEP_2)
	v_div_fmas_f64 v[10:11], v[10:11], v[22:23], v[40:41]
	v_fma_f64 v[22:23], v[20:21], v[26:27], v[24:25]
	v_div_fixup_f64 v[8:9], v[10:11], v[8:9], 1.0
	v_fma_f64 v[10:11], -v[20:21], v[24:25], v[26:27]
	s_delay_alu instid0(VALU_DEP_2) | instskip(NEXT) | instid1(VALU_DEP_2)
	v_mul_f64_e32 v[20:21], v[22:23], v[8:9]
	v_mul_f64_e32 v[22:23], v[10:11], v[8:9]
.LBB223_63:                             ;   in Loop: Header=BB223_48 Depth=2
	s_sub_co_i32 s27, s27, 48
	s_lshl_b32 s26, s26, 4
	v_mov_b32_e32 v8, s27
	s_add_co_i32 s27, s38, s26
	ds_store_b128 v38, v[20:23]
	v_mov_b32_e32 v24, s27
	s_sub_co_i32 s27, s37, s36
	ds_load_b128 v[8:11], v8
	s_add_co_i32 s26, s27, s26
	ds_load_b128 v[24:27], v24
	s_wait_dscnt 0x1
	v_mul_f64_e32 v[40:41], v[14:15], v[10:11]
	v_mul_f64_e32 v[42:43], v[12:13], v[10:11]
	s_wait_dscnt 0x0
	v_mul_f64_e32 v[44:45], v[18:19], v[26:27]
	v_mul_f64_e32 v[26:27], v[16:17], v[26:27]
	s_delay_alu instid0(VALU_DEP_4) | instskip(NEXT) | instid1(VALU_DEP_4)
	v_fma_f64 v[40:41], v[12:13], v[8:9], -v[40:41]
	v_fmac_f64_e32 v[42:43], v[14:15], v[8:9]
	s_delay_alu instid0(VALU_DEP_4) | instskip(NEXT) | instid1(VALU_DEP_4)
	v_dual_fma_f64 v[16:17], v[16:17], v[24:25], -v[44:45] :: v_dual_mov_b32 v8, s26
	v_fmac_f64_e32 v[26:27], v[18:19], v[24:25]
	s_add_co_i32 s26, s37, 0xfffffeb0
	ds_load_b128 v[12:15], v8
	v_mov_b32_e32 v8, s26
	ds_load_b128 v[8:11], v8
	s_wait_dscnt 0x1
	v_mul_f64_e32 v[46:47], v[22:23], v[14:15]
	v_mul_f64_e32 v[14:15], v[20:21], v[14:15]
	v_add_f64_e64 v[4:5], v[4:5], -v[40:41]
	v_add_f64_e64 v[6:7], v[6:7], -v[42:43]
	s_wait_dscnt 0x0
	v_cmp_ngt_f64_e64 s26, |v[8:9]|, |v[10:11]|
	v_fma_f64 v[18:19], v[20:21], v[12:13], -v[46:47]
	v_fmac_f64_e32 v[14:15], v[22:23], v[12:13]
	v_add_f64_e64 v[4:5], v[4:5], -v[16:17]
	v_add_f64_e64 v[6:7], v[6:7], -v[26:27]
	s_and_b32 vcc_lo, exec_lo, s26
	s_mov_b32 s26, -1
	s_delay_alu instid0(VALU_DEP_2) | instskip(NEXT) | instid1(VALU_DEP_2)
	v_add_f64_e64 v[12:13], v[4:5], -v[18:19]
	v_add_f64_e64 v[14:15], v[6:7], -v[14:15]
                                        ; implicit-def: $vgpr6_vgpr7
	s_cbranch_vccz .LBB223_65
; %bb.64:                               ;   in Loop: Header=BB223_48 Depth=2
	v_div_scale_f64 v[4:5], null, v[10:11], v[10:11], v[8:9]
	v_div_scale_f64 v[18:19], vcc_lo, v[8:9], v[10:11], v[8:9]
	s_mov_b32 s26, 0
	v_rcp_f64_e32 v[6:7], v[4:5]
	v_nop
	s_delay_alu instid0(TRANS32_DEP_1) | instskip(NEXT) | instid1(VALU_DEP_1)
	v_fma_f64 v[16:17], -v[4:5], v[6:7], 1.0
	v_fmac_f64_e32 v[6:7], v[6:7], v[16:17]
	s_delay_alu instid0(VALU_DEP_1) | instskip(NEXT) | instid1(VALU_DEP_1)
	v_fma_f64 v[16:17], -v[4:5], v[6:7], 1.0
	v_fmac_f64_e32 v[6:7], v[6:7], v[16:17]
	s_delay_alu instid0(VALU_DEP_1) | instskip(NEXT) | instid1(VALU_DEP_1)
	v_mul_f64_e32 v[16:17], v[18:19], v[6:7]
	v_fma_f64 v[4:5], -v[4:5], v[16:17], v[18:19]
	s_delay_alu instid0(VALU_DEP_1) | instskip(NEXT) | instid1(VALU_DEP_1)
	v_div_fmas_f64 v[4:5], v[4:5], v[6:7], v[16:17]
	v_div_fixup_f64 v[4:5], v[4:5], v[10:11], v[8:9]
	s_delay_alu instid0(VALU_DEP_1) | instskip(NEXT) | instid1(VALU_DEP_1)
	v_fma_f64 v[6:7], v[8:9], v[4:5], v[10:11]
	v_div_scale_f64 v[16:17], null, v[6:7], v[6:7], 1.0
	v_div_scale_f64 v[22:23], vcc_lo, 1.0, v[6:7], 1.0
	s_delay_alu instid0(VALU_DEP_2) | instskip(SKIP_1) | instid1(TRANS32_DEP_1)
	v_rcp_f64_e32 v[18:19], v[16:17]
	v_nop
	v_fma_f64 v[20:21], -v[16:17], v[18:19], 1.0
	s_delay_alu instid0(VALU_DEP_1) | instskip(NEXT) | instid1(VALU_DEP_1)
	v_fmac_f64_e32 v[18:19], v[18:19], v[20:21]
	v_fma_f64 v[20:21], -v[16:17], v[18:19], 1.0
	s_delay_alu instid0(VALU_DEP_1) | instskip(NEXT) | instid1(VALU_DEP_1)
	v_fmac_f64_e32 v[18:19], v[18:19], v[20:21]
	v_mul_f64_e32 v[20:21], v[22:23], v[18:19]
	s_delay_alu instid0(VALU_DEP_1) | instskip(NEXT) | instid1(VALU_DEP_1)
	v_fma_f64 v[16:17], -v[16:17], v[20:21], v[22:23]
	v_div_fmas_f64 v[16:17], v[16:17], v[18:19], v[20:21]
	v_fma_f64 v[18:19], v[4:5], v[12:13], v[14:15]
	s_delay_alu instid0(VALU_DEP_2) | instskip(SKIP_1) | instid1(VALU_DEP_2)
	v_div_fixup_f64 v[6:7], v[16:17], v[6:7], 1.0
	v_fma_f64 v[16:17], v[4:5], v[14:15], -v[12:13]
	v_mul_f64_e32 v[4:5], v[18:19], v[6:7]
	s_delay_alu instid0(VALU_DEP_2)
	v_mul_f64_e32 v[6:7], v[16:17], v[6:7]
.LBB223_65:                             ;   in Loop: Header=BB223_48 Depth=2
	s_and_not1_b32 vcc_lo, exec_lo, s26
	s_cbranch_vccnz .LBB223_67
; %bb.66:                               ;   in Loop: Header=BB223_48 Depth=2
	v_div_scale_f64 v[4:5], null, v[8:9], v[8:9], v[10:11]
	v_div_scale_f64 v[18:19], vcc_lo, v[10:11], v[8:9], v[10:11]
	s_delay_alu instid0(VALU_DEP_2) | instskip(SKIP_1) | instid1(TRANS32_DEP_1)
	v_rcp_f64_e32 v[6:7], v[4:5]
	v_nop
	v_fma_f64 v[16:17], -v[4:5], v[6:7], 1.0
	s_delay_alu instid0(VALU_DEP_1) | instskip(NEXT) | instid1(VALU_DEP_1)
	v_fmac_f64_e32 v[6:7], v[6:7], v[16:17]
	v_fma_f64 v[16:17], -v[4:5], v[6:7], 1.0
	s_delay_alu instid0(VALU_DEP_1) | instskip(NEXT) | instid1(VALU_DEP_1)
	v_fmac_f64_e32 v[6:7], v[6:7], v[16:17]
	v_mul_f64_e32 v[16:17], v[18:19], v[6:7]
	s_delay_alu instid0(VALU_DEP_1) | instskip(NEXT) | instid1(VALU_DEP_1)
	v_fma_f64 v[4:5], -v[4:5], v[16:17], v[18:19]
	v_div_fmas_f64 v[4:5], v[4:5], v[6:7], v[16:17]
	s_delay_alu instid0(VALU_DEP_1) | instskip(NEXT) | instid1(VALU_DEP_1)
	v_div_fixup_f64 v[4:5], v[4:5], v[8:9], v[10:11]
	v_fmac_f64_e32 v[8:9], v[10:11], v[4:5]
	s_delay_alu instid0(VALU_DEP_1) | instskip(SKIP_1) | instid1(VALU_DEP_2)
	v_div_scale_f64 v[6:7], null, v[8:9], v[8:9], 1.0
	v_div_scale_f64 v[18:19], vcc_lo, 1.0, v[8:9], 1.0
	v_rcp_f64_e32 v[10:11], v[6:7]
	v_nop
	s_delay_alu instid0(TRANS32_DEP_1) | instskip(NEXT) | instid1(VALU_DEP_1)
	v_fma_f64 v[16:17], -v[6:7], v[10:11], 1.0
	v_fmac_f64_e32 v[10:11], v[10:11], v[16:17]
	s_delay_alu instid0(VALU_DEP_1) | instskip(NEXT) | instid1(VALU_DEP_1)
	v_fma_f64 v[16:17], -v[6:7], v[10:11], 1.0
	v_fmac_f64_e32 v[10:11], v[10:11], v[16:17]
	s_delay_alu instid0(VALU_DEP_1) | instskip(NEXT) | instid1(VALU_DEP_1)
	v_mul_f64_e32 v[16:17], v[18:19], v[10:11]
	v_fma_f64 v[6:7], -v[6:7], v[16:17], v[18:19]
	s_delay_alu instid0(VALU_DEP_1) | instskip(SKIP_1) | instid1(VALU_DEP_2)
	v_div_fmas_f64 v[6:7], v[6:7], v[10:11], v[16:17]
	v_fma_f64 v[10:11], v[4:5], v[14:15], v[12:13]
	v_div_fixup_f64 v[6:7], v[6:7], v[8:9], 1.0
	v_fma_f64 v[8:9], -v[4:5], v[12:13], v[14:15]
	s_delay_alu instid0(VALU_DEP_2) | instskip(NEXT) | instid1(VALU_DEP_2)
	v_mul_f64_e32 v[4:5], v[10:11], v[6:7]
	v_mul_f64_e32 v[6:7], v[8:9], v[6:7]
.LBB223_67:                             ;   in Loop: Header=BB223_48 Depth=2
	s_add_co_i32 s26, s25, -4
	s_sub_co_i32 s24, s24, 64
	s_cmp_lt_i32 s25, 7
	ds_store_b128 v37, v[4:7]
	s_cbranch_scc1 .LBB223_69
; %bb.68:                               ;   in Loop: Header=BB223_48 Depth=2
	s_mov_b32 s25, s26
	s_branch .LBB223_48
.LBB223_69:                             ;   in Loop: Header=BB223_3 Depth=1
	s_cmp_lt_i32 s26, 0
	s_cbranch_scc1 .LBB223_78
; %bb.70:                               ;   in Loop: Header=BB223_3 Depth=1
	s_lshl_b32 s24, s26, 4
	s_delay_alu instid0(SALU_CYCLE_1)
	s_add_co_i32 s24, s19, s24
	s_branch .LBB223_72
.LBB223_71:                             ;   in Loop: Header=BB223_72 Depth=2
	s_add_co_i32 s25, s26, -1
	s_add_co_i32 s24, s24, -16
	s_cmp_lt_i32 s26, 1
	s_mov_b32 s26, s25
	ds_store_b128 v16, v[12:15]
	s_cbranch_scc1 .LBB223_78
.LBB223_72:                             ;   Parent Loop BB223_3 Depth=1
                                        ; =>  This Loop Header: Depth=2
                                        ;       Child Loop BB223_73 Depth 3
	s_mul_i32 s25, s26, 0x140
	s_cmp_le_i32 s30, s26
	v_dual_add_nc_u32 v16, s25, v34 :: v_dual_mov_b32 v8, v35
	s_mov_b32 s27, s24
	s_mov_b32 s36, s30
	ds_load_b128 v[4:7], v16
	s_cbranch_scc1 .LBB223_74
.LBB223_73:                             ;   Parent Loop BB223_3 Depth=1
                                        ;     Parent Loop BB223_72 Depth=2
                                        ; =>    This Inner Loop Header: Depth=3
	v_mov_b32_e32 v9, s27
	s_add_co_i32 s36, s36, -1
	s_addk_co_i32 s27, 0xfec0
	s_cmp_le_i32 s36, s26
	ds_load_b128 v[10:13], v8
	ds_load_b128 v[18:21], v9
	v_add_nc_u32_e32 v8, 0xfffffec0, v8
	s_wait_dscnt 0x0
	v_mul_f64_e32 v[14:15], v[20:21], v[12:13]
	v_mul_f64_e32 v[12:13], v[18:19], v[12:13]
	s_delay_alu instid0(VALU_DEP_2) | instskip(NEXT) | instid1(VALU_DEP_2)
	v_fma_f64 v[14:15], v[18:19], v[10:11], -v[14:15]
	v_fmac_f64_e32 v[12:13], v[20:21], v[10:11]
	s_delay_alu instid0(VALU_DEP_2) | instskip(NEXT) | instid1(VALU_DEP_2)
	v_add_f64_e64 v[4:5], v[4:5], -v[14:15]
	v_add_f64_e64 v[6:7], v[6:7], -v[12:13]
	s_cbranch_scc0 .LBB223_73
.LBB223_74:                             ;   in Loop: Header=BB223_72 Depth=2
	s_lshl_b32 s27, s26, 4
                                        ; implicit-def: $vgpr12_vgpr13
	s_delay_alu instid0(SALU_CYCLE_1) | instskip(NEXT) | instid1(SALU_CYCLE_1)
	s_add_co_i32 s25, s27, s25
	v_mov_b32_e32 v8, s25
	ds_load_b128 v[8:11], v8
	s_wait_dscnt 0x0
	v_cmp_ngt_f64_e64 s25, |v[8:9]|, |v[10:11]|
	s_and_b32 vcc_lo, exec_lo, s25
	s_mov_b32 s25, -1
	s_cbranch_vccz .LBB223_76
; %bb.75:                               ;   in Loop: Header=BB223_72 Depth=2
	v_div_scale_f64 v[12:13], null, v[10:11], v[10:11], v[8:9]
	v_div_scale_f64 v[20:21], vcc_lo, v[8:9], v[10:11], v[8:9]
	s_mov_b32 s25, 0
	v_rcp_f64_e32 v[14:15], v[12:13]
	v_nop
	s_delay_alu instid0(TRANS32_DEP_1) | instskip(NEXT) | instid1(VALU_DEP_1)
	v_fma_f64 v[18:19], -v[12:13], v[14:15], 1.0
	v_fmac_f64_e32 v[14:15], v[14:15], v[18:19]
	s_delay_alu instid0(VALU_DEP_1) | instskip(NEXT) | instid1(VALU_DEP_1)
	v_fma_f64 v[18:19], -v[12:13], v[14:15], 1.0
	v_fmac_f64_e32 v[14:15], v[14:15], v[18:19]
	s_delay_alu instid0(VALU_DEP_1) | instskip(NEXT) | instid1(VALU_DEP_1)
	v_mul_f64_e32 v[18:19], v[20:21], v[14:15]
	v_fma_f64 v[12:13], -v[12:13], v[18:19], v[20:21]
	s_delay_alu instid0(VALU_DEP_1) | instskip(NEXT) | instid1(VALU_DEP_1)
	v_div_fmas_f64 v[12:13], v[12:13], v[14:15], v[18:19]
	v_div_fixup_f64 v[12:13], v[12:13], v[10:11], v[8:9]
	s_delay_alu instid0(VALU_DEP_1) | instskip(NEXT) | instid1(VALU_DEP_1)
	v_fma_f64 v[14:15], v[8:9], v[12:13], v[10:11]
	v_div_scale_f64 v[18:19], null, v[14:15], v[14:15], 1.0
	v_div_scale_f64 v[24:25], vcc_lo, 1.0, v[14:15], 1.0
	s_delay_alu instid0(VALU_DEP_2) | instskip(SKIP_1) | instid1(TRANS32_DEP_1)
	v_rcp_f64_e32 v[20:21], v[18:19]
	v_nop
	v_fma_f64 v[22:23], -v[18:19], v[20:21], 1.0
	s_delay_alu instid0(VALU_DEP_1) | instskip(NEXT) | instid1(VALU_DEP_1)
	v_fmac_f64_e32 v[20:21], v[20:21], v[22:23]
	v_fma_f64 v[22:23], -v[18:19], v[20:21], 1.0
	s_delay_alu instid0(VALU_DEP_1) | instskip(NEXT) | instid1(VALU_DEP_1)
	v_fmac_f64_e32 v[20:21], v[20:21], v[22:23]
	v_mul_f64_e32 v[22:23], v[24:25], v[20:21]
	s_delay_alu instid0(VALU_DEP_1) | instskip(NEXT) | instid1(VALU_DEP_1)
	v_fma_f64 v[18:19], -v[18:19], v[22:23], v[24:25]
	v_div_fmas_f64 v[18:19], v[18:19], v[20:21], v[22:23]
	v_fma_f64 v[20:21], v[4:5], v[12:13], v[6:7]
	s_delay_alu instid0(VALU_DEP_2) | instskip(SKIP_1) | instid1(VALU_DEP_2)
	v_div_fixup_f64 v[14:15], v[18:19], v[14:15], 1.0
	v_fma_f64 v[18:19], v[6:7], v[12:13], -v[4:5]
	v_mul_f64_e32 v[12:13], v[20:21], v[14:15]
	s_delay_alu instid0(VALU_DEP_2)
	v_mul_f64_e32 v[14:15], v[18:19], v[14:15]
.LBB223_76:                             ;   in Loop: Header=BB223_72 Depth=2
	s_and_not1_b32 vcc_lo, exec_lo, s25
	s_cbranch_vccnz .LBB223_71
; %bb.77:                               ;   in Loop: Header=BB223_72 Depth=2
	v_div_scale_f64 v[12:13], null, v[8:9], v[8:9], v[10:11]
	v_div_scale_f64 v[20:21], vcc_lo, v[10:11], v[8:9], v[10:11]
	s_delay_alu instid0(VALU_DEP_2) | instskip(SKIP_1) | instid1(TRANS32_DEP_1)
	v_rcp_f64_e32 v[14:15], v[12:13]
	v_nop
	v_fma_f64 v[18:19], -v[12:13], v[14:15], 1.0
	s_delay_alu instid0(VALU_DEP_1) | instskip(NEXT) | instid1(VALU_DEP_1)
	v_fmac_f64_e32 v[14:15], v[14:15], v[18:19]
	v_fma_f64 v[18:19], -v[12:13], v[14:15], 1.0
	s_delay_alu instid0(VALU_DEP_1) | instskip(NEXT) | instid1(VALU_DEP_1)
	v_fmac_f64_e32 v[14:15], v[14:15], v[18:19]
	v_mul_f64_e32 v[18:19], v[20:21], v[14:15]
	s_delay_alu instid0(VALU_DEP_1) | instskip(NEXT) | instid1(VALU_DEP_1)
	v_fma_f64 v[12:13], -v[12:13], v[18:19], v[20:21]
	v_div_fmas_f64 v[12:13], v[12:13], v[14:15], v[18:19]
	s_delay_alu instid0(VALU_DEP_1) | instskip(NEXT) | instid1(VALU_DEP_1)
	v_div_fixup_f64 v[12:13], v[12:13], v[8:9], v[10:11]
	v_fmac_f64_e32 v[8:9], v[10:11], v[12:13]
	s_delay_alu instid0(VALU_DEP_1) | instskip(SKIP_1) | instid1(VALU_DEP_2)
	v_div_scale_f64 v[10:11], null, v[8:9], v[8:9], 1.0
	v_div_scale_f64 v[20:21], vcc_lo, 1.0, v[8:9], 1.0
	v_rcp_f64_e32 v[14:15], v[10:11]
	v_nop
	s_delay_alu instid0(TRANS32_DEP_1) | instskip(NEXT) | instid1(VALU_DEP_1)
	v_fma_f64 v[18:19], -v[10:11], v[14:15], 1.0
	v_fmac_f64_e32 v[14:15], v[14:15], v[18:19]
	s_delay_alu instid0(VALU_DEP_1) | instskip(NEXT) | instid1(VALU_DEP_1)
	v_fma_f64 v[18:19], -v[10:11], v[14:15], 1.0
	v_fmac_f64_e32 v[14:15], v[14:15], v[18:19]
	s_delay_alu instid0(VALU_DEP_1) | instskip(NEXT) | instid1(VALU_DEP_1)
	v_mul_f64_e32 v[18:19], v[20:21], v[14:15]
	v_fma_f64 v[10:11], -v[10:11], v[18:19], v[20:21]
	s_delay_alu instid0(VALU_DEP_1) | instskip(SKIP_2) | instid1(VALU_DEP_3)
	v_div_fmas_f64 v[10:11], v[10:11], v[14:15], v[18:19]
	v_fma_f64 v[14:15], v[6:7], v[12:13], v[4:5]
	v_fma_f64 v[4:5], -v[4:5], v[12:13], v[6:7]
	v_div_fixup_f64 v[8:9], v[10:11], v[8:9], 1.0
	s_delay_alu instid0(VALU_DEP_1) | instskip(NEXT) | instid1(VALU_DEP_3)
	v_mul_f64_e32 v[12:13], v[14:15], v[8:9]
	v_mul_f64_e32 v[14:15], v[4:5], v[8:9]
	s_branch .LBB223_71
.LBB223_78:                             ;   in Loop: Header=BB223_3 Depth=1
	s_mov_b32 s24, 0
.LBB223_79:                             ;   in Loop: Header=BB223_3 Depth=1
	s_delay_alu instid0(SALU_CYCLE_1)
	s_and_not1_b32 vcc_lo, exec_lo, s24
	s_cbranch_vccnz .LBB223_110
; %bb.80:                               ;   in Loop: Header=BB223_3 Depth=1
	s_mov_b32 s26, s30
	s_and_not1_b32 vcc_lo, exec_lo, s34
	s_mov_b32 s24, s20
	s_mov_b32 s25, s30
	s_cbranch_vccnz .LBB223_101
.LBB223_81:                             ;   Parent Loop BB223_3 Depth=1
                                        ; =>  This Loop Header: Depth=2
                                        ;       Child Loop BB223_82 Depth 3
	s_mul_i32 s26, s25, 20
	s_cmp_le_i32 s30, s25
	v_lshl_add_u32 v40, s26, 4, v34
	s_mov_b32 s27, s24
	s_mov_b32 s36, s30
	s_delay_alu instid0(VALU_DEP_1)
	v_dual_mov_b32 v12, v35 :: v_dual_add_nc_u32 v39, 0xfffffec0, v40
	v_add_nc_u32_e32 v38, 0xfffffd80, v40
	v_add_nc_u32_e32 v37, 0xfffffc40, v40
	ds_load_b128 v[20:23], v40
	ds_load_b128 v[16:19], v39
	;; [unrolled: 1-line block ×4, first 2 shown]
	s_cbranch_scc1 .LBB223_83
.LBB223_82:                             ;   Parent Loop BB223_3 Depth=1
                                        ;     Parent Loop BB223_81 Depth=2
                                        ; =>    This Inner Loop Header: Depth=3
	v_mov_b32_e32 v13, s27
	s_add_co_i32 s36, s36, -1
	s_add_co_i32 s27, s27, -16
	s_cmp_le_i32 s36, s25
	ds_load_b128 v[24:27], v12
	ds_load_b128 v[42:45], v13 offset:960
	ds_load_b128 v[46:49], v13 offset:640
	;; [unrolled: 1-line block ×3, first 2 shown]
	ds_load_b128 v[54:57], v13
	v_add_nc_u32_e32 v12, 0xfffffec0, v12
	s_wait_dscnt 0x3
	v_mul_f64_e32 v[14:15], v[26:27], v[44:45]
	v_mul_f64_e32 v[44:45], v[24:25], v[44:45]
	s_wait_dscnt 0x2
	v_mul_f64_e32 v[58:59], v[26:27], v[48:49]
	v_mul_f64_e32 v[48:49], v[24:25], v[48:49]
	;; [unrolled: 3-line block ×4, first 2 shown]
	v_fma_f64 v[14:15], v[24:25], v[42:43], -v[14:15]
	v_fmac_f64_e32 v[44:45], v[26:27], v[42:43]
	v_fma_f64 v[42:43], v[24:25], v[46:47], -v[58:59]
	v_fmac_f64_e32 v[48:49], v[26:27], v[46:47]
	;; [unrolled: 2-line block ×4, first 2 shown]
	v_add_f64_e64 v[20:21], v[20:21], -v[14:15]
	v_add_f64_e64 v[22:23], v[22:23], -v[44:45]
	;; [unrolled: 1-line block ×8, first 2 shown]
	s_cbranch_scc0 .LBB223_82
.LBB223_83:                             ;   in Loop: Header=BB223_81 Depth=2
	s_mul_i32 s27, s25, 0x150
	s_delay_alu instid0(SALU_CYCLE_1)
	v_mov_b32_e32 v12, s27
	ds_load_b128 v[24:27], v12
                                        ; implicit-def: $vgpr14_vgpr15
	s_wait_dscnt 0x0
	v_cmp_ngt_f64_e64 s27, |v[24:25]|, |v[26:27]|
	s_and_b32 vcc_lo, exec_lo, s27
	s_mov_b32 s27, -1
	s_cbranch_vccz .LBB223_85
; %bb.84:                               ;   in Loop: Header=BB223_81 Depth=2
	v_div_scale_f64 v[12:13], null, v[26:27], v[26:27], v[24:25]
	v_div_scale_f64 v[44:45], vcc_lo, v[24:25], v[26:27], v[24:25]
	s_mov_b32 s27, 0
	v_rcp_f64_e32 v[14:15], v[12:13]
	v_nop
	s_delay_alu instid0(TRANS32_DEP_1) | instskip(NEXT) | instid1(VALU_DEP_1)
	v_fma_f64 v[42:43], -v[12:13], v[14:15], 1.0
	v_fmac_f64_e32 v[14:15], v[14:15], v[42:43]
	s_delay_alu instid0(VALU_DEP_1) | instskip(NEXT) | instid1(VALU_DEP_1)
	v_fma_f64 v[42:43], -v[12:13], v[14:15], 1.0
	v_fmac_f64_e32 v[14:15], v[14:15], v[42:43]
	s_delay_alu instid0(VALU_DEP_1) | instskip(NEXT) | instid1(VALU_DEP_1)
	v_mul_f64_e32 v[42:43], v[44:45], v[14:15]
	v_fma_f64 v[12:13], -v[12:13], v[42:43], v[44:45]
	s_delay_alu instid0(VALU_DEP_1) | instskip(NEXT) | instid1(VALU_DEP_1)
	v_div_fmas_f64 v[12:13], v[12:13], v[14:15], v[42:43]
	v_div_fixup_f64 v[12:13], v[12:13], v[26:27], v[24:25]
	s_delay_alu instid0(VALU_DEP_1) | instskip(NEXT) | instid1(VALU_DEP_1)
	v_fma_f64 v[14:15], v[24:25], v[12:13], v[26:27]
	v_div_scale_f64 v[42:43], null, v[14:15], v[14:15], 1.0
	v_div_scale_f64 v[48:49], vcc_lo, 1.0, v[14:15], 1.0
	s_delay_alu instid0(VALU_DEP_2) | instskip(SKIP_1) | instid1(TRANS32_DEP_1)
	v_rcp_f64_e32 v[44:45], v[42:43]
	v_nop
	v_fma_f64 v[46:47], -v[42:43], v[44:45], 1.0
	s_delay_alu instid0(VALU_DEP_1) | instskip(NEXT) | instid1(VALU_DEP_1)
	v_fmac_f64_e32 v[44:45], v[44:45], v[46:47]
	v_fma_f64 v[46:47], -v[42:43], v[44:45], 1.0
	s_delay_alu instid0(VALU_DEP_1) | instskip(NEXT) | instid1(VALU_DEP_1)
	v_fmac_f64_e32 v[44:45], v[44:45], v[46:47]
	v_mul_f64_e32 v[46:47], v[48:49], v[44:45]
	s_delay_alu instid0(VALU_DEP_1) | instskip(NEXT) | instid1(VALU_DEP_1)
	v_fma_f64 v[42:43], -v[42:43], v[46:47], v[48:49]
	v_div_fmas_f64 v[42:43], v[42:43], v[44:45], v[46:47]
	v_fma_f64 v[44:45], v[20:21], v[12:13], v[22:23]
	s_delay_alu instid0(VALU_DEP_2) | instskip(SKIP_1) | instid1(VALU_DEP_2)
	v_div_fixup_f64 v[14:15], v[42:43], v[14:15], 1.0
	v_fma_f64 v[42:43], v[22:23], v[12:13], -v[20:21]
	v_mul_f64_e32 v[12:13], v[44:45], v[14:15]
	s_delay_alu instid0(VALU_DEP_2)
	v_mul_f64_e32 v[14:15], v[42:43], v[14:15]
.LBB223_85:                             ;   in Loop: Header=BB223_81 Depth=2
	s_and_not1_b32 vcc_lo, exec_lo, s27
	s_cbranch_vccnz .LBB223_87
; %bb.86:                               ;   in Loop: Header=BB223_81 Depth=2
	v_div_scale_f64 v[12:13], null, v[24:25], v[24:25], v[26:27]
	v_div_scale_f64 v[44:45], vcc_lo, v[26:27], v[24:25], v[26:27]
	s_delay_alu instid0(VALU_DEP_2) | instskip(SKIP_1) | instid1(TRANS32_DEP_1)
	v_rcp_f64_e32 v[14:15], v[12:13]
	v_nop
	v_fma_f64 v[42:43], -v[12:13], v[14:15], 1.0
	s_delay_alu instid0(VALU_DEP_1) | instskip(NEXT) | instid1(VALU_DEP_1)
	v_fmac_f64_e32 v[14:15], v[14:15], v[42:43]
	v_fma_f64 v[42:43], -v[12:13], v[14:15], 1.0
	s_delay_alu instid0(VALU_DEP_1) | instskip(NEXT) | instid1(VALU_DEP_1)
	v_fmac_f64_e32 v[14:15], v[14:15], v[42:43]
	v_mul_f64_e32 v[42:43], v[44:45], v[14:15]
	s_delay_alu instid0(VALU_DEP_1) | instskip(NEXT) | instid1(VALU_DEP_1)
	v_fma_f64 v[12:13], -v[12:13], v[42:43], v[44:45]
	v_div_fmas_f64 v[12:13], v[12:13], v[14:15], v[42:43]
	s_delay_alu instid0(VALU_DEP_1) | instskip(NEXT) | instid1(VALU_DEP_1)
	v_div_fixup_f64 v[12:13], v[12:13], v[24:25], v[26:27]
	v_fmac_f64_e32 v[24:25], v[26:27], v[12:13]
	s_delay_alu instid0(VALU_DEP_1) | instskip(SKIP_1) | instid1(VALU_DEP_2)
	v_div_scale_f64 v[14:15], null, v[24:25], v[24:25], 1.0
	v_div_scale_f64 v[44:45], vcc_lo, 1.0, v[24:25], 1.0
	v_rcp_f64_e32 v[26:27], v[14:15]
	v_nop
	s_delay_alu instid0(TRANS32_DEP_1) | instskip(NEXT) | instid1(VALU_DEP_1)
	v_fma_f64 v[42:43], -v[14:15], v[26:27], 1.0
	v_fmac_f64_e32 v[26:27], v[26:27], v[42:43]
	s_delay_alu instid0(VALU_DEP_1) | instskip(NEXT) | instid1(VALU_DEP_1)
	v_fma_f64 v[42:43], -v[14:15], v[26:27], 1.0
	v_fmac_f64_e32 v[26:27], v[26:27], v[42:43]
	s_delay_alu instid0(VALU_DEP_1) | instskip(NEXT) | instid1(VALU_DEP_1)
	v_mul_f64_e32 v[42:43], v[44:45], v[26:27]
	v_fma_f64 v[14:15], -v[14:15], v[42:43], v[44:45]
	s_delay_alu instid0(VALU_DEP_1) | instskip(SKIP_2) | instid1(VALU_DEP_3)
	v_div_fmas_f64 v[14:15], v[14:15], v[26:27], v[42:43]
	v_fma_f64 v[26:27], v[22:23], v[12:13], v[20:21]
	v_fma_f64 v[20:21], -v[20:21], v[12:13], v[22:23]
	v_div_fixup_f64 v[14:15], v[14:15], v[24:25], 1.0
	s_delay_alu instid0(VALU_DEP_1) | instskip(NEXT) | instid1(VALU_DEP_3)
	v_mul_f64_e32 v[12:13], v[26:27], v[14:15]
	v_mul_f64_e32 v[14:15], v[20:21], v[14:15]
.LBB223_87:                             ;   in Loop: Header=BB223_81 Depth=2
	s_lshl_b32 s27, s26, 4
	s_lshl_b32 s26, s25, 4
	s_addk_co_i32 s27, 0xfec0
	ds_store_b128 v40, v[12:15]
	s_add_co_i32 s36, s27, s26
	s_delay_alu instid0(SALU_CYCLE_1)
	v_mov_b32_e32 v20, s36
	s_add_co_i32 s36, s36, -16
	ds_load_b128 v[24:27], v20
	s_wait_dscnt 0x0
	v_dual_mul_f64 v[42:43], v[14:15], v[26:27] :: v_dual_mov_b32 v20, s36
	v_mul_f64_e32 v[26:27], v[12:13], v[26:27]
	ds_load_b128 v[20:23], v20
	s_wait_dscnt 0x0
	v_cmp_ngt_f64_e64 s36, |v[20:21]|, |v[22:23]|
	v_fma_f64 v[42:43], v[12:13], v[24:25], -v[42:43]
	v_fmac_f64_e32 v[26:27], v[14:15], v[24:25]
	s_and_b32 vcc_lo, exec_lo, s36
	s_mov_b32 s36, -1
	s_delay_alu instid0(VALU_DEP_2) | instskip(NEXT) | instid1(VALU_DEP_2)
	v_add_f64_e64 v[24:25], v[16:17], -v[42:43]
	v_add_f64_e64 v[26:27], v[18:19], -v[26:27]
                                        ; implicit-def: $vgpr18_vgpr19
	s_cbranch_vccz .LBB223_89
; %bb.88:                               ;   in Loop: Header=BB223_81 Depth=2
	v_div_scale_f64 v[16:17], null, v[22:23], v[22:23], v[20:21]
	v_div_scale_f64 v[42:43], vcc_lo, v[20:21], v[22:23], v[20:21]
	s_mov_b32 s36, 0
	v_rcp_f64_e32 v[18:19], v[16:17]
	v_nop
	s_delay_alu instid0(TRANS32_DEP_1) | instskip(NEXT) | instid1(VALU_DEP_1)
	v_fma_f64 v[40:41], -v[16:17], v[18:19], 1.0
	v_fmac_f64_e32 v[18:19], v[18:19], v[40:41]
	s_delay_alu instid0(VALU_DEP_1) | instskip(NEXT) | instid1(VALU_DEP_1)
	v_fma_f64 v[40:41], -v[16:17], v[18:19], 1.0
	v_fmac_f64_e32 v[18:19], v[18:19], v[40:41]
	s_delay_alu instid0(VALU_DEP_1) | instskip(NEXT) | instid1(VALU_DEP_1)
	v_mul_f64_e32 v[40:41], v[42:43], v[18:19]
	v_fma_f64 v[16:17], -v[16:17], v[40:41], v[42:43]
	s_delay_alu instid0(VALU_DEP_1) | instskip(NEXT) | instid1(VALU_DEP_1)
	v_div_fmas_f64 v[16:17], v[16:17], v[18:19], v[40:41]
	v_div_fixup_f64 v[16:17], v[16:17], v[22:23], v[20:21]
	s_delay_alu instid0(VALU_DEP_1) | instskip(NEXT) | instid1(VALU_DEP_1)
	v_fma_f64 v[18:19], v[20:21], v[16:17], v[22:23]
	v_div_scale_f64 v[40:41], null, v[18:19], v[18:19], 1.0
	v_div_scale_f64 v[46:47], vcc_lo, 1.0, v[18:19], 1.0
	s_delay_alu instid0(VALU_DEP_2) | instskip(SKIP_1) | instid1(TRANS32_DEP_1)
	v_rcp_f64_e32 v[42:43], v[40:41]
	v_nop
	v_fma_f64 v[44:45], -v[40:41], v[42:43], 1.0
	s_delay_alu instid0(VALU_DEP_1) | instskip(NEXT) | instid1(VALU_DEP_1)
	v_fmac_f64_e32 v[42:43], v[42:43], v[44:45]
	v_fma_f64 v[44:45], -v[40:41], v[42:43], 1.0
	s_delay_alu instid0(VALU_DEP_1) | instskip(NEXT) | instid1(VALU_DEP_1)
	v_fmac_f64_e32 v[42:43], v[42:43], v[44:45]
	v_mul_f64_e32 v[44:45], v[46:47], v[42:43]
	s_delay_alu instid0(VALU_DEP_1) | instskip(NEXT) | instid1(VALU_DEP_1)
	v_fma_f64 v[40:41], -v[40:41], v[44:45], v[46:47]
	v_div_fmas_f64 v[40:41], v[40:41], v[42:43], v[44:45]
	v_fma_f64 v[42:43], v[16:17], v[24:25], v[26:27]
	s_delay_alu instid0(VALU_DEP_2) | instskip(SKIP_1) | instid1(VALU_DEP_2)
	v_div_fixup_f64 v[18:19], v[40:41], v[18:19], 1.0
	v_fma_f64 v[40:41], v[16:17], v[26:27], -v[24:25]
	v_mul_f64_e32 v[16:17], v[42:43], v[18:19]
	s_delay_alu instid0(VALU_DEP_2)
	v_mul_f64_e32 v[18:19], v[40:41], v[18:19]
.LBB223_89:                             ;   in Loop: Header=BB223_81 Depth=2
	s_and_not1_b32 vcc_lo, exec_lo, s36
	s_cbranch_vccnz .LBB223_91
; %bb.90:                               ;   in Loop: Header=BB223_81 Depth=2
	v_div_scale_f64 v[16:17], null, v[20:21], v[20:21], v[22:23]
	v_div_scale_f64 v[42:43], vcc_lo, v[22:23], v[20:21], v[22:23]
	s_delay_alu instid0(VALU_DEP_2) | instskip(SKIP_1) | instid1(TRANS32_DEP_1)
	v_rcp_f64_e32 v[18:19], v[16:17]
	v_nop
	v_fma_f64 v[40:41], -v[16:17], v[18:19], 1.0
	s_delay_alu instid0(VALU_DEP_1) | instskip(NEXT) | instid1(VALU_DEP_1)
	v_fmac_f64_e32 v[18:19], v[18:19], v[40:41]
	v_fma_f64 v[40:41], -v[16:17], v[18:19], 1.0
	s_delay_alu instid0(VALU_DEP_1) | instskip(NEXT) | instid1(VALU_DEP_1)
	v_fmac_f64_e32 v[18:19], v[18:19], v[40:41]
	v_mul_f64_e32 v[40:41], v[42:43], v[18:19]
	s_delay_alu instid0(VALU_DEP_1) | instskip(NEXT) | instid1(VALU_DEP_1)
	v_fma_f64 v[16:17], -v[16:17], v[40:41], v[42:43]
	v_div_fmas_f64 v[16:17], v[16:17], v[18:19], v[40:41]
	s_delay_alu instid0(VALU_DEP_1) | instskip(NEXT) | instid1(VALU_DEP_1)
	v_div_fixup_f64 v[16:17], v[16:17], v[20:21], v[22:23]
	v_fmac_f64_e32 v[20:21], v[22:23], v[16:17]
	s_delay_alu instid0(VALU_DEP_1) | instskip(SKIP_1) | instid1(VALU_DEP_2)
	v_div_scale_f64 v[18:19], null, v[20:21], v[20:21], 1.0
	v_div_scale_f64 v[42:43], vcc_lo, 1.0, v[20:21], 1.0
	v_rcp_f64_e32 v[22:23], v[18:19]
	v_nop
	s_delay_alu instid0(TRANS32_DEP_1) | instskip(NEXT) | instid1(VALU_DEP_1)
	v_fma_f64 v[40:41], -v[18:19], v[22:23], 1.0
	v_fmac_f64_e32 v[22:23], v[22:23], v[40:41]
	s_delay_alu instid0(VALU_DEP_1) | instskip(NEXT) | instid1(VALU_DEP_1)
	v_fma_f64 v[40:41], -v[18:19], v[22:23], 1.0
	v_fmac_f64_e32 v[22:23], v[22:23], v[40:41]
	s_delay_alu instid0(VALU_DEP_1) | instskip(NEXT) | instid1(VALU_DEP_1)
	v_mul_f64_e32 v[40:41], v[42:43], v[22:23]
	v_fma_f64 v[18:19], -v[18:19], v[40:41], v[42:43]
	s_delay_alu instid0(VALU_DEP_1) | instskip(SKIP_1) | instid1(VALU_DEP_2)
	v_div_fmas_f64 v[18:19], v[18:19], v[22:23], v[40:41]
	v_fma_f64 v[22:23], v[16:17], v[26:27], v[24:25]
	v_div_fixup_f64 v[18:19], v[18:19], v[20:21], 1.0
	v_fma_f64 v[20:21], -v[16:17], v[24:25], v[26:27]
	s_delay_alu instid0(VALU_DEP_2) | instskip(NEXT) | instid1(VALU_DEP_2)
	v_mul_f64_e32 v[16:17], v[22:23], v[18:19]
	v_mul_f64_e32 v[18:19], v[20:21], v[18:19]
.LBB223_91:                             ;   in Loop: Header=BB223_81 Depth=2
	s_addk_co_i32 s27, 0xfec0
	ds_store_b128 v39, v[16:19]
	s_add_co_i32 s26, s27, s26
	s_delay_alu instid0(SALU_CYCLE_1) | instskip(NEXT) | instid1(SALU_CYCLE_1)
	s_add_co_i32 s27, s26, -16
	v_dual_mov_b32 v20, s26 :: v_dual_mov_b32 v24, s27
	s_sub_co_i32 s27, s26, 32
	ds_load_b128 v[20:23], v20
	ds_load_b128 v[24:27], v24
	s_wait_dscnt 0x1
	v_mul_f64_e32 v[40:41], v[14:15], v[22:23]
	v_mul_f64_e32 v[22:23], v[12:13], v[22:23]
	s_wait_dscnt 0x0
	v_mul_f64_e32 v[42:43], v[18:19], v[26:27]
	v_mul_f64_e32 v[26:27], v[16:17], v[26:27]
	s_delay_alu instid0(VALU_DEP_4) | instskip(NEXT) | instid1(VALU_DEP_4)
	v_fma_f64 v[40:41], v[12:13], v[20:21], -v[40:41]
	v_fmac_f64_e32 v[22:23], v[14:15], v[20:21]
	s_delay_alu instid0(VALU_DEP_4) | instskip(NEXT) | instid1(VALU_DEP_4)
	v_fma_f64 v[20:21], v[16:17], v[24:25], -v[42:43]
	v_fmac_f64_e32 v[26:27], v[18:19], v[24:25]
	s_delay_alu instid0(VALU_DEP_4) | instskip(NEXT) | instid1(VALU_DEP_4)
	v_add_f64_e64 v[24:25], v[8:9], -v[40:41]
	v_dual_add_f64 v[22:23], v[10:11], -v[22:23] :: v_dual_mov_b32 v8, s27
	ds_load_b128 v[8:11], v8
	s_wait_dscnt 0x0
	v_cmp_ngt_f64_e64 s27, |v[8:9]|, |v[10:11]|
	v_add_f64_e64 v[24:25], v[24:25], -v[20:21]
	v_add_f64_e64 v[26:27], v[22:23], -v[26:27]
                                        ; implicit-def: $vgpr22_vgpr23
	s_and_b32 vcc_lo, exec_lo, s27
	s_mov_b32 s27, -1
	s_cbranch_vccz .LBB223_93
; %bb.92:                               ;   in Loop: Header=BB223_81 Depth=2
	v_div_scale_f64 v[20:21], null, v[10:11], v[10:11], v[8:9]
	v_div_scale_f64 v[42:43], vcc_lo, v[8:9], v[10:11], v[8:9]
	s_mov_b32 s27, 0
	v_rcp_f64_e32 v[22:23], v[20:21]
	v_nop
	s_delay_alu instid0(TRANS32_DEP_1) | instskip(NEXT) | instid1(VALU_DEP_1)
	v_fma_f64 v[40:41], -v[20:21], v[22:23], 1.0
	v_fmac_f64_e32 v[22:23], v[22:23], v[40:41]
	s_delay_alu instid0(VALU_DEP_1) | instskip(NEXT) | instid1(VALU_DEP_1)
	v_fma_f64 v[40:41], -v[20:21], v[22:23], 1.0
	v_fmac_f64_e32 v[22:23], v[22:23], v[40:41]
	s_delay_alu instid0(VALU_DEP_1) | instskip(NEXT) | instid1(VALU_DEP_1)
	v_mul_f64_e32 v[40:41], v[42:43], v[22:23]
	v_fma_f64 v[20:21], -v[20:21], v[40:41], v[42:43]
	s_delay_alu instid0(VALU_DEP_1) | instskip(NEXT) | instid1(VALU_DEP_1)
	v_div_fmas_f64 v[20:21], v[20:21], v[22:23], v[40:41]
	v_div_fixup_f64 v[20:21], v[20:21], v[10:11], v[8:9]
	s_delay_alu instid0(VALU_DEP_1) | instskip(NEXT) | instid1(VALU_DEP_1)
	v_fma_f64 v[22:23], v[8:9], v[20:21], v[10:11]
	v_div_scale_f64 v[40:41], null, v[22:23], v[22:23], 1.0
	v_div_scale_f64 v[46:47], vcc_lo, 1.0, v[22:23], 1.0
	s_delay_alu instid0(VALU_DEP_2) | instskip(SKIP_1) | instid1(TRANS32_DEP_1)
	v_rcp_f64_e32 v[42:43], v[40:41]
	v_nop
	v_fma_f64 v[44:45], -v[40:41], v[42:43], 1.0
	s_delay_alu instid0(VALU_DEP_1) | instskip(NEXT) | instid1(VALU_DEP_1)
	v_fmac_f64_e32 v[42:43], v[42:43], v[44:45]
	v_fma_f64 v[44:45], -v[40:41], v[42:43], 1.0
	s_delay_alu instid0(VALU_DEP_1) | instskip(NEXT) | instid1(VALU_DEP_1)
	v_fmac_f64_e32 v[42:43], v[42:43], v[44:45]
	v_mul_f64_e32 v[44:45], v[46:47], v[42:43]
	s_delay_alu instid0(VALU_DEP_1) | instskip(NEXT) | instid1(VALU_DEP_1)
	v_fma_f64 v[40:41], -v[40:41], v[44:45], v[46:47]
	v_div_fmas_f64 v[40:41], v[40:41], v[42:43], v[44:45]
	v_fma_f64 v[42:43], v[20:21], v[24:25], v[26:27]
	s_delay_alu instid0(VALU_DEP_2) | instskip(SKIP_1) | instid1(VALU_DEP_2)
	v_div_fixup_f64 v[22:23], v[40:41], v[22:23], 1.0
	v_fma_f64 v[40:41], v[20:21], v[26:27], -v[24:25]
	v_mul_f64_e32 v[20:21], v[42:43], v[22:23]
	s_delay_alu instid0(VALU_DEP_2)
	v_mul_f64_e32 v[22:23], v[40:41], v[22:23]
.LBB223_93:                             ;   in Loop: Header=BB223_81 Depth=2
	s_and_not1_b32 vcc_lo, exec_lo, s27
	s_cbranch_vccnz .LBB223_95
; %bb.94:                               ;   in Loop: Header=BB223_81 Depth=2
	v_div_scale_f64 v[20:21], null, v[8:9], v[8:9], v[10:11]
	v_div_scale_f64 v[42:43], vcc_lo, v[10:11], v[8:9], v[10:11]
	s_delay_alu instid0(VALU_DEP_2) | instskip(SKIP_1) | instid1(TRANS32_DEP_1)
	v_rcp_f64_e32 v[22:23], v[20:21]
	v_nop
	v_fma_f64 v[40:41], -v[20:21], v[22:23], 1.0
	s_delay_alu instid0(VALU_DEP_1) | instskip(NEXT) | instid1(VALU_DEP_1)
	v_fmac_f64_e32 v[22:23], v[22:23], v[40:41]
	v_fma_f64 v[40:41], -v[20:21], v[22:23], 1.0
	s_delay_alu instid0(VALU_DEP_1) | instskip(NEXT) | instid1(VALU_DEP_1)
	v_fmac_f64_e32 v[22:23], v[22:23], v[40:41]
	v_mul_f64_e32 v[40:41], v[42:43], v[22:23]
	s_delay_alu instid0(VALU_DEP_1) | instskip(NEXT) | instid1(VALU_DEP_1)
	v_fma_f64 v[20:21], -v[20:21], v[40:41], v[42:43]
	v_div_fmas_f64 v[20:21], v[20:21], v[22:23], v[40:41]
	s_delay_alu instid0(VALU_DEP_1) | instskip(NEXT) | instid1(VALU_DEP_1)
	v_div_fixup_f64 v[20:21], v[20:21], v[8:9], v[10:11]
	v_fmac_f64_e32 v[8:9], v[10:11], v[20:21]
	s_delay_alu instid0(VALU_DEP_1) | instskip(SKIP_1) | instid1(VALU_DEP_2)
	v_div_scale_f64 v[10:11], null, v[8:9], v[8:9], 1.0
	v_div_scale_f64 v[42:43], vcc_lo, 1.0, v[8:9], 1.0
	v_rcp_f64_e32 v[22:23], v[10:11]
	v_nop
	s_delay_alu instid0(TRANS32_DEP_1) | instskip(NEXT) | instid1(VALU_DEP_1)
	v_fma_f64 v[40:41], -v[10:11], v[22:23], 1.0
	v_fmac_f64_e32 v[22:23], v[22:23], v[40:41]
	s_delay_alu instid0(VALU_DEP_1) | instskip(NEXT) | instid1(VALU_DEP_1)
	v_fma_f64 v[40:41], -v[10:11], v[22:23], 1.0
	v_fmac_f64_e32 v[22:23], v[22:23], v[40:41]
	s_delay_alu instid0(VALU_DEP_1) | instskip(NEXT) | instid1(VALU_DEP_1)
	v_mul_f64_e32 v[40:41], v[42:43], v[22:23]
	v_fma_f64 v[10:11], -v[10:11], v[40:41], v[42:43]
	s_delay_alu instid0(VALU_DEP_1) | instskip(SKIP_1) | instid1(VALU_DEP_2)
	v_div_fmas_f64 v[10:11], v[10:11], v[22:23], v[40:41]
	v_fma_f64 v[22:23], v[20:21], v[26:27], v[24:25]
	v_div_fixup_f64 v[8:9], v[10:11], v[8:9], 1.0
	v_fma_f64 v[10:11], -v[20:21], v[24:25], v[26:27]
	s_delay_alu instid0(VALU_DEP_2) | instskip(NEXT) | instid1(VALU_DEP_2)
	v_mul_f64_e32 v[20:21], v[22:23], v[8:9]
	v_mul_f64_e32 v[22:23], v[10:11], v[8:9]
.LBB223_95:                             ;   in Loop: Header=BB223_81 Depth=2
	s_add_co_i32 s27, s26, 0xfffffec0
	ds_store_b128 v38, v[20:23]
	v_mov_b32_e32 v8, s27
	s_add_co_i32 s27, s26, 0xfffffeb0
	s_delay_alu instid0(SALU_CYCLE_1)
	v_mov_b32_e32 v24, s27
	s_add_co_i32 s27, s26, 0xfffffea0
	ds_load_b128 v[8:11], v8
	s_addk_co_i32 s26, 0xfe90
	ds_load_b128 v[24:27], v24
	s_wait_dscnt 0x1
	v_mul_f64_e32 v[40:41], v[14:15], v[10:11]
	v_mul_f64_e32 v[42:43], v[12:13], v[10:11]
	s_wait_dscnt 0x0
	v_mul_f64_e32 v[44:45], v[18:19], v[26:27]
	v_mul_f64_e32 v[26:27], v[16:17], v[26:27]
	s_delay_alu instid0(VALU_DEP_4) | instskip(NEXT) | instid1(VALU_DEP_4)
	v_fma_f64 v[40:41], v[12:13], v[8:9], -v[40:41]
	v_fmac_f64_e32 v[42:43], v[14:15], v[8:9]
	s_delay_alu instid0(VALU_DEP_4) | instskip(NEXT) | instid1(VALU_DEP_4)
	v_dual_fma_f64 v[16:17], v[16:17], v[24:25], -v[44:45] :: v_dual_mov_b32 v8, s27
	v_fmac_f64_e32 v[26:27], v[18:19], v[24:25]
	ds_load_b128 v[12:15], v8
	v_mov_b32_e32 v8, s26
	ds_load_b128 v[8:11], v8
	s_wait_dscnt 0x1
	v_mul_f64_e32 v[46:47], v[22:23], v[14:15]
	v_mul_f64_e32 v[14:15], v[20:21], v[14:15]
	v_add_f64_e64 v[4:5], v[4:5], -v[40:41]
	v_add_f64_e64 v[6:7], v[6:7], -v[42:43]
	s_wait_dscnt 0x0
	v_cmp_ngt_f64_e64 s26, |v[8:9]|, |v[10:11]|
	v_fma_f64 v[18:19], v[20:21], v[12:13], -v[46:47]
	v_fmac_f64_e32 v[14:15], v[22:23], v[12:13]
	v_add_f64_e64 v[4:5], v[4:5], -v[16:17]
	v_add_f64_e64 v[6:7], v[6:7], -v[26:27]
	s_and_b32 vcc_lo, exec_lo, s26
	s_mov_b32 s26, -1
	s_delay_alu instid0(VALU_DEP_2) | instskip(NEXT) | instid1(VALU_DEP_2)
	v_add_f64_e64 v[12:13], v[4:5], -v[18:19]
	v_add_f64_e64 v[14:15], v[6:7], -v[14:15]
                                        ; implicit-def: $vgpr6_vgpr7
	s_cbranch_vccz .LBB223_97
; %bb.96:                               ;   in Loop: Header=BB223_81 Depth=2
	v_div_scale_f64 v[4:5], null, v[10:11], v[10:11], v[8:9]
	v_div_scale_f64 v[18:19], vcc_lo, v[8:9], v[10:11], v[8:9]
	s_mov_b32 s26, 0
	v_rcp_f64_e32 v[6:7], v[4:5]
	v_nop
	s_delay_alu instid0(TRANS32_DEP_1) | instskip(NEXT) | instid1(VALU_DEP_1)
	v_fma_f64 v[16:17], -v[4:5], v[6:7], 1.0
	v_fmac_f64_e32 v[6:7], v[6:7], v[16:17]
	s_delay_alu instid0(VALU_DEP_1) | instskip(NEXT) | instid1(VALU_DEP_1)
	v_fma_f64 v[16:17], -v[4:5], v[6:7], 1.0
	v_fmac_f64_e32 v[6:7], v[6:7], v[16:17]
	s_delay_alu instid0(VALU_DEP_1) | instskip(NEXT) | instid1(VALU_DEP_1)
	v_mul_f64_e32 v[16:17], v[18:19], v[6:7]
	v_fma_f64 v[4:5], -v[4:5], v[16:17], v[18:19]
	s_delay_alu instid0(VALU_DEP_1) | instskip(NEXT) | instid1(VALU_DEP_1)
	v_div_fmas_f64 v[4:5], v[4:5], v[6:7], v[16:17]
	v_div_fixup_f64 v[4:5], v[4:5], v[10:11], v[8:9]
	s_delay_alu instid0(VALU_DEP_1) | instskip(NEXT) | instid1(VALU_DEP_1)
	v_fma_f64 v[6:7], v[8:9], v[4:5], v[10:11]
	v_div_scale_f64 v[16:17], null, v[6:7], v[6:7], 1.0
	v_div_scale_f64 v[22:23], vcc_lo, 1.0, v[6:7], 1.0
	s_delay_alu instid0(VALU_DEP_2) | instskip(SKIP_1) | instid1(TRANS32_DEP_1)
	v_rcp_f64_e32 v[18:19], v[16:17]
	v_nop
	v_fma_f64 v[20:21], -v[16:17], v[18:19], 1.0
	s_delay_alu instid0(VALU_DEP_1) | instskip(NEXT) | instid1(VALU_DEP_1)
	v_fmac_f64_e32 v[18:19], v[18:19], v[20:21]
	v_fma_f64 v[20:21], -v[16:17], v[18:19], 1.0
	s_delay_alu instid0(VALU_DEP_1) | instskip(NEXT) | instid1(VALU_DEP_1)
	v_fmac_f64_e32 v[18:19], v[18:19], v[20:21]
	v_mul_f64_e32 v[20:21], v[22:23], v[18:19]
	s_delay_alu instid0(VALU_DEP_1) | instskip(NEXT) | instid1(VALU_DEP_1)
	v_fma_f64 v[16:17], -v[16:17], v[20:21], v[22:23]
	v_div_fmas_f64 v[16:17], v[16:17], v[18:19], v[20:21]
	v_fma_f64 v[18:19], v[4:5], v[12:13], v[14:15]
	s_delay_alu instid0(VALU_DEP_2) | instskip(SKIP_1) | instid1(VALU_DEP_2)
	v_div_fixup_f64 v[6:7], v[16:17], v[6:7], 1.0
	v_fma_f64 v[16:17], v[4:5], v[14:15], -v[12:13]
	v_mul_f64_e32 v[4:5], v[18:19], v[6:7]
	s_delay_alu instid0(VALU_DEP_2)
	v_mul_f64_e32 v[6:7], v[16:17], v[6:7]
.LBB223_97:                             ;   in Loop: Header=BB223_81 Depth=2
	s_and_not1_b32 vcc_lo, exec_lo, s26
	s_cbranch_vccnz .LBB223_99
; %bb.98:                               ;   in Loop: Header=BB223_81 Depth=2
	v_div_scale_f64 v[4:5], null, v[8:9], v[8:9], v[10:11]
	v_div_scale_f64 v[18:19], vcc_lo, v[10:11], v[8:9], v[10:11]
	s_delay_alu instid0(VALU_DEP_2) | instskip(SKIP_1) | instid1(TRANS32_DEP_1)
	v_rcp_f64_e32 v[6:7], v[4:5]
	v_nop
	v_fma_f64 v[16:17], -v[4:5], v[6:7], 1.0
	s_delay_alu instid0(VALU_DEP_1) | instskip(NEXT) | instid1(VALU_DEP_1)
	v_fmac_f64_e32 v[6:7], v[6:7], v[16:17]
	v_fma_f64 v[16:17], -v[4:5], v[6:7], 1.0
	s_delay_alu instid0(VALU_DEP_1) | instskip(NEXT) | instid1(VALU_DEP_1)
	v_fmac_f64_e32 v[6:7], v[6:7], v[16:17]
	v_mul_f64_e32 v[16:17], v[18:19], v[6:7]
	s_delay_alu instid0(VALU_DEP_1) | instskip(NEXT) | instid1(VALU_DEP_1)
	v_fma_f64 v[4:5], -v[4:5], v[16:17], v[18:19]
	v_div_fmas_f64 v[4:5], v[4:5], v[6:7], v[16:17]
	s_delay_alu instid0(VALU_DEP_1) | instskip(NEXT) | instid1(VALU_DEP_1)
	v_div_fixup_f64 v[4:5], v[4:5], v[8:9], v[10:11]
	v_fmac_f64_e32 v[8:9], v[10:11], v[4:5]
	s_delay_alu instid0(VALU_DEP_1) | instskip(SKIP_1) | instid1(VALU_DEP_2)
	v_div_scale_f64 v[6:7], null, v[8:9], v[8:9], 1.0
	v_div_scale_f64 v[18:19], vcc_lo, 1.0, v[8:9], 1.0
	v_rcp_f64_e32 v[10:11], v[6:7]
	v_nop
	s_delay_alu instid0(TRANS32_DEP_1) | instskip(NEXT) | instid1(VALU_DEP_1)
	v_fma_f64 v[16:17], -v[6:7], v[10:11], 1.0
	v_fmac_f64_e32 v[10:11], v[10:11], v[16:17]
	s_delay_alu instid0(VALU_DEP_1) | instskip(NEXT) | instid1(VALU_DEP_1)
	v_fma_f64 v[16:17], -v[6:7], v[10:11], 1.0
	v_fmac_f64_e32 v[10:11], v[10:11], v[16:17]
	s_delay_alu instid0(VALU_DEP_1) | instskip(NEXT) | instid1(VALU_DEP_1)
	v_mul_f64_e32 v[16:17], v[18:19], v[10:11]
	v_fma_f64 v[6:7], -v[6:7], v[16:17], v[18:19]
	s_delay_alu instid0(VALU_DEP_1) | instskip(SKIP_1) | instid1(VALU_DEP_2)
	v_div_fmas_f64 v[6:7], v[6:7], v[10:11], v[16:17]
	v_fma_f64 v[10:11], v[4:5], v[14:15], v[12:13]
	v_div_fixup_f64 v[6:7], v[6:7], v[8:9], 1.0
	v_fma_f64 v[8:9], -v[4:5], v[12:13], v[14:15]
	s_delay_alu instid0(VALU_DEP_2) | instskip(NEXT) | instid1(VALU_DEP_2)
	v_mul_f64_e32 v[4:5], v[10:11], v[6:7]
	v_mul_f64_e32 v[6:7], v[8:9], v[6:7]
.LBB223_99:                             ;   in Loop: Header=BB223_81 Depth=2
	s_add_co_i32 s26, s25, -4
	s_addk_co_i32 s24, 0xfb00
	s_cmp_lt_i32 s25, 7
	ds_store_b128 v37, v[4:7]
	s_cbranch_scc1 .LBB223_101
; %bb.100:                              ;   in Loop: Header=BB223_81 Depth=2
	s_mov_b32 s25, s26
	s_branch .LBB223_81
.LBB223_101:                            ;   in Loop: Header=BB223_3 Depth=1
	s_cmp_lt_i32 s26, 0
	s_cbranch_scc1 .LBB223_110
; %bb.102:                              ;   in Loop: Header=BB223_3 Depth=1
	s_mul_i32 s24, s26, 0x140
	s_delay_alu instid0(SALU_CYCLE_1)
	s_add_co_i32 s24, s21, s24
	s_branch .LBB223_104
.LBB223_103:                            ;   in Loop: Header=BB223_104 Depth=2
	v_sub_co_u32 v4, s25, s26, 1
	s_and_b32 vcc_lo, exec_lo, s25
	s_addk_co_i32 s24, 0xfec0
	ds_store_b128 v16, v[12:15]
	v_readfirstlane_b32 s26, v4
	s_cbranch_vccnz .LBB223_110
.LBB223_104:                            ;   Parent Loop BB223_3 Depth=1
                                        ; =>  This Loop Header: Depth=2
                                        ;       Child Loop BB223_105 Depth 3
	v_mad_u32 v16, 0x140, s26, v34
	v_mov_b32_e32 v8, v35
	s_cmp_le_i32 s30, s26
	s_mov_b32 s25, s24
	s_mov_b32 s27, s30
	ds_load_b128 v[4:7], v16
	s_cbranch_scc1 .LBB223_106
.LBB223_105:                            ;   Parent Loop BB223_3 Depth=1
                                        ;     Parent Loop BB223_104 Depth=2
                                        ; =>    This Inner Loop Header: Depth=3
	v_mov_b32_e32 v9, s25
	s_add_co_i32 s27, s27, -1
	s_add_co_i32 s25, s25, -16
	s_cmp_le_u32 s27, s26
	ds_load_b128 v[10:13], v8
	ds_load_b128 v[18:21], v9
	v_add_nc_u32_e32 v8, 0xfffffec0, v8
	s_wait_dscnt 0x0
	v_mul_f64_e32 v[14:15], v[20:21], v[12:13]
	v_mul_f64_e32 v[12:13], v[18:19], v[12:13]
	s_delay_alu instid0(VALU_DEP_2) | instskip(NEXT) | instid1(VALU_DEP_2)
	v_fma_f64 v[14:15], v[18:19], v[10:11], -v[14:15]
	v_fmac_f64_e32 v[12:13], v[20:21], v[10:11]
	s_delay_alu instid0(VALU_DEP_2) | instskip(NEXT) | instid1(VALU_DEP_2)
	v_add_f64_e64 v[4:5], v[4:5], -v[14:15]
	v_add_f64_e64 v[6:7], v[6:7], -v[12:13]
	s_cbranch_scc0 .LBB223_105
.LBB223_106:                            ;   in Loop: Header=BB223_104 Depth=2
	s_mul_i32 s25, s26, 0x150
                                        ; implicit-def: $vgpr12_vgpr13
	s_delay_alu instid0(SALU_CYCLE_1)
	v_mov_b32_e32 v8, s25
	ds_load_b128 v[8:11], v8
	s_wait_dscnt 0x0
	v_cmp_ngt_f64_e64 s25, |v[8:9]|, |v[10:11]|
	s_and_b32 vcc_lo, exec_lo, s25
	s_mov_b32 s25, -1
	s_cbranch_vccz .LBB223_108
; %bb.107:                              ;   in Loop: Header=BB223_104 Depth=2
	v_div_scale_f64 v[12:13], null, v[10:11], v[10:11], v[8:9]
	v_div_scale_f64 v[20:21], vcc_lo, v[8:9], v[10:11], v[8:9]
	s_mov_b32 s25, 0
	v_rcp_f64_e32 v[14:15], v[12:13]
	v_nop
	s_delay_alu instid0(TRANS32_DEP_1) | instskip(NEXT) | instid1(VALU_DEP_1)
	v_fma_f64 v[18:19], -v[12:13], v[14:15], 1.0
	v_fmac_f64_e32 v[14:15], v[14:15], v[18:19]
	s_delay_alu instid0(VALU_DEP_1) | instskip(NEXT) | instid1(VALU_DEP_1)
	v_fma_f64 v[18:19], -v[12:13], v[14:15], 1.0
	v_fmac_f64_e32 v[14:15], v[14:15], v[18:19]
	s_delay_alu instid0(VALU_DEP_1) | instskip(NEXT) | instid1(VALU_DEP_1)
	v_mul_f64_e32 v[18:19], v[20:21], v[14:15]
	v_fma_f64 v[12:13], -v[12:13], v[18:19], v[20:21]
	s_delay_alu instid0(VALU_DEP_1) | instskip(NEXT) | instid1(VALU_DEP_1)
	v_div_fmas_f64 v[12:13], v[12:13], v[14:15], v[18:19]
	v_div_fixup_f64 v[12:13], v[12:13], v[10:11], v[8:9]
	s_delay_alu instid0(VALU_DEP_1) | instskip(NEXT) | instid1(VALU_DEP_1)
	v_fma_f64 v[14:15], v[8:9], v[12:13], v[10:11]
	v_div_scale_f64 v[18:19], null, v[14:15], v[14:15], 1.0
	v_div_scale_f64 v[24:25], vcc_lo, 1.0, v[14:15], 1.0
	s_delay_alu instid0(VALU_DEP_2) | instskip(SKIP_1) | instid1(TRANS32_DEP_1)
	v_rcp_f64_e32 v[20:21], v[18:19]
	v_nop
	v_fma_f64 v[22:23], -v[18:19], v[20:21], 1.0
	s_delay_alu instid0(VALU_DEP_1) | instskip(NEXT) | instid1(VALU_DEP_1)
	v_fmac_f64_e32 v[20:21], v[20:21], v[22:23]
	v_fma_f64 v[22:23], -v[18:19], v[20:21], 1.0
	s_delay_alu instid0(VALU_DEP_1) | instskip(NEXT) | instid1(VALU_DEP_1)
	v_fmac_f64_e32 v[20:21], v[20:21], v[22:23]
	v_mul_f64_e32 v[22:23], v[24:25], v[20:21]
	s_delay_alu instid0(VALU_DEP_1) | instskip(NEXT) | instid1(VALU_DEP_1)
	v_fma_f64 v[18:19], -v[18:19], v[22:23], v[24:25]
	v_div_fmas_f64 v[18:19], v[18:19], v[20:21], v[22:23]
	v_fma_f64 v[20:21], v[4:5], v[12:13], v[6:7]
	s_delay_alu instid0(VALU_DEP_2) | instskip(SKIP_1) | instid1(VALU_DEP_2)
	v_div_fixup_f64 v[14:15], v[18:19], v[14:15], 1.0
	v_fma_f64 v[18:19], v[6:7], v[12:13], -v[4:5]
	v_mul_f64_e32 v[12:13], v[20:21], v[14:15]
	s_delay_alu instid0(VALU_DEP_2)
	v_mul_f64_e32 v[14:15], v[18:19], v[14:15]
.LBB223_108:                            ;   in Loop: Header=BB223_104 Depth=2
	s_and_not1_b32 vcc_lo, exec_lo, s25
	s_cbranch_vccnz .LBB223_103
; %bb.109:                              ;   in Loop: Header=BB223_104 Depth=2
	v_div_scale_f64 v[12:13], null, v[8:9], v[8:9], v[10:11]
	v_div_scale_f64 v[20:21], vcc_lo, v[10:11], v[8:9], v[10:11]
	s_delay_alu instid0(VALU_DEP_2) | instskip(SKIP_1) | instid1(TRANS32_DEP_1)
	v_rcp_f64_e32 v[14:15], v[12:13]
	v_nop
	v_fma_f64 v[18:19], -v[12:13], v[14:15], 1.0
	s_delay_alu instid0(VALU_DEP_1) | instskip(NEXT) | instid1(VALU_DEP_1)
	v_fmac_f64_e32 v[14:15], v[14:15], v[18:19]
	v_fma_f64 v[18:19], -v[12:13], v[14:15], 1.0
	s_delay_alu instid0(VALU_DEP_1) | instskip(NEXT) | instid1(VALU_DEP_1)
	v_fmac_f64_e32 v[14:15], v[14:15], v[18:19]
	v_mul_f64_e32 v[18:19], v[20:21], v[14:15]
	s_delay_alu instid0(VALU_DEP_1) | instskip(NEXT) | instid1(VALU_DEP_1)
	v_fma_f64 v[12:13], -v[12:13], v[18:19], v[20:21]
	v_div_fmas_f64 v[12:13], v[12:13], v[14:15], v[18:19]
	s_delay_alu instid0(VALU_DEP_1) | instskip(NEXT) | instid1(VALU_DEP_1)
	v_div_fixup_f64 v[12:13], v[12:13], v[8:9], v[10:11]
	v_fmac_f64_e32 v[8:9], v[10:11], v[12:13]
	s_delay_alu instid0(VALU_DEP_1) | instskip(SKIP_1) | instid1(VALU_DEP_2)
	v_div_scale_f64 v[10:11], null, v[8:9], v[8:9], 1.0
	v_div_scale_f64 v[20:21], vcc_lo, 1.0, v[8:9], 1.0
	v_rcp_f64_e32 v[14:15], v[10:11]
	v_nop
	s_delay_alu instid0(TRANS32_DEP_1) | instskip(NEXT) | instid1(VALU_DEP_1)
	v_fma_f64 v[18:19], -v[10:11], v[14:15], 1.0
	v_fmac_f64_e32 v[14:15], v[14:15], v[18:19]
	s_delay_alu instid0(VALU_DEP_1) | instskip(NEXT) | instid1(VALU_DEP_1)
	v_fma_f64 v[18:19], -v[10:11], v[14:15], 1.0
	v_fmac_f64_e32 v[14:15], v[14:15], v[18:19]
	s_delay_alu instid0(VALU_DEP_1) | instskip(NEXT) | instid1(VALU_DEP_1)
	v_mul_f64_e32 v[18:19], v[20:21], v[14:15]
	v_fma_f64 v[10:11], -v[10:11], v[18:19], v[20:21]
	s_delay_alu instid0(VALU_DEP_1) | instskip(SKIP_2) | instid1(VALU_DEP_3)
	v_div_fmas_f64 v[10:11], v[10:11], v[14:15], v[18:19]
	v_fma_f64 v[14:15], v[6:7], v[12:13], v[4:5]
	v_fma_f64 v[4:5], -v[4:5], v[12:13], v[6:7]
	v_div_fixup_f64 v[8:9], v[10:11], v[8:9], 1.0
	s_delay_alu instid0(VALU_DEP_1) | instskip(NEXT) | instid1(VALU_DEP_3)
	v_mul_f64_e32 v[12:13], v[14:15], v[8:9]
	v_mul_f64_e32 v[14:15], v[4:5], v[8:9]
	s_branch .LBB223_103
.LBB223_110:                            ;   in Loop: Header=BB223_3 Depth=1
	s_mov_b32 s24, 0
.LBB223_111:                            ;   in Loop: Header=BB223_3 Depth=1
	s_delay_alu instid0(SALU_CYCLE_1)
	s_and_not1_b32 vcc_lo, exec_lo, s24
	s_cbranch_vccnz .LBB223_143
; %bb.112:                              ;   in Loop: Header=BB223_3 Depth=1
	s_and_not1_b32 vcc_lo, exec_lo, s34
	s_mov_b32 s26, 0
	s_cbranch_vccnz .LBB223_134
; %bb.113:                              ;   in Loop: Header=BB223_3 Depth=1
	s_mov_b32 s24, 0
	s_mov_b32 s25, 0
.LBB223_114:                            ;   Parent Loop BB223_3 Depth=1
                                        ; =>  This Loop Header: Depth=2
                                        ;       Child Loop BB223_115 Depth 3
	s_delay_alu instid0(SALU_CYCLE_1)
	s_mul_i32 s26, s25, 20
	v_mov_b32_e32 v12, v34
	v_lshl_add_u32 v37, s26, 4, v34
	s_cmp_eq_u32 s25, 0
	s_mov_b32 s27, s24
	s_mov_b32 s36, s25
	ds_load_b128 v[20:23], v37
	ds_load_b128 v[16:19], v37 offset:320
	ds_load_b128 v[8:11], v37 offset:640
	;; [unrolled: 1-line block ×3, first 2 shown]
	s_cbranch_scc1 .LBB223_116
.LBB223_115:                            ;   Parent Loop BB223_3 Depth=1
                                        ;     Parent Loop BB223_114 Depth=2
                                        ; =>    This Inner Loop Header: Depth=3
	v_mov_b32_e32 v13, s27
	s_add_co_i32 s36, s36, -1
	s_add_co_i32 s27, s27, 16
	s_cmp_eq_u32 s36, 0
	ds_load_b128 v[24:27], v12
	ds_load_b128 v[38:41], v13
	ds_load_b128 v[42:45], v13 offset:320
	ds_load_b128 v[46:49], v13 offset:640
	;; [unrolled: 1-line block ×3, first 2 shown]
	v_add_nc_u32_e32 v12, 0x140, v12
	s_wait_dscnt 0x3
	v_mul_f64_e32 v[14:15], v[26:27], v[40:41]
	v_mul_f64_e32 v[40:41], v[24:25], v[40:41]
	s_wait_dscnt 0x2
	v_mul_f64_e32 v[54:55], v[26:27], v[44:45]
	v_mul_f64_e32 v[44:45], v[24:25], v[44:45]
	;; [unrolled: 3-line block ×4, first 2 shown]
	v_fma_f64 v[14:15], v[24:25], v[38:39], -v[14:15]
	v_fmac_f64_e32 v[40:41], v[26:27], v[38:39]
	v_fma_f64 v[38:39], v[24:25], v[42:43], -v[54:55]
	v_fmac_f64_e32 v[44:45], v[26:27], v[42:43]
	;; [unrolled: 2-line block ×4, first 2 shown]
	v_add_f64_e64 v[20:21], v[20:21], -v[14:15]
	v_add_f64_e64 v[22:23], v[22:23], -v[40:41]
	;; [unrolled: 1-line block ×8, first 2 shown]
	s_cbranch_scc0 .LBB223_115
.LBB223_116:                            ;   in Loop: Header=BB223_114 Depth=2
	s_mul_i32 s27, s25, 0x150
	s_delay_alu instid0(SALU_CYCLE_1)
	v_mov_b32_e32 v12, s27
	ds_load_b128 v[24:27], v12
                                        ; implicit-def: $vgpr14_vgpr15
	s_wait_dscnt 0x0
	v_cmp_ngt_f64_e64 s27, |v[24:25]|, |v[26:27]|
	s_and_b32 vcc_lo, exec_lo, s27
	s_mov_b32 s27, -1
	s_cbranch_vccz .LBB223_118
; %bb.117:                              ;   in Loop: Header=BB223_114 Depth=2
	v_div_scale_f64 v[12:13], null, v[26:27], v[26:27], v[24:25]
	v_div_scale_f64 v[40:41], vcc_lo, v[24:25], v[26:27], v[24:25]
	s_mov_b32 s27, 0
	v_rcp_f64_e32 v[14:15], v[12:13]
	v_nop
	s_delay_alu instid0(TRANS32_DEP_1) | instskip(NEXT) | instid1(VALU_DEP_1)
	v_fma_f64 v[38:39], -v[12:13], v[14:15], 1.0
	v_fmac_f64_e32 v[14:15], v[14:15], v[38:39]
	s_delay_alu instid0(VALU_DEP_1) | instskip(NEXT) | instid1(VALU_DEP_1)
	v_fma_f64 v[38:39], -v[12:13], v[14:15], 1.0
	v_fmac_f64_e32 v[14:15], v[14:15], v[38:39]
	s_delay_alu instid0(VALU_DEP_1) | instskip(NEXT) | instid1(VALU_DEP_1)
	v_mul_f64_e32 v[38:39], v[40:41], v[14:15]
	v_fma_f64 v[12:13], -v[12:13], v[38:39], v[40:41]
	s_delay_alu instid0(VALU_DEP_1) | instskip(NEXT) | instid1(VALU_DEP_1)
	v_div_fmas_f64 v[12:13], v[12:13], v[14:15], v[38:39]
	v_div_fixup_f64 v[12:13], v[12:13], v[26:27], v[24:25]
	s_delay_alu instid0(VALU_DEP_1) | instskip(NEXT) | instid1(VALU_DEP_1)
	v_fma_f64 v[14:15], v[24:25], v[12:13], v[26:27]
	v_div_scale_f64 v[38:39], null, v[14:15], v[14:15], 1.0
	v_div_scale_f64 v[44:45], vcc_lo, 1.0, v[14:15], 1.0
	s_delay_alu instid0(VALU_DEP_2) | instskip(SKIP_1) | instid1(TRANS32_DEP_1)
	v_rcp_f64_e32 v[40:41], v[38:39]
	v_nop
	v_fma_f64 v[42:43], -v[38:39], v[40:41], 1.0
	s_delay_alu instid0(VALU_DEP_1) | instskip(NEXT) | instid1(VALU_DEP_1)
	v_fmac_f64_e32 v[40:41], v[40:41], v[42:43]
	v_fma_f64 v[42:43], -v[38:39], v[40:41], 1.0
	s_delay_alu instid0(VALU_DEP_1) | instskip(NEXT) | instid1(VALU_DEP_1)
	v_fmac_f64_e32 v[40:41], v[40:41], v[42:43]
	v_mul_f64_e32 v[42:43], v[44:45], v[40:41]
	s_delay_alu instid0(VALU_DEP_1) | instskip(NEXT) | instid1(VALU_DEP_1)
	v_fma_f64 v[38:39], -v[38:39], v[42:43], v[44:45]
	v_div_fmas_f64 v[38:39], v[38:39], v[40:41], v[42:43]
	v_fma_f64 v[40:41], v[20:21], v[12:13], v[22:23]
	s_delay_alu instid0(VALU_DEP_2) | instskip(SKIP_1) | instid1(VALU_DEP_2)
	v_div_fixup_f64 v[14:15], v[38:39], v[14:15], 1.0
	v_fma_f64 v[38:39], v[22:23], v[12:13], -v[20:21]
	v_mul_f64_e32 v[12:13], v[40:41], v[14:15]
	s_delay_alu instid0(VALU_DEP_2)
	v_mul_f64_e32 v[14:15], v[38:39], v[14:15]
.LBB223_118:                            ;   in Loop: Header=BB223_114 Depth=2
	s_and_not1_b32 vcc_lo, exec_lo, s27
	s_cbranch_vccnz .LBB223_120
; %bb.119:                              ;   in Loop: Header=BB223_114 Depth=2
	v_div_scale_f64 v[12:13], null, v[24:25], v[24:25], v[26:27]
	v_div_scale_f64 v[40:41], vcc_lo, v[26:27], v[24:25], v[26:27]
	s_delay_alu instid0(VALU_DEP_2) | instskip(SKIP_1) | instid1(TRANS32_DEP_1)
	v_rcp_f64_e32 v[14:15], v[12:13]
	v_nop
	v_fma_f64 v[38:39], -v[12:13], v[14:15], 1.0
	s_delay_alu instid0(VALU_DEP_1) | instskip(NEXT) | instid1(VALU_DEP_1)
	v_fmac_f64_e32 v[14:15], v[14:15], v[38:39]
	v_fma_f64 v[38:39], -v[12:13], v[14:15], 1.0
	s_delay_alu instid0(VALU_DEP_1) | instskip(NEXT) | instid1(VALU_DEP_1)
	v_fmac_f64_e32 v[14:15], v[14:15], v[38:39]
	v_mul_f64_e32 v[38:39], v[40:41], v[14:15]
	s_delay_alu instid0(VALU_DEP_1) | instskip(NEXT) | instid1(VALU_DEP_1)
	v_fma_f64 v[12:13], -v[12:13], v[38:39], v[40:41]
	v_div_fmas_f64 v[12:13], v[12:13], v[14:15], v[38:39]
	s_delay_alu instid0(VALU_DEP_1) | instskip(NEXT) | instid1(VALU_DEP_1)
	v_div_fixup_f64 v[12:13], v[12:13], v[24:25], v[26:27]
	v_fmac_f64_e32 v[24:25], v[26:27], v[12:13]
	s_delay_alu instid0(VALU_DEP_1) | instskip(SKIP_1) | instid1(VALU_DEP_2)
	v_div_scale_f64 v[14:15], null, v[24:25], v[24:25], 1.0
	v_div_scale_f64 v[40:41], vcc_lo, 1.0, v[24:25], 1.0
	v_rcp_f64_e32 v[26:27], v[14:15]
	v_nop
	s_delay_alu instid0(TRANS32_DEP_1) | instskip(NEXT) | instid1(VALU_DEP_1)
	v_fma_f64 v[38:39], -v[14:15], v[26:27], 1.0
	v_fmac_f64_e32 v[26:27], v[26:27], v[38:39]
	s_delay_alu instid0(VALU_DEP_1) | instskip(NEXT) | instid1(VALU_DEP_1)
	v_fma_f64 v[38:39], -v[14:15], v[26:27], 1.0
	v_fmac_f64_e32 v[26:27], v[26:27], v[38:39]
	s_delay_alu instid0(VALU_DEP_1) | instskip(NEXT) | instid1(VALU_DEP_1)
	v_mul_f64_e32 v[38:39], v[40:41], v[26:27]
	v_fma_f64 v[14:15], -v[14:15], v[38:39], v[40:41]
	s_delay_alu instid0(VALU_DEP_1) | instskip(SKIP_2) | instid1(VALU_DEP_3)
	v_div_fmas_f64 v[14:15], v[14:15], v[26:27], v[38:39]
	v_fma_f64 v[26:27], v[22:23], v[12:13], v[20:21]
	v_fma_f64 v[20:21], -v[20:21], v[12:13], v[22:23]
	v_div_fixup_f64 v[14:15], v[14:15], v[24:25], 1.0
	s_delay_alu instid0(VALU_DEP_1) | instskip(NEXT) | instid1(VALU_DEP_3)
	v_mul_f64_e32 v[12:13], v[26:27], v[14:15]
	v_mul_f64_e32 v[14:15], v[20:21], v[14:15]
.LBB223_120:                            ;   in Loop: Header=BB223_114 Depth=2
	s_lshl_b32 s27, s26, 4
	s_lshl_b32 s26, s25, 4
	s_addk_co_i32 s27, 0x140
	s_delay_alu instid0(SALU_CYCLE_1) | instskip(NEXT) | instid1(SALU_CYCLE_1)
	s_add_co_i32 s36, s27, s26
	v_mov_b32_e32 v20, s36
	ds_load_b128 v[24:27], v20
	ds_load_b128 v[20:23], v20 offset:16
	ds_store_b128 v37, v[12:15]
	s_wait_dscnt 0x2
	v_mul_f64_e32 v[38:39], v[14:15], v[26:27]
	v_mul_f64_e32 v[26:27], v[12:13], v[26:27]
	s_wait_dscnt 0x1
	v_cmp_ngt_f64_e64 s36, |v[20:21]|, |v[22:23]|
	s_delay_alu instid0(VALU_DEP_3) | instskip(NEXT) | instid1(VALU_DEP_3)
	v_fma_f64 v[38:39], v[12:13], v[24:25], -v[38:39]
	v_fmac_f64_e32 v[26:27], v[14:15], v[24:25]
	s_and_b32 vcc_lo, exec_lo, s36
	s_mov_b32 s36, -1
	s_delay_alu instid0(VALU_DEP_2) | instskip(NEXT) | instid1(VALU_DEP_2)
	v_add_f64_e64 v[24:25], v[16:17], -v[38:39]
	v_add_f64_e64 v[26:27], v[18:19], -v[26:27]
                                        ; implicit-def: $vgpr18_vgpr19
	s_cbranch_vccz .LBB223_122
; %bb.121:                              ;   in Loop: Header=BB223_114 Depth=2
	v_div_scale_f64 v[16:17], null, v[22:23], v[22:23], v[20:21]
	v_div_scale_f64 v[40:41], vcc_lo, v[20:21], v[22:23], v[20:21]
	s_mov_b32 s36, 0
	v_rcp_f64_e32 v[18:19], v[16:17]
	v_nop
	s_delay_alu instid0(TRANS32_DEP_1) | instskip(NEXT) | instid1(VALU_DEP_1)
	v_fma_f64 v[38:39], -v[16:17], v[18:19], 1.0
	v_fmac_f64_e32 v[18:19], v[18:19], v[38:39]
	s_delay_alu instid0(VALU_DEP_1) | instskip(NEXT) | instid1(VALU_DEP_1)
	v_fma_f64 v[38:39], -v[16:17], v[18:19], 1.0
	v_fmac_f64_e32 v[18:19], v[18:19], v[38:39]
	s_delay_alu instid0(VALU_DEP_1) | instskip(NEXT) | instid1(VALU_DEP_1)
	v_mul_f64_e32 v[38:39], v[40:41], v[18:19]
	v_fma_f64 v[16:17], -v[16:17], v[38:39], v[40:41]
	s_delay_alu instid0(VALU_DEP_1) | instskip(NEXT) | instid1(VALU_DEP_1)
	v_div_fmas_f64 v[16:17], v[16:17], v[18:19], v[38:39]
	v_div_fixup_f64 v[16:17], v[16:17], v[22:23], v[20:21]
	s_delay_alu instid0(VALU_DEP_1) | instskip(NEXT) | instid1(VALU_DEP_1)
	v_fma_f64 v[18:19], v[20:21], v[16:17], v[22:23]
	v_div_scale_f64 v[38:39], null, v[18:19], v[18:19], 1.0
	v_div_scale_f64 v[44:45], vcc_lo, 1.0, v[18:19], 1.0
	s_delay_alu instid0(VALU_DEP_2) | instskip(SKIP_1) | instid1(TRANS32_DEP_1)
	v_rcp_f64_e32 v[40:41], v[38:39]
	v_nop
	v_fma_f64 v[42:43], -v[38:39], v[40:41], 1.0
	s_delay_alu instid0(VALU_DEP_1) | instskip(NEXT) | instid1(VALU_DEP_1)
	v_fmac_f64_e32 v[40:41], v[40:41], v[42:43]
	v_fma_f64 v[42:43], -v[38:39], v[40:41], 1.0
	s_delay_alu instid0(VALU_DEP_1) | instskip(NEXT) | instid1(VALU_DEP_1)
	v_fmac_f64_e32 v[40:41], v[40:41], v[42:43]
	v_mul_f64_e32 v[42:43], v[44:45], v[40:41]
	s_delay_alu instid0(VALU_DEP_1) | instskip(NEXT) | instid1(VALU_DEP_1)
	v_fma_f64 v[38:39], -v[38:39], v[42:43], v[44:45]
	v_div_fmas_f64 v[38:39], v[38:39], v[40:41], v[42:43]
	v_fma_f64 v[40:41], v[16:17], v[24:25], v[26:27]
	s_delay_alu instid0(VALU_DEP_2) | instskip(SKIP_1) | instid1(VALU_DEP_2)
	v_div_fixup_f64 v[18:19], v[38:39], v[18:19], 1.0
	v_fma_f64 v[38:39], v[16:17], v[26:27], -v[24:25]
	v_mul_f64_e32 v[16:17], v[40:41], v[18:19]
	s_delay_alu instid0(VALU_DEP_2)
	v_mul_f64_e32 v[18:19], v[38:39], v[18:19]
.LBB223_122:                            ;   in Loop: Header=BB223_114 Depth=2
	s_and_not1_b32 vcc_lo, exec_lo, s36
	s_cbranch_vccnz .LBB223_124
; %bb.123:                              ;   in Loop: Header=BB223_114 Depth=2
	v_div_scale_f64 v[16:17], null, v[20:21], v[20:21], v[22:23]
	v_div_scale_f64 v[40:41], vcc_lo, v[22:23], v[20:21], v[22:23]
	s_delay_alu instid0(VALU_DEP_2) | instskip(SKIP_1) | instid1(TRANS32_DEP_1)
	v_rcp_f64_e32 v[18:19], v[16:17]
	v_nop
	v_fma_f64 v[38:39], -v[16:17], v[18:19], 1.0
	s_delay_alu instid0(VALU_DEP_1) | instskip(NEXT) | instid1(VALU_DEP_1)
	v_fmac_f64_e32 v[18:19], v[18:19], v[38:39]
	v_fma_f64 v[38:39], -v[16:17], v[18:19], 1.0
	s_delay_alu instid0(VALU_DEP_1) | instskip(NEXT) | instid1(VALU_DEP_1)
	v_fmac_f64_e32 v[18:19], v[18:19], v[38:39]
	v_mul_f64_e32 v[38:39], v[40:41], v[18:19]
	s_delay_alu instid0(VALU_DEP_1) | instskip(NEXT) | instid1(VALU_DEP_1)
	v_fma_f64 v[16:17], -v[16:17], v[38:39], v[40:41]
	v_div_fmas_f64 v[16:17], v[16:17], v[18:19], v[38:39]
	s_delay_alu instid0(VALU_DEP_1) | instskip(NEXT) | instid1(VALU_DEP_1)
	v_div_fixup_f64 v[16:17], v[16:17], v[20:21], v[22:23]
	v_fmac_f64_e32 v[20:21], v[22:23], v[16:17]
	s_delay_alu instid0(VALU_DEP_1) | instskip(SKIP_1) | instid1(VALU_DEP_2)
	v_div_scale_f64 v[18:19], null, v[20:21], v[20:21], 1.0
	v_div_scale_f64 v[40:41], vcc_lo, 1.0, v[20:21], 1.0
	v_rcp_f64_e32 v[22:23], v[18:19]
	v_nop
	s_delay_alu instid0(TRANS32_DEP_1) | instskip(NEXT) | instid1(VALU_DEP_1)
	v_fma_f64 v[38:39], -v[18:19], v[22:23], 1.0
	v_fmac_f64_e32 v[22:23], v[22:23], v[38:39]
	s_delay_alu instid0(VALU_DEP_1) | instskip(NEXT) | instid1(VALU_DEP_1)
	v_fma_f64 v[38:39], -v[18:19], v[22:23], 1.0
	v_fmac_f64_e32 v[22:23], v[22:23], v[38:39]
	s_delay_alu instid0(VALU_DEP_1) | instskip(NEXT) | instid1(VALU_DEP_1)
	v_mul_f64_e32 v[38:39], v[40:41], v[22:23]
	v_fma_f64 v[18:19], -v[18:19], v[38:39], v[40:41]
	s_delay_alu instid0(VALU_DEP_1) | instskip(SKIP_1) | instid1(VALU_DEP_2)
	v_div_fmas_f64 v[18:19], v[18:19], v[22:23], v[38:39]
	v_fma_f64 v[22:23], v[16:17], v[26:27], v[24:25]
	v_div_fixup_f64 v[18:19], v[18:19], v[20:21], 1.0
	v_fma_f64 v[20:21], -v[16:17], v[24:25], v[26:27]
	s_delay_alu instid0(VALU_DEP_2) | instskip(NEXT) | instid1(VALU_DEP_2)
	v_mul_f64_e32 v[16:17], v[22:23], v[18:19]
	v_mul_f64_e32 v[18:19], v[20:21], v[18:19]
.LBB223_124:                            ;   in Loop: Header=BB223_114 Depth=2
	s_addk_co_i32 s27, 0x140
	s_delay_alu instid0(SALU_CYCLE_1) | instskip(NEXT) | instid1(SALU_CYCLE_1)
	s_add_co_i32 s26, s27, s26
	v_mov_b32_e32 v42, s26
	ds_load_b128 v[20:23], v42
	ds_load_b128 v[24:27], v42 offset:16
	ds_store_b128 v37, v[16:19] offset:320
	s_wait_dscnt 0x2
	v_mul_f64_e32 v[38:39], v[14:15], v[22:23]
	v_mul_f64_e32 v[22:23], v[12:13], v[22:23]
	s_wait_dscnt 0x1
	v_mul_f64_e32 v[40:41], v[18:19], v[26:27]
	v_mul_f64_e32 v[26:27], v[16:17], v[26:27]
	s_delay_alu instid0(VALU_DEP_4) | instskip(NEXT) | instid1(VALU_DEP_4)
	v_fma_f64 v[38:39], v[12:13], v[20:21], -v[38:39]
	v_fmac_f64_e32 v[22:23], v[14:15], v[20:21]
	s_delay_alu instid0(VALU_DEP_4) | instskip(NEXT) | instid1(VALU_DEP_4)
	v_fma_f64 v[20:21], v[16:17], v[24:25], -v[40:41]
	v_fmac_f64_e32 v[26:27], v[18:19], v[24:25]
	s_delay_alu instid0(VALU_DEP_4) | instskip(NEXT) | instid1(VALU_DEP_4)
	v_add_f64_e64 v[24:25], v[8:9], -v[38:39]
	v_add_f64_e64 v[22:23], v[10:11], -v[22:23]
	ds_load_b128 v[8:11], v42 offset:32
	s_wait_dscnt 0x0
	v_cmp_ngt_f64_e64 s27, |v[8:9]|, |v[10:11]|
	v_add_f64_e64 v[24:25], v[24:25], -v[20:21]
	v_add_f64_e64 v[26:27], v[22:23], -v[26:27]
                                        ; implicit-def: $vgpr22_vgpr23
	s_and_b32 vcc_lo, exec_lo, s27
	s_mov_b32 s27, -1
	s_cbranch_vccz .LBB223_126
; %bb.125:                              ;   in Loop: Header=BB223_114 Depth=2
	v_div_scale_f64 v[20:21], null, v[10:11], v[10:11], v[8:9]
	v_div_scale_f64 v[40:41], vcc_lo, v[8:9], v[10:11], v[8:9]
	s_mov_b32 s27, 0
	v_rcp_f64_e32 v[22:23], v[20:21]
	v_nop
	s_delay_alu instid0(TRANS32_DEP_1) | instskip(NEXT) | instid1(VALU_DEP_1)
	v_fma_f64 v[38:39], -v[20:21], v[22:23], 1.0
	v_fmac_f64_e32 v[22:23], v[22:23], v[38:39]
	s_delay_alu instid0(VALU_DEP_1) | instskip(NEXT) | instid1(VALU_DEP_1)
	v_fma_f64 v[38:39], -v[20:21], v[22:23], 1.0
	v_fmac_f64_e32 v[22:23], v[22:23], v[38:39]
	s_delay_alu instid0(VALU_DEP_1) | instskip(NEXT) | instid1(VALU_DEP_1)
	v_mul_f64_e32 v[38:39], v[40:41], v[22:23]
	v_fma_f64 v[20:21], -v[20:21], v[38:39], v[40:41]
	s_delay_alu instid0(VALU_DEP_1) | instskip(NEXT) | instid1(VALU_DEP_1)
	v_div_fmas_f64 v[20:21], v[20:21], v[22:23], v[38:39]
	v_div_fixup_f64 v[20:21], v[20:21], v[10:11], v[8:9]
	s_delay_alu instid0(VALU_DEP_1) | instskip(NEXT) | instid1(VALU_DEP_1)
	v_fma_f64 v[22:23], v[8:9], v[20:21], v[10:11]
	v_div_scale_f64 v[38:39], null, v[22:23], v[22:23], 1.0
	v_div_scale_f64 v[44:45], vcc_lo, 1.0, v[22:23], 1.0
	s_delay_alu instid0(VALU_DEP_2) | instskip(SKIP_1) | instid1(TRANS32_DEP_1)
	v_rcp_f64_e32 v[40:41], v[38:39]
	v_nop
	v_fma_f64 v[42:43], -v[38:39], v[40:41], 1.0
	s_delay_alu instid0(VALU_DEP_1) | instskip(NEXT) | instid1(VALU_DEP_1)
	v_fmac_f64_e32 v[40:41], v[40:41], v[42:43]
	v_fma_f64 v[42:43], -v[38:39], v[40:41], 1.0
	s_delay_alu instid0(VALU_DEP_1) | instskip(NEXT) | instid1(VALU_DEP_1)
	v_fmac_f64_e32 v[40:41], v[40:41], v[42:43]
	v_mul_f64_e32 v[42:43], v[44:45], v[40:41]
	s_delay_alu instid0(VALU_DEP_1) | instskip(NEXT) | instid1(VALU_DEP_1)
	v_fma_f64 v[38:39], -v[38:39], v[42:43], v[44:45]
	v_div_fmas_f64 v[38:39], v[38:39], v[40:41], v[42:43]
	v_fma_f64 v[40:41], v[20:21], v[24:25], v[26:27]
	s_delay_alu instid0(VALU_DEP_2) | instskip(SKIP_1) | instid1(VALU_DEP_2)
	v_div_fixup_f64 v[22:23], v[38:39], v[22:23], 1.0
	v_fma_f64 v[38:39], v[20:21], v[26:27], -v[24:25]
	v_mul_f64_e32 v[20:21], v[40:41], v[22:23]
	s_delay_alu instid0(VALU_DEP_2)
	v_mul_f64_e32 v[22:23], v[38:39], v[22:23]
.LBB223_126:                            ;   in Loop: Header=BB223_114 Depth=2
	s_and_not1_b32 vcc_lo, exec_lo, s27
	s_cbranch_vccnz .LBB223_128
; %bb.127:                              ;   in Loop: Header=BB223_114 Depth=2
	v_div_scale_f64 v[20:21], null, v[8:9], v[8:9], v[10:11]
	v_div_scale_f64 v[40:41], vcc_lo, v[10:11], v[8:9], v[10:11]
	s_delay_alu instid0(VALU_DEP_2) | instskip(SKIP_1) | instid1(TRANS32_DEP_1)
	v_rcp_f64_e32 v[22:23], v[20:21]
	v_nop
	v_fma_f64 v[38:39], -v[20:21], v[22:23], 1.0
	s_delay_alu instid0(VALU_DEP_1) | instskip(NEXT) | instid1(VALU_DEP_1)
	v_fmac_f64_e32 v[22:23], v[22:23], v[38:39]
	v_fma_f64 v[38:39], -v[20:21], v[22:23], 1.0
	s_delay_alu instid0(VALU_DEP_1) | instskip(NEXT) | instid1(VALU_DEP_1)
	v_fmac_f64_e32 v[22:23], v[22:23], v[38:39]
	v_mul_f64_e32 v[38:39], v[40:41], v[22:23]
	s_delay_alu instid0(VALU_DEP_1) | instskip(NEXT) | instid1(VALU_DEP_1)
	v_fma_f64 v[20:21], -v[20:21], v[38:39], v[40:41]
	v_div_fmas_f64 v[20:21], v[20:21], v[22:23], v[38:39]
	s_delay_alu instid0(VALU_DEP_1) | instskip(NEXT) | instid1(VALU_DEP_1)
	v_div_fixup_f64 v[20:21], v[20:21], v[8:9], v[10:11]
	v_fmac_f64_e32 v[8:9], v[10:11], v[20:21]
	s_delay_alu instid0(VALU_DEP_1) | instskip(SKIP_1) | instid1(VALU_DEP_2)
	v_div_scale_f64 v[10:11], null, v[8:9], v[8:9], 1.0
	v_div_scale_f64 v[40:41], vcc_lo, 1.0, v[8:9], 1.0
	v_rcp_f64_e32 v[22:23], v[10:11]
	v_nop
	s_delay_alu instid0(TRANS32_DEP_1) | instskip(NEXT) | instid1(VALU_DEP_1)
	v_fma_f64 v[38:39], -v[10:11], v[22:23], 1.0
	v_fmac_f64_e32 v[22:23], v[22:23], v[38:39]
	s_delay_alu instid0(VALU_DEP_1) | instskip(NEXT) | instid1(VALU_DEP_1)
	v_fma_f64 v[38:39], -v[10:11], v[22:23], 1.0
	v_fmac_f64_e32 v[22:23], v[22:23], v[38:39]
	s_delay_alu instid0(VALU_DEP_1) | instskip(NEXT) | instid1(VALU_DEP_1)
	v_mul_f64_e32 v[38:39], v[40:41], v[22:23]
	v_fma_f64 v[10:11], -v[10:11], v[38:39], v[40:41]
	s_delay_alu instid0(VALU_DEP_1) | instskip(SKIP_1) | instid1(VALU_DEP_2)
	v_div_fmas_f64 v[10:11], v[10:11], v[22:23], v[38:39]
	v_fma_f64 v[22:23], v[20:21], v[26:27], v[24:25]
	v_div_fixup_f64 v[8:9], v[10:11], v[8:9], 1.0
	v_fma_f64 v[10:11], -v[20:21], v[24:25], v[26:27]
	s_delay_alu instid0(VALU_DEP_2) | instskip(NEXT) | instid1(VALU_DEP_2)
	v_mul_f64_e32 v[20:21], v[22:23], v[8:9]
	v_mul_f64_e32 v[22:23], v[10:11], v[8:9]
.LBB223_128:                            ;   in Loop: Header=BB223_114 Depth=2
	v_mov_b32_e32 v44, s26
	ds_load_b128 v[8:11], v44 offset:320
	ds_load_b128 v[24:27], v44 offset:336
	s_wait_dscnt 0x1
	v_mul_f64_e32 v[38:39], v[14:15], v[10:11]
	v_mul_f64_e32 v[40:41], v[12:13], v[10:11]
	s_wait_dscnt 0x0
	v_mul_f64_e32 v[42:43], v[18:19], v[26:27]
	v_mul_f64_e32 v[26:27], v[16:17], v[26:27]
	s_delay_alu instid0(VALU_DEP_4) | instskip(NEXT) | instid1(VALU_DEP_4)
	v_fma_f64 v[38:39], v[12:13], v[8:9], -v[38:39]
	v_fmac_f64_e32 v[40:41], v[14:15], v[8:9]
	ds_load_b128 v[12:15], v44 offset:352
	ds_load_b128 v[8:11], v44 offset:368
	v_fma_f64 v[16:17], v[16:17], v[24:25], -v[42:43]
	v_fmac_f64_e32 v[26:27], v[18:19], v[24:25]
	ds_store_b128 v37, v[20:23] offset:640
	s_wait_dscnt 0x2
	v_mul_f64_e32 v[44:45], v[22:23], v[14:15]
	v_mul_f64_e32 v[14:15], v[20:21], v[14:15]
	s_wait_dscnt 0x1
	v_cmp_ngt_f64_e64 s26, |v[8:9]|, |v[10:11]|
	v_add_f64_e64 v[4:5], v[4:5], -v[38:39]
	v_add_f64_e64 v[6:7], v[6:7], -v[40:41]
	v_fma_f64 v[18:19], v[20:21], v[12:13], -v[44:45]
	v_fmac_f64_e32 v[14:15], v[22:23], v[12:13]
	s_and_b32 vcc_lo, exec_lo, s26
	s_mov_b32 s26, -1
	s_delay_alu instid0(VALU_DEP_4) | instskip(NEXT) | instid1(VALU_DEP_4)
	v_add_f64_e64 v[4:5], v[4:5], -v[16:17]
	v_add_f64_e64 v[6:7], v[6:7], -v[26:27]
	s_delay_alu instid0(VALU_DEP_2) | instskip(NEXT) | instid1(VALU_DEP_2)
	v_add_f64_e64 v[12:13], v[4:5], -v[18:19]
	v_add_f64_e64 v[14:15], v[6:7], -v[14:15]
                                        ; implicit-def: $vgpr6_vgpr7
	s_cbranch_vccz .LBB223_130
; %bb.129:                              ;   in Loop: Header=BB223_114 Depth=2
	v_div_scale_f64 v[4:5], null, v[10:11], v[10:11], v[8:9]
	v_div_scale_f64 v[18:19], vcc_lo, v[8:9], v[10:11], v[8:9]
	s_mov_b32 s26, 0
	v_rcp_f64_e32 v[6:7], v[4:5]
	v_nop
	s_delay_alu instid0(TRANS32_DEP_1) | instskip(NEXT) | instid1(VALU_DEP_1)
	v_fma_f64 v[16:17], -v[4:5], v[6:7], 1.0
	v_fmac_f64_e32 v[6:7], v[6:7], v[16:17]
	s_delay_alu instid0(VALU_DEP_1) | instskip(NEXT) | instid1(VALU_DEP_1)
	v_fma_f64 v[16:17], -v[4:5], v[6:7], 1.0
	v_fmac_f64_e32 v[6:7], v[6:7], v[16:17]
	s_delay_alu instid0(VALU_DEP_1) | instskip(NEXT) | instid1(VALU_DEP_1)
	v_mul_f64_e32 v[16:17], v[18:19], v[6:7]
	v_fma_f64 v[4:5], -v[4:5], v[16:17], v[18:19]
	s_delay_alu instid0(VALU_DEP_1) | instskip(NEXT) | instid1(VALU_DEP_1)
	v_div_fmas_f64 v[4:5], v[4:5], v[6:7], v[16:17]
	v_div_fixup_f64 v[4:5], v[4:5], v[10:11], v[8:9]
	s_delay_alu instid0(VALU_DEP_1) | instskip(NEXT) | instid1(VALU_DEP_1)
	v_fma_f64 v[6:7], v[8:9], v[4:5], v[10:11]
	v_div_scale_f64 v[16:17], null, v[6:7], v[6:7], 1.0
	v_div_scale_f64 v[22:23], vcc_lo, 1.0, v[6:7], 1.0
	s_delay_alu instid0(VALU_DEP_2) | instskip(SKIP_1) | instid1(TRANS32_DEP_1)
	v_rcp_f64_e32 v[18:19], v[16:17]
	v_nop
	v_fma_f64 v[20:21], -v[16:17], v[18:19], 1.0
	s_delay_alu instid0(VALU_DEP_1) | instskip(NEXT) | instid1(VALU_DEP_1)
	v_fmac_f64_e32 v[18:19], v[18:19], v[20:21]
	v_fma_f64 v[20:21], -v[16:17], v[18:19], 1.0
	s_delay_alu instid0(VALU_DEP_1) | instskip(NEXT) | instid1(VALU_DEP_1)
	v_fmac_f64_e32 v[18:19], v[18:19], v[20:21]
	v_mul_f64_e32 v[20:21], v[22:23], v[18:19]
	s_delay_alu instid0(VALU_DEP_1) | instskip(NEXT) | instid1(VALU_DEP_1)
	v_fma_f64 v[16:17], -v[16:17], v[20:21], v[22:23]
	v_div_fmas_f64 v[16:17], v[16:17], v[18:19], v[20:21]
	v_fma_f64 v[18:19], v[4:5], v[12:13], v[14:15]
	s_delay_alu instid0(VALU_DEP_2) | instskip(SKIP_1) | instid1(VALU_DEP_2)
	v_div_fixup_f64 v[6:7], v[16:17], v[6:7], 1.0
	v_fma_f64 v[16:17], v[4:5], v[14:15], -v[12:13]
	v_mul_f64_e32 v[4:5], v[18:19], v[6:7]
	s_delay_alu instid0(VALU_DEP_2)
	v_mul_f64_e32 v[6:7], v[16:17], v[6:7]
.LBB223_130:                            ;   in Loop: Header=BB223_114 Depth=2
	s_and_not1_b32 vcc_lo, exec_lo, s26
	s_cbranch_vccnz .LBB223_132
; %bb.131:                              ;   in Loop: Header=BB223_114 Depth=2
	v_div_scale_f64 v[4:5], null, v[8:9], v[8:9], v[10:11]
	v_div_scale_f64 v[18:19], vcc_lo, v[10:11], v[8:9], v[10:11]
	s_delay_alu instid0(VALU_DEP_2) | instskip(SKIP_1) | instid1(TRANS32_DEP_1)
	v_rcp_f64_e32 v[6:7], v[4:5]
	v_nop
	v_fma_f64 v[16:17], -v[4:5], v[6:7], 1.0
	s_delay_alu instid0(VALU_DEP_1) | instskip(NEXT) | instid1(VALU_DEP_1)
	v_fmac_f64_e32 v[6:7], v[6:7], v[16:17]
	v_fma_f64 v[16:17], -v[4:5], v[6:7], 1.0
	s_delay_alu instid0(VALU_DEP_1) | instskip(NEXT) | instid1(VALU_DEP_1)
	v_fmac_f64_e32 v[6:7], v[6:7], v[16:17]
	v_mul_f64_e32 v[16:17], v[18:19], v[6:7]
	s_delay_alu instid0(VALU_DEP_1) | instskip(NEXT) | instid1(VALU_DEP_1)
	v_fma_f64 v[4:5], -v[4:5], v[16:17], v[18:19]
	v_div_fmas_f64 v[4:5], v[4:5], v[6:7], v[16:17]
	s_delay_alu instid0(VALU_DEP_1) | instskip(NEXT) | instid1(VALU_DEP_1)
	v_div_fixup_f64 v[4:5], v[4:5], v[8:9], v[10:11]
	v_fmac_f64_e32 v[8:9], v[10:11], v[4:5]
	s_delay_alu instid0(VALU_DEP_1) | instskip(SKIP_1) | instid1(VALU_DEP_2)
	v_div_scale_f64 v[6:7], null, v[8:9], v[8:9], 1.0
	v_div_scale_f64 v[18:19], vcc_lo, 1.0, v[8:9], 1.0
	v_rcp_f64_e32 v[10:11], v[6:7]
	v_nop
	s_delay_alu instid0(TRANS32_DEP_1) | instskip(NEXT) | instid1(VALU_DEP_1)
	v_fma_f64 v[16:17], -v[6:7], v[10:11], 1.0
	v_fmac_f64_e32 v[10:11], v[10:11], v[16:17]
	s_delay_alu instid0(VALU_DEP_1) | instskip(NEXT) | instid1(VALU_DEP_1)
	v_fma_f64 v[16:17], -v[6:7], v[10:11], 1.0
	v_fmac_f64_e32 v[10:11], v[10:11], v[16:17]
	s_delay_alu instid0(VALU_DEP_1) | instskip(NEXT) | instid1(VALU_DEP_1)
	v_mul_f64_e32 v[16:17], v[18:19], v[10:11]
	v_fma_f64 v[6:7], -v[6:7], v[16:17], v[18:19]
	s_delay_alu instid0(VALU_DEP_1) | instskip(SKIP_1) | instid1(VALU_DEP_2)
	v_div_fmas_f64 v[6:7], v[6:7], v[10:11], v[16:17]
	v_fma_f64 v[10:11], v[4:5], v[14:15], v[12:13]
	v_div_fixup_f64 v[6:7], v[6:7], v[8:9], 1.0
	v_fma_f64 v[8:9], -v[4:5], v[12:13], v[14:15]
	s_delay_alu instid0(VALU_DEP_2) | instskip(NEXT) | instid1(VALU_DEP_2)
	v_mul_f64_e32 v[4:5], v[10:11], v[6:7]
	v_mul_f64_e32 v[6:7], v[8:9], v[6:7]
.LBB223_132:                            ;   in Loop: Header=BB223_114 Depth=2
	s_add_co_i32 s26, s25, 4
	s_add_co_i32 s25, s25, 7
	s_addk_co_i32 s24, 0x500
	s_cmp_ge_i32 s25, s29
	ds_store_b128 v37, v[4:7] offset:960
	s_cbranch_scc1 .LBB223_134
; %bb.133:                              ;   in Loop: Header=BB223_114 Depth=2
	s_mov_b32 s25, s26
	s_branch .LBB223_114
.LBB223_134:                            ;   in Loop: Header=BB223_3 Depth=1
	s_cmp_ge_i32 s26, s29
	s_cbranch_scc1 .LBB223_143
; %bb.135:                              ;   in Loop: Header=BB223_3 Depth=1
	s_mul_i32 s24, s26, 0x140
	s_branch .LBB223_137
.LBB223_136:                            ;   in Loop: Header=BB223_137 Depth=2
	s_add_co_i32 s26, s26, 1
	s_addk_co_i32 s24, 0x140
	s_cmp_ge_i32 s26, s29
	ds_store_b128 v16, v[12:15]
	s_cbranch_scc1 .LBB223_143
.LBB223_137:                            ;   Parent Loop BB223_3 Depth=1
                                        ; =>  This Loop Header: Depth=2
                                        ;       Child Loop BB223_138 Depth 3
	v_mad_u32 v16, 0x140, s26, v34
	v_mov_b32_e32 v8, v34
	s_cmp_eq_u32 s26, 0
	s_mov_b32 s25, s24
	s_mov_b32 s27, s26
	ds_load_b128 v[4:7], v16
	s_cbranch_scc1 .LBB223_139
.LBB223_138:                            ;   Parent Loop BB223_3 Depth=1
                                        ;     Parent Loop BB223_137 Depth=2
                                        ; =>    This Inner Loop Header: Depth=3
	v_mov_b32_e32 v9, s25
	s_add_co_i32 s27, s27, -1
	s_add_co_i32 s25, s25, 16
	s_cmp_eq_u32 s27, 0
	ds_load_b128 v[10:13], v8
	ds_load_b128 v[18:21], v9
	v_add_nc_u32_e32 v8, 0x140, v8
	s_wait_dscnt 0x0
	v_mul_f64_e32 v[14:15], v[20:21], v[12:13]
	v_mul_f64_e32 v[12:13], v[18:19], v[12:13]
	s_delay_alu instid0(VALU_DEP_2) | instskip(NEXT) | instid1(VALU_DEP_2)
	v_fma_f64 v[14:15], v[18:19], v[10:11], -v[14:15]
	v_fmac_f64_e32 v[12:13], v[20:21], v[10:11]
	s_delay_alu instid0(VALU_DEP_2) | instskip(NEXT) | instid1(VALU_DEP_2)
	v_add_f64_e64 v[4:5], v[4:5], -v[14:15]
	v_add_f64_e64 v[6:7], v[6:7], -v[12:13]
	s_cbranch_scc0 .LBB223_138
.LBB223_139:                            ;   in Loop: Header=BB223_137 Depth=2
	s_mul_i32 s25, s26, 0x150
                                        ; implicit-def: $vgpr12_vgpr13
	s_delay_alu instid0(SALU_CYCLE_1)
	v_mov_b32_e32 v8, s25
	ds_load_b128 v[8:11], v8
	s_wait_dscnt 0x0
	v_cmp_ngt_f64_e64 s25, |v[8:9]|, |v[10:11]|
	s_and_b32 vcc_lo, exec_lo, s25
	s_mov_b32 s25, -1
	s_cbranch_vccz .LBB223_141
; %bb.140:                              ;   in Loop: Header=BB223_137 Depth=2
	v_div_scale_f64 v[12:13], null, v[10:11], v[10:11], v[8:9]
	v_div_scale_f64 v[20:21], vcc_lo, v[8:9], v[10:11], v[8:9]
	s_mov_b32 s25, 0
	v_rcp_f64_e32 v[14:15], v[12:13]
	v_nop
	s_delay_alu instid0(TRANS32_DEP_1) | instskip(NEXT) | instid1(VALU_DEP_1)
	v_fma_f64 v[18:19], -v[12:13], v[14:15], 1.0
	v_fmac_f64_e32 v[14:15], v[14:15], v[18:19]
	s_delay_alu instid0(VALU_DEP_1) | instskip(NEXT) | instid1(VALU_DEP_1)
	v_fma_f64 v[18:19], -v[12:13], v[14:15], 1.0
	v_fmac_f64_e32 v[14:15], v[14:15], v[18:19]
	s_delay_alu instid0(VALU_DEP_1) | instskip(NEXT) | instid1(VALU_DEP_1)
	v_mul_f64_e32 v[18:19], v[20:21], v[14:15]
	v_fma_f64 v[12:13], -v[12:13], v[18:19], v[20:21]
	s_delay_alu instid0(VALU_DEP_1) | instskip(NEXT) | instid1(VALU_DEP_1)
	v_div_fmas_f64 v[12:13], v[12:13], v[14:15], v[18:19]
	v_div_fixup_f64 v[12:13], v[12:13], v[10:11], v[8:9]
	s_delay_alu instid0(VALU_DEP_1) | instskip(NEXT) | instid1(VALU_DEP_1)
	v_fma_f64 v[14:15], v[8:9], v[12:13], v[10:11]
	v_div_scale_f64 v[18:19], null, v[14:15], v[14:15], 1.0
	v_div_scale_f64 v[24:25], vcc_lo, 1.0, v[14:15], 1.0
	s_delay_alu instid0(VALU_DEP_2) | instskip(SKIP_1) | instid1(TRANS32_DEP_1)
	v_rcp_f64_e32 v[20:21], v[18:19]
	v_nop
	v_fma_f64 v[22:23], -v[18:19], v[20:21], 1.0
	s_delay_alu instid0(VALU_DEP_1) | instskip(NEXT) | instid1(VALU_DEP_1)
	v_fmac_f64_e32 v[20:21], v[20:21], v[22:23]
	v_fma_f64 v[22:23], -v[18:19], v[20:21], 1.0
	s_delay_alu instid0(VALU_DEP_1) | instskip(NEXT) | instid1(VALU_DEP_1)
	v_fmac_f64_e32 v[20:21], v[20:21], v[22:23]
	v_mul_f64_e32 v[22:23], v[24:25], v[20:21]
	s_delay_alu instid0(VALU_DEP_1) | instskip(NEXT) | instid1(VALU_DEP_1)
	v_fma_f64 v[18:19], -v[18:19], v[22:23], v[24:25]
	v_div_fmas_f64 v[18:19], v[18:19], v[20:21], v[22:23]
	v_fma_f64 v[20:21], v[4:5], v[12:13], v[6:7]
	s_delay_alu instid0(VALU_DEP_2) | instskip(SKIP_1) | instid1(VALU_DEP_2)
	v_div_fixup_f64 v[14:15], v[18:19], v[14:15], 1.0
	v_fma_f64 v[18:19], v[6:7], v[12:13], -v[4:5]
	v_mul_f64_e32 v[12:13], v[20:21], v[14:15]
	s_delay_alu instid0(VALU_DEP_2)
	v_mul_f64_e32 v[14:15], v[18:19], v[14:15]
.LBB223_141:                            ;   in Loop: Header=BB223_137 Depth=2
	s_and_not1_b32 vcc_lo, exec_lo, s25
	s_cbranch_vccnz .LBB223_136
; %bb.142:                              ;   in Loop: Header=BB223_137 Depth=2
	v_div_scale_f64 v[12:13], null, v[8:9], v[8:9], v[10:11]
	v_div_scale_f64 v[20:21], vcc_lo, v[10:11], v[8:9], v[10:11]
	s_delay_alu instid0(VALU_DEP_2) | instskip(SKIP_1) | instid1(TRANS32_DEP_1)
	v_rcp_f64_e32 v[14:15], v[12:13]
	v_nop
	v_fma_f64 v[18:19], -v[12:13], v[14:15], 1.0
	s_delay_alu instid0(VALU_DEP_1) | instskip(NEXT) | instid1(VALU_DEP_1)
	v_fmac_f64_e32 v[14:15], v[14:15], v[18:19]
	v_fma_f64 v[18:19], -v[12:13], v[14:15], 1.0
	s_delay_alu instid0(VALU_DEP_1) | instskip(NEXT) | instid1(VALU_DEP_1)
	v_fmac_f64_e32 v[14:15], v[14:15], v[18:19]
	v_mul_f64_e32 v[18:19], v[20:21], v[14:15]
	s_delay_alu instid0(VALU_DEP_1) | instskip(NEXT) | instid1(VALU_DEP_1)
	v_fma_f64 v[12:13], -v[12:13], v[18:19], v[20:21]
	v_div_fmas_f64 v[12:13], v[12:13], v[14:15], v[18:19]
	s_delay_alu instid0(VALU_DEP_1) | instskip(NEXT) | instid1(VALU_DEP_1)
	v_div_fixup_f64 v[12:13], v[12:13], v[8:9], v[10:11]
	v_fmac_f64_e32 v[8:9], v[10:11], v[12:13]
	s_delay_alu instid0(VALU_DEP_1) | instskip(SKIP_1) | instid1(VALU_DEP_2)
	v_div_scale_f64 v[10:11], null, v[8:9], v[8:9], 1.0
	v_div_scale_f64 v[20:21], vcc_lo, 1.0, v[8:9], 1.0
	v_rcp_f64_e32 v[14:15], v[10:11]
	v_nop
	s_delay_alu instid0(TRANS32_DEP_1) | instskip(NEXT) | instid1(VALU_DEP_1)
	v_fma_f64 v[18:19], -v[10:11], v[14:15], 1.0
	v_fmac_f64_e32 v[14:15], v[14:15], v[18:19]
	s_delay_alu instid0(VALU_DEP_1) | instskip(NEXT) | instid1(VALU_DEP_1)
	v_fma_f64 v[18:19], -v[10:11], v[14:15], 1.0
	v_fmac_f64_e32 v[14:15], v[14:15], v[18:19]
	s_delay_alu instid0(VALU_DEP_1) | instskip(NEXT) | instid1(VALU_DEP_1)
	v_mul_f64_e32 v[18:19], v[20:21], v[14:15]
	v_fma_f64 v[10:11], -v[10:11], v[18:19], v[20:21]
	s_delay_alu instid0(VALU_DEP_1) | instskip(SKIP_2) | instid1(VALU_DEP_3)
	v_div_fmas_f64 v[10:11], v[10:11], v[14:15], v[18:19]
	v_fma_f64 v[14:15], v[6:7], v[12:13], v[4:5]
	v_fma_f64 v[4:5], -v[4:5], v[12:13], v[6:7]
	v_div_fixup_f64 v[8:9], v[10:11], v[8:9], 1.0
	s_delay_alu instid0(VALU_DEP_1) | instskip(NEXT) | instid1(VALU_DEP_3)
	v_mul_f64_e32 v[12:13], v[14:15], v[8:9]
	v_mul_f64_e32 v[14:15], v[4:5], v[8:9]
	s_branch .LBB223_136
.LBB223_143:                            ;   in Loop: Header=BB223_3 Depth=1
	s_and_saveexec_b32 s24, s35
	s_cbranch_execz .LBB223_2
; %bb.144:                              ;   in Loop: Header=BB223_3 Depth=1
	v_add_nc_u64_e32 v[4:5], s[16:17], v[0:1]
	v_mov_b32_e32 v6, v34
	s_mov_b32 s16, s28
.LBB223_145:                            ;   Parent Loop BB223_3 Depth=1
                                        ; =>  This Inner Loop Header: Depth=2
	ds_load_2addr_b64 v[8:11], v6 offset1:1
	v_add_nc_u32_e32 v6, 0x140, v6
	s_add_co_i32 s16, s16, -1
	s_delay_alu instid0(SALU_CYCLE_1)
	s_cmp_lg_u32 s16, 0
	s_wait_dscnt 0x0
	global_store_b128 v[4:5], v[8:11], off
	s_wait_xcnt 0x0
	v_add_nc_u64_e32 v[4:5], s[14:15], v[4:5]
	s_cbranch_scc1 .LBB223_145
	s_branch .LBB223_2
.LBB223_146:
	s_endpgm
	.section	.rodata,"a",@progbits
	.p2align	6, 0x0
	.amdhsa_kernel _ZL31rocblas_trsm_small_right_deviceI19rocblas_complex_numIdES1_PKS1_PS1_Li20EEv13rocblas_fill_18rocblas_operation_17rocblas_diagonal_iiT0_T1_lilT2_lili
		.amdhsa_group_segment_fixed_size 12800
		.amdhsa_private_segment_fixed_size 0
		.amdhsa_kernarg_size 368
		.amdhsa_user_sgpr_count 2
		.amdhsa_user_sgpr_dispatch_ptr 0
		.amdhsa_user_sgpr_queue_ptr 0
		.amdhsa_user_sgpr_kernarg_segment_ptr 1
		.amdhsa_user_sgpr_dispatch_id 0
		.amdhsa_user_sgpr_kernarg_preload_length 0
		.amdhsa_user_sgpr_kernarg_preload_offset 0
		.amdhsa_user_sgpr_private_segment_size 0
		.amdhsa_wavefront_size32 1
		.amdhsa_uses_dynamic_stack 0
		.amdhsa_enable_private_segment 0
		.amdhsa_system_sgpr_workgroup_id_x 1
		.amdhsa_system_sgpr_workgroup_id_y 0
		.amdhsa_system_sgpr_workgroup_id_z 1
		.amdhsa_system_sgpr_workgroup_info 0
		.amdhsa_system_vgpr_workitem_id 0
		.amdhsa_next_free_vgpr 129
		.amdhsa_next_free_sgpr 40
		.amdhsa_named_barrier_count 0
		.amdhsa_reserve_vcc 1
		.amdhsa_float_round_mode_32 0
		.amdhsa_float_round_mode_16_64 0
		.amdhsa_float_denorm_mode_32 3
		.amdhsa_float_denorm_mode_16_64 3
		.amdhsa_fp16_overflow 0
		.amdhsa_memory_ordered 1
		.amdhsa_forward_progress 1
		.amdhsa_inst_pref_size 117
		.amdhsa_round_robin_scheduling 0
		.amdhsa_exception_fp_ieee_invalid_op 0
		.amdhsa_exception_fp_denorm_src 0
		.amdhsa_exception_fp_ieee_div_zero 0
		.amdhsa_exception_fp_ieee_overflow 0
		.amdhsa_exception_fp_ieee_underflow 0
		.amdhsa_exception_fp_ieee_inexact 0
		.amdhsa_exception_int_div_zero 0
	.end_amdhsa_kernel
	.section	.text._ZL31rocblas_trsm_small_right_deviceI19rocblas_complex_numIdES1_PKS1_PS1_Li20EEv13rocblas_fill_18rocblas_operation_17rocblas_diagonal_iiT0_T1_lilT2_lili,"axG",@progbits,_ZL31rocblas_trsm_small_right_deviceI19rocblas_complex_numIdES1_PKS1_PS1_Li20EEv13rocblas_fill_18rocblas_operation_17rocblas_diagonal_iiT0_T1_lilT2_lili,comdat
.Lfunc_end223:
	.size	_ZL31rocblas_trsm_small_right_deviceI19rocblas_complex_numIdES1_PKS1_PS1_Li20EEv13rocblas_fill_18rocblas_operation_17rocblas_diagonal_iiT0_T1_lilT2_lili, .Lfunc_end223-_ZL31rocblas_trsm_small_right_deviceI19rocblas_complex_numIdES1_PKS1_PS1_Li20EEv13rocblas_fill_18rocblas_operation_17rocblas_diagonal_iiT0_T1_lilT2_lili
                                        ; -- End function
	.set _ZL31rocblas_trsm_small_right_deviceI19rocblas_complex_numIdES1_PKS1_PS1_Li20EEv13rocblas_fill_18rocblas_operation_17rocblas_diagonal_iiT0_T1_lilT2_lili.num_vgpr, 64
	.set _ZL31rocblas_trsm_small_right_deviceI19rocblas_complex_numIdES1_PKS1_PS1_Li20EEv13rocblas_fill_18rocblas_operation_17rocblas_diagonal_iiT0_T1_lilT2_lili.num_agpr, 0
	.set _ZL31rocblas_trsm_small_right_deviceI19rocblas_complex_numIdES1_PKS1_PS1_Li20EEv13rocblas_fill_18rocblas_operation_17rocblas_diagonal_iiT0_T1_lilT2_lili.numbered_sgpr, 40
	.set _ZL31rocblas_trsm_small_right_deviceI19rocblas_complex_numIdES1_PKS1_PS1_Li20EEv13rocblas_fill_18rocblas_operation_17rocblas_diagonal_iiT0_T1_lilT2_lili.num_named_barrier, 0
	.set _ZL31rocblas_trsm_small_right_deviceI19rocblas_complex_numIdES1_PKS1_PS1_Li20EEv13rocblas_fill_18rocblas_operation_17rocblas_diagonal_iiT0_T1_lilT2_lili.private_seg_size, 0
	.set _ZL31rocblas_trsm_small_right_deviceI19rocblas_complex_numIdES1_PKS1_PS1_Li20EEv13rocblas_fill_18rocblas_operation_17rocblas_diagonal_iiT0_T1_lilT2_lili.uses_vcc, 1
	.set _ZL31rocblas_trsm_small_right_deviceI19rocblas_complex_numIdES1_PKS1_PS1_Li20EEv13rocblas_fill_18rocblas_operation_17rocblas_diagonal_iiT0_T1_lilT2_lili.uses_flat_scratch, 0
	.set _ZL31rocblas_trsm_small_right_deviceI19rocblas_complex_numIdES1_PKS1_PS1_Li20EEv13rocblas_fill_18rocblas_operation_17rocblas_diagonal_iiT0_T1_lilT2_lili.has_dyn_sized_stack, 0
	.set _ZL31rocblas_trsm_small_right_deviceI19rocblas_complex_numIdES1_PKS1_PS1_Li20EEv13rocblas_fill_18rocblas_operation_17rocblas_diagonal_iiT0_T1_lilT2_lili.has_recursion, 0
	.set _ZL31rocblas_trsm_small_right_deviceI19rocblas_complex_numIdES1_PKS1_PS1_Li20EEv13rocblas_fill_18rocblas_operation_17rocblas_diagonal_iiT0_T1_lilT2_lili.has_indirect_call, 0
	.section	.AMDGPU.csdata,"",@progbits
; Kernel info:
; codeLenInByte = 14920
; TotalNumSgprs: 42
; NumVgprs: 64
; ScratchSize: 0
; MemoryBound: 0
; FloatMode: 240
; IeeeMode: 1
; LDSByteSize: 12800 bytes/workgroup (compile time only)
; SGPRBlocks: 0
; VGPRBlocks: 8
; NumSGPRsForWavesPerEU: 42
; NumVGPRsForWavesPerEU: 129
; NamedBarCnt: 0
; Occupancy: 7
; WaveLimiterHint : 0
; COMPUTE_PGM_RSRC2:SCRATCH_EN: 0
; COMPUTE_PGM_RSRC2:USER_SGPR: 2
; COMPUTE_PGM_RSRC2:TRAP_HANDLER: 0
; COMPUTE_PGM_RSRC2:TGID_X_EN: 1
; COMPUTE_PGM_RSRC2:TGID_Y_EN: 0
; COMPUTE_PGM_RSRC2:TGID_Z_EN: 1
; COMPUTE_PGM_RSRC2:TIDIG_COMP_CNT: 0
	.section	.text._ZL38rocblas_trsm_small_left_device_sharedBILi24ELi24ELb0E19rocblas_complex_numIdES1_PKS1_PS1_Ev13rocblas_fill_18rocblas_operation_17rocblas_diagonal_iiT3_T4_lilT5_lili,"axG",@progbits,_ZL38rocblas_trsm_small_left_device_sharedBILi24ELi24ELb0E19rocblas_complex_numIdES1_PKS1_PS1_Ev13rocblas_fill_18rocblas_operation_17rocblas_diagonal_iiT3_T4_lilT5_lili,comdat
	.globl	_ZL38rocblas_trsm_small_left_device_sharedBILi24ELi24ELb0E19rocblas_complex_numIdES1_PKS1_PS1_Ev13rocblas_fill_18rocblas_operation_17rocblas_diagonal_iiT3_T4_lilT5_lili ; -- Begin function _ZL38rocblas_trsm_small_left_device_sharedBILi24ELi24ELb0E19rocblas_complex_numIdES1_PKS1_PS1_Ev13rocblas_fill_18rocblas_operation_17rocblas_diagonal_iiT3_T4_lilT5_lili
	.p2align	8
	.type	_ZL38rocblas_trsm_small_left_device_sharedBILi24ELi24ELb0E19rocblas_complex_numIdES1_PKS1_PS1_Ev13rocblas_fill_18rocblas_operation_17rocblas_diagonal_iiT3_T4_lilT5_lili,@function
_ZL38rocblas_trsm_small_left_device_sharedBILi24ELi24ELb0E19rocblas_complex_numIdES1_PKS1_PS1_Ev13rocblas_fill_18rocblas_operation_17rocblas_diagonal_iiT3_T4_lilT5_lili: ; @_ZL38rocblas_trsm_small_left_device_sharedBILi24ELi24ELb0E19rocblas_complex_numIdES1_PKS1_PS1_Ev13rocblas_fill_18rocblas_operation_17rocblas_diagonal_iiT3_T4_lilT5_lili
; %bb.0:
	s_load_b32 s3, s[0:1], 0x68
	s_bfe_u32 s2, ttmp6, 0x40014
	s_lshr_b32 s4, ttmp7, 16
	s_add_co_i32 s2, s2, 1
	s_bfe_u32 s5, ttmp6, 0x40008
	s_mul_i32 s2, s4, s2
	s_getreg_b32 s8, hwreg(HW_REG_IB_STS2, 6, 4)
	s_add_co_i32 s5, s5, s2
	s_cmp_eq_u32 s8, 0
	s_mov_b32 s21, 0
	s_cselect_b32 s20, s4, s5
	s_wait_kmcnt 0x0
	s_cmp_ge_u32 s20, s3
	s_cbranch_scc1 .LBB224_62
; %bb.1:
	s_clause 0x5
	s_load_b32 s26, s[0:1], 0x38
	s_load_b96 s[16:18], s[0:1], 0x50
	s_load_b128 s[4:7], s[0:1], 0x4
	s_load_b32 s9, s[0:1], 0x70
	s_load_b64 s[28:29], s[0:1], 0x60
	s_load_b128 s[12:15], s[0:1], 0x40
	v_dual_mov_b32 v9, 0 :: v_dual_lshlrev_b32 v8, 4, v0
	s_wait_kmcnt 0x0
	s_ashr_i32 s27, s26, 31
	s_ashr_i32 s25, s18, 31
	s_cmp_eq_u32 s4, 0x71
	s_cselect_b32 s2, -1, 0
	s_bfe_u32 s10, ttmp6, 0x4000c
	s_min_i32 s19, s6, 24
	s_add_co_i32 s10, s10, 1
	s_and_b32 s11, ttmp6, 15
	s_mul_i32 s10, ttmp9, s10
	s_add_co_i32 s9, s9, -1
	s_add_co_i32 s22, s19, -1
	s_add_co_i32 s11, s11, s10
	s_cmp_eq_u32 s8, 0
	s_cselect_b32 s8, ttmp9, s11
	s_delay_alu instid0(SALU_CYCLE_1) | instskip(NEXT) | instid1(SALU_CYCLE_1)
	s_mul_i32 s10, s8, 0xffffffe8
	s_add_co_i32 s7, s7, s10
	s_cmp_ge_u32 s8, s9
	s_mul_i32 s8, s8, 24
	s_cselect_b32 s30, s7, 24
	s_ashr_i32 s9, s8, 31
	s_cmp_lg_u32 s5, 0x84
	v_lshl_add_u64 v[2:3], s[8:9], 4, v[8:9]
	s_cselect_b32 s23, -1, 0
	s_cmp_gt_i32 s6, 0
	v_cmp_gt_i32_e32 vcc_lo, s30, v0
	s_cselect_b32 s31, -1, 0
	s_cmp_lg_u32 s4, 0x6f
	s_cselect_b32 s24, -1, 0
	s_lshl_b64 s[4:5], s[16:17], 4
	s_delay_alu instid0(SALU_CYCLE_1) | instskip(SKIP_3) | instid1(VALU_DEP_1)
	s_add_nc_u64 s[4:5], s[14:15], s[4:5]
	s_lshl_b64 s[14:15], s[28:29], 4
	v_mad_nc_u64_u32 v[10:11], v2, s18, s[4:5]
	s_load_b256 s[4:11], s[0:1], 0x18
	v_mad_u32 v1, v3, s18, v11
	s_or_b32 s18, 0, 8
	s_wait_kmcnt 0x0
	s_lshl_b64 s[0:1], s[10:11], 4
	s_delay_alu instid0(VALU_DEP_1)
	v_mad_u32 v11, v2, s25, v1
	s_add_nc_u64 s[0:1], s[8:9], s[0:1]
	v_mul_u32_u24_e32 v1, 0x180, v0
	v_add_nc_u64_e32 v[2:3], s[0:1], v[8:9]
	v_or_b32_e32 v9, 0x2400, v8
	v_cmp_gt_i32_e64 s0, s19, v0
	s_mul_i32 s25, s19, 0x180
	v_add_nc_u32_e32 v16, v8, v1
	s_and_b32 s1, vcc_lo, s31
	s_lshl_b64 s[8:9], s[12:13], 4
	v_add_nc_u64_e32 v[12:13], 8, v[2:3]
	v_add_nc_u64_e32 v[14:15], 8, v[10:11]
	s_lshl_b64 s[10:11], s[26:27], 4
	s_addk_co_i32 s25, 0xfe80
	s_get_pc_i64 s[12:13]
	s_add_nc_u64 s[12:13], s[12:13], __const._ZL38rocblas_trsm_small_left_device_sharedBILi24ELi24ELb0E19rocblas_complex_numIdES1_PKS1_PS1_Ev13rocblas_fill_18rocblas_operation_17rocblas_diagonal_iiT3_T4_lilT5_lili.step_sizes@rel64+4
	s_branch .LBB224_3
.LBB224_2:                              ;   in Loop: Header=BB224_3 Depth=1
	s_or_b32 exec_lo, exec_lo, s26
	s_add_co_i32 s20, s20, 0x10000
	s_delay_alu instid0(SALU_CYCLE_1)
	s_cmp_lt_u32 s20, s3
	s_cbranch_scc0 .LBB224_62
.LBB224_3:                              ; =>This Loop Header: Depth=1
                                        ;     Child Loop BB224_5 Depth 2
                                        ;     Child Loop BB224_16 Depth 2
                                        ;     Child Loop BB224_20 Depth 2
                                        ;       Child Loop BB224_23 Depth 3
                                        ;         Child Loop BB224_24 Depth 4
                                        ;         Child Loop BB224_27 Depth 4
                                        ;           Child Loop BB224_28 Depth 5
                                        ;         Child Loop BB224_32 Depth 4
                                        ;           Child Loop BB224_34 Depth 5
                                        ;     Child Loop BB224_42 Depth 2
                                        ;       Child Loop BB224_45 Depth 3
                                        ;         Child Loop BB224_46 Depth 4
                                        ;         Child Loop BB224_48 Depth 4
                                        ;           Child Loop BB224_49 Depth 5
                                        ;         Child Loop BB224_53 Depth 4
                                        ;           Child Loop BB224_55 Depth 5
                                        ;     Child Loop BB224_61 Depth 2
	s_and_saveexec_b32 s16, s0
	s_cbranch_execz .LBB224_14
; %bb.4:                                ;   in Loop: Header=BB224_3 Depth=1
	v_mad_nc_u64_u32 v[0:1], s8, s20, v[12:13]
	v_mov_b32_e32 v2, v8
	s_mov_b32 s17, s19
	s_delay_alu instid0(VALU_DEP_2)
	v_mad_u32 v1, s9, s20, v1
.LBB224_5:                              ;   Parent Loop BB224_3 Depth=1
                                        ; =>  This Inner Loop Header: Depth=2
	global_load_b128 v[4:7], v[0:1], off offset:-8
	s_wait_xcnt 0x0
	v_add_nc_u64_e32 v[0:1], s[10:11], v[0:1]
	s_add_co_i32 s17, s17, -1
	s_delay_alu instid0(SALU_CYCLE_1) | instskip(SKIP_2) | instid1(VALU_DEP_1)
	s_cmp_eq_u32 s17, 0
	s_wait_loadcnt 0x0
	v_xor_b32_e32 v3, 0x80000000, v7
	v_cndmask_b32_e64 v7, v7, v3, s2
	ds_store_b128 v2, v[4:7]
	v_add_nc_u32_e32 v2, 0x180, v2
	s_cbranch_scc0 .LBB224_5
; %bb.6:                                ;   in Loop: Header=BB224_3 Depth=1
	s_and_b32 vcc_lo, exec_lo, s23
	s_cbranch_vccz .LBB224_12
; %bb.7:                                ;   in Loop: Header=BB224_3 Depth=1
	ds_load_b128 v[0:3], v16
                                        ; implicit-def: $vgpr6_vgpr7
	s_wait_dscnt 0x0
	v_cmp_ngt_f64_e64 s17, |v[0:1]|, |v[2:3]|
	s_and_saveexec_b32 s26, s17
	s_delay_alu instid0(SALU_CYCLE_1)
	s_xor_b32 s17, exec_lo, s26
	s_cbranch_execz .LBB224_9
; %bb.8:                                ;   in Loop: Header=BB224_3 Depth=1
	v_div_scale_f64 v[4:5], null, v[2:3], v[2:3], v[0:1]
	v_div_scale_f64 v[20:21], vcc_lo, v[0:1], v[2:3], v[0:1]
	s_delay_alu instid0(VALU_DEP_2) | instskip(SKIP_1) | instid1(TRANS32_DEP_1)
	v_rcp_f64_e32 v[6:7], v[4:5]
	v_nop
	v_fma_f64 v[18:19], -v[4:5], v[6:7], 1.0
	s_delay_alu instid0(VALU_DEP_1) | instskip(NEXT) | instid1(VALU_DEP_1)
	v_fmac_f64_e32 v[6:7], v[6:7], v[18:19]
	v_fma_f64 v[18:19], -v[4:5], v[6:7], 1.0
	s_delay_alu instid0(VALU_DEP_1) | instskip(NEXT) | instid1(VALU_DEP_1)
	v_fmac_f64_e32 v[6:7], v[6:7], v[18:19]
	v_mul_f64_e32 v[18:19], v[20:21], v[6:7]
	s_delay_alu instid0(VALU_DEP_1) | instskip(NEXT) | instid1(VALU_DEP_1)
	v_fma_f64 v[4:5], -v[4:5], v[18:19], v[20:21]
	v_div_fmas_f64 v[4:5], v[4:5], v[6:7], v[18:19]
	s_delay_alu instid0(VALU_DEP_1) | instskip(NEXT) | instid1(VALU_DEP_1)
	v_div_fixup_f64 v[4:5], v[4:5], v[2:3], v[0:1]
	v_fmac_f64_e32 v[2:3], v[0:1], v[4:5]
	s_delay_alu instid0(VALU_DEP_1) | instskip(SKIP_1) | instid1(VALU_DEP_2)
	v_div_scale_f64 v[0:1], null, v[2:3], v[2:3], 1.0
	v_div_scale_f64 v[20:21], vcc_lo, 1.0, v[2:3], 1.0
	v_rcp_f64_e32 v[6:7], v[0:1]
	v_nop
	s_delay_alu instid0(TRANS32_DEP_1) | instskip(NEXT) | instid1(VALU_DEP_1)
	v_fma_f64 v[18:19], -v[0:1], v[6:7], 1.0
	v_fmac_f64_e32 v[6:7], v[6:7], v[18:19]
	s_delay_alu instid0(VALU_DEP_1) | instskip(NEXT) | instid1(VALU_DEP_1)
	v_fma_f64 v[18:19], -v[0:1], v[6:7], 1.0
	v_fmac_f64_e32 v[6:7], v[6:7], v[18:19]
	s_delay_alu instid0(VALU_DEP_1) | instskip(NEXT) | instid1(VALU_DEP_1)
	v_mul_f64_e32 v[18:19], v[20:21], v[6:7]
	v_fma_f64 v[0:1], -v[0:1], v[18:19], v[20:21]
	s_delay_alu instid0(VALU_DEP_1) | instskip(SKIP_1) | instid1(VALU_DEP_2)
	v_div_fmas_f64 v[0:1], v[0:1], v[6:7], v[18:19]
	v_add_f64_e32 v[6:7], 0, v[4:5]
	v_div_fixup_f64 v[0:1], v[0:1], v[2:3], 1.0
	v_fma_f64 v[2:3], v[4:5], 0, -1.0
	s_delay_alu instid0(VALU_DEP_2) | instskip(NEXT) | instid1(VALU_DEP_2)
	v_mul_f64_e32 v[4:5], v[6:7], v[0:1]
	v_mul_f64_e32 v[6:7], v[2:3], v[0:1]
                                        ; implicit-def: $vgpr0_vgpr1
.LBB224_9:                              ;   in Loop: Header=BB224_3 Depth=1
	s_and_not1_saveexec_b32 s17, s17
	s_cbranch_execz .LBB224_11
; %bb.10:                               ;   in Loop: Header=BB224_3 Depth=1
	v_div_scale_f64 v[4:5], null, v[0:1], v[0:1], v[2:3]
	v_div_scale_f64 v[20:21], vcc_lo, v[2:3], v[0:1], v[2:3]
	s_delay_alu instid0(VALU_DEP_2) | instskip(SKIP_1) | instid1(TRANS32_DEP_1)
	v_rcp_f64_e32 v[6:7], v[4:5]
	v_nop
	v_fma_f64 v[18:19], -v[4:5], v[6:7], 1.0
	s_delay_alu instid0(VALU_DEP_1) | instskip(NEXT) | instid1(VALU_DEP_1)
	v_fmac_f64_e32 v[6:7], v[6:7], v[18:19]
	v_fma_f64 v[18:19], -v[4:5], v[6:7], 1.0
	s_delay_alu instid0(VALU_DEP_1) | instskip(NEXT) | instid1(VALU_DEP_1)
	v_fmac_f64_e32 v[6:7], v[6:7], v[18:19]
	v_mul_f64_e32 v[18:19], v[20:21], v[6:7]
	s_delay_alu instid0(VALU_DEP_1) | instskip(NEXT) | instid1(VALU_DEP_1)
	v_fma_f64 v[4:5], -v[4:5], v[18:19], v[20:21]
	v_div_fmas_f64 v[4:5], v[4:5], v[6:7], v[18:19]
	s_delay_alu instid0(VALU_DEP_1) | instskip(NEXT) | instid1(VALU_DEP_1)
	v_div_fixup_f64 v[4:5], v[4:5], v[0:1], v[2:3]
	v_fmac_f64_e32 v[0:1], v[2:3], v[4:5]
	s_delay_alu instid0(VALU_DEP_1) | instskip(SKIP_1) | instid1(VALU_DEP_2)
	v_div_scale_f64 v[2:3], null, v[0:1], v[0:1], 1.0
	v_div_scale_f64 v[20:21], vcc_lo, 1.0, v[0:1], 1.0
	v_rcp_f64_e32 v[6:7], v[2:3]
	v_nop
	s_delay_alu instid0(TRANS32_DEP_1) | instskip(NEXT) | instid1(VALU_DEP_1)
	v_fma_f64 v[18:19], -v[2:3], v[6:7], 1.0
	v_fmac_f64_e32 v[6:7], v[6:7], v[18:19]
	s_delay_alu instid0(VALU_DEP_1) | instskip(NEXT) | instid1(VALU_DEP_1)
	v_fma_f64 v[18:19], -v[2:3], v[6:7], 1.0
	v_fmac_f64_e32 v[6:7], v[6:7], v[18:19]
	s_delay_alu instid0(VALU_DEP_1) | instskip(NEXT) | instid1(VALU_DEP_1)
	v_mul_f64_e32 v[18:19], v[20:21], v[6:7]
	v_fma_f64 v[2:3], -v[2:3], v[18:19], v[20:21]
	s_delay_alu instid0(VALU_DEP_1) | instskip(SKIP_1) | instid1(VALU_DEP_2)
	v_div_fmas_f64 v[2:3], v[2:3], v[6:7], v[18:19]
	v_fma_f64 v[6:7], v[4:5], 0, 1.0
	v_div_fixup_f64 v[0:1], v[2:3], v[0:1], 1.0
	v_add_f64_e64 v[2:3], -v[4:5], 0
	s_delay_alu instid0(VALU_DEP_2) | instskip(NEXT) | instid1(VALU_DEP_2)
	v_mul_f64_e32 v[4:5], v[6:7], v[0:1]
	v_mul_f64_e32 v[6:7], v[2:3], v[0:1]
.LBB224_11:                             ;   in Loop: Header=BB224_3 Depth=1
	s_or_b32 exec_lo, exec_lo, s17
	s_branch .LBB224_13
.LBB224_12:                             ;   in Loop: Header=BB224_3 Depth=1
	v_mov_b64_e32 v[6:7], 0
	v_mov_b64_e32 v[4:5], 1.0
.LBB224_13:                             ;   in Loop: Header=BB224_3 Depth=1
	ds_store_b128 v16, v[4:7]
.LBB224_14:                             ;   in Loop: Header=BB224_3 Depth=1
	s_or_b32 exec_lo, exec_lo, s16
	s_mul_u64 s[16:17], s[14:15], s[20:21]
	s_and_saveexec_b32 s26, s1
	s_cbranch_execz .LBB224_17
; %bb.15:                               ;   in Loop: Header=BB224_3 Depth=1
	v_add_nc_u64_e32 v[0:1], s[16:17], v[14:15]
	v_mov_b32_e32 v2, v9
	s_mov_b32 s27, s19
.LBB224_16:                             ;   Parent Loop BB224_3 Depth=1
                                        ; =>  This Inner Loop Header: Depth=2
	global_load_b128 v[4:7], v[0:1], off offset:-8
	s_wait_xcnt 0x0
	v_add_nc_u64_e32 v[0:1], 16, v[0:1]
	s_add_co_i32 s27, s27, -1
	s_delay_alu instid0(SALU_CYCLE_1) | instskip(SKIP_3) | instid1(VALU_DEP_2)
	s_cmp_lg_u32 s27, 0
	s_wait_loadcnt 0x0
	v_mul_f64_e32 v[18:19], s[6:7], v[6:7]
	v_mul_f64_e32 v[20:21], s[4:5], v[6:7]
	v_fma_f64 v[18:19], s[4:5], v[4:5], -v[18:19]
	s_delay_alu instid0(VALU_DEP_2)
	v_fmac_f64_e32 v[20:21], s[6:7], v[4:5]
	ds_store_b128 v2, v[18:21]
	v_add_nc_u32_e32 v2, 0x180, v2
	s_cbranch_scc1 .LBB224_16
.LBB224_17:                             ;   in Loop: Header=BB224_3 Depth=1
	s_or_b32 exec_lo, exec_lo, s26
	s_delay_alu instid0(SALU_CYCLE_1)
	s_and_not1_b32 vcc_lo, exec_lo, s24
	s_mov_b32 s26, -1
	s_wait_dscnt 0x0
	; wave barrier
	s_cbranch_vccnz .LBB224_39
; %bb.18:                               ;   in Loop: Header=BB224_3 Depth=1
	s_mov_b32 s27, 0
	s_mov_b32 s26, 0
	s_branch .LBB224_20
.LBB224_19:                             ;   in Loop: Header=BB224_20 Depth=2
	s_cmp_lt_i32 s26, s19
	s_cselect_b32 s28, -1, 0
	s_add_co_i32 s29, s27, 1
	s_cmp_lt_u32 s27, 2
	s_wait_xcnt 0x0
	s_cselect_b32 s27, -1, 0
	s_delay_alu instid0(SALU_CYCLE_1) | instskip(NEXT) | instid1(SALU_CYCLE_1)
	s_and_b32 s27, s28, s27
	s_and_b32 vcc_lo, exec_lo, s27
	s_mov_b32 s27, s29
	s_cbranch_vccz .LBB224_38
.LBB224_20:                             ;   Parent Loop BB224_3 Depth=1
                                        ; =>  This Loop Header: Depth=2
                                        ;       Child Loop BB224_23 Depth 3
                                        ;         Child Loop BB224_24 Depth 4
                                        ;         Child Loop BB224_27 Depth 4
                                        ;           Child Loop BB224_28 Depth 5
                                        ;         Child Loop BB224_32 Depth 4
                                        ;           Child Loop BB224_34 Depth 5
	s_load_b32 s28, s[12:13], s27 offset:0x0 scale_offset
	s_wait_kmcnt 0x0
	s_add_co_i32 s29, s28, -1
	s_delay_alu instid0(SALU_CYCLE_1) | instskip(NEXT) | instid1(SALU_CYCLE_1)
	s_add_co_i32 s30, s29, s26
	s_cmp_ge_i32 s30, s19
	s_cbranch_scc1 .LBB224_19
; %bb.21:                               ;   in Loop: Header=BB224_20 Depth=2
	s_mul_i32 s30, s26, 0x180
	s_max_i32 s31, s28, 1
	v_add_nc_u32_e32 v4, s30, v9
	s_mul_i32 s33, s28, 0x180
	s_mul_i32 s34, s26, 0x190
	;; [unrolled: 1-line block ×3, first 2 shown]
	s_branch .LBB224_23
.LBB224_22:                             ;   in Loop: Header=BB224_23 Depth=3
	s_add_co_i32 s26, s26, s28
	v_add_nc_u32_e32 v4, s33, v4
	s_add_co_i32 s36, s29, s26
	s_add_co_i32 s30, s30, s33
	;; [unrolled: 1-line block ×3, first 2 shown]
	s_cmp_ge_i32 s36, s19
	s_cbranch_scc1 .LBB224_19
.LBB224_23:                             ;   Parent Loop BB224_3 Depth=1
                                        ;     Parent Loop BB224_20 Depth=2
                                        ; =>    This Loop Header: Depth=3
                                        ;         Child Loop BB224_24 Depth 4
                                        ;         Child Loop BB224_27 Depth 4
                                        ;           Child Loop BB224_28 Depth 5
                                        ;         Child Loop BB224_32 Depth 4
                                        ;           Child Loop BB224_34 Depth 5
	v_mov_b32_e32 v0, v4
	s_mov_b32 s36, 0
	s_mov_b32 s37, s31
.LBB224_24:                             ;   Parent Loop BB224_3 Depth=1
                                        ;     Parent Loop BB224_20 Depth=2
                                        ;       Parent Loop BB224_23 Depth=3
                                        ; =>      This Inner Loop Header: Depth=4
	ds_load_b128 v[18:21], v0
	v_add_nc_u32_e32 v0, 0x180, v0
	s_add_co_i32 s37, s37, -1
	s_wait_dscnt 0x0
	scratch_store_b128 off, v[18:21], s36
	s_wait_xcnt 0x0
	s_add_co_i32 s36, s36, 16
	s_cmp_eq_u32 s37, 0
	s_cbranch_scc0 .LBB224_24
; %bb.25:                               ;   in Loop: Header=BB224_23 Depth=3
	s_cmp_lt_i32 s26, 1
	s_cbranch_scc1 .LBB224_30
; %bb.26:                               ;   in Loop: Header=BB224_23 Depth=3
	s_mov_b32 s36, 0
	s_mov_b32 s37, s30
.LBB224_27:                             ;   Parent Loop BB224_3 Depth=1
                                        ;     Parent Loop BB224_20 Depth=2
                                        ;       Parent Loop BB224_23 Depth=3
                                        ; =>      This Loop Header: Depth=4
                                        ;           Child Loop BB224_28 Depth 5
	v_mad_u32 v0, 0x180, s36, v9
	s_mov_b32 s38, s18
	s_mov_b32 s39, s37
	;; [unrolled: 1-line block ×3, first 2 shown]
	ds_load_b128 v[0:3], v0
.LBB224_28:                             ;   Parent Loop BB224_3 Depth=1
                                        ;     Parent Loop BB224_20 Depth=2
                                        ;       Parent Loop BB224_23 Depth=3
                                        ;         Parent Loop BB224_27 Depth=4
                                        ; =>        This Inner Loop Header: Depth=5
	scratch_load_b128 v[18:21], off, s38 offset:-8
	v_mov_b32_e32 v5, s39
	s_add_co_i32 s40, s40, -1
	s_addk_co_i32 s39, 0x180
	ds_load_b128 v[22:25], v5
	s_wait_dscnt 0x0
	v_mul_f64_e32 v[6:7], v[2:3], v[24:25]
	v_mul_f64_e32 v[24:25], v[0:1], v[24:25]
	s_delay_alu instid0(VALU_DEP_2) | instskip(NEXT) | instid1(VALU_DEP_2)
	v_fma_f64 v[6:7], v[0:1], v[22:23], -v[6:7]
	v_fmac_f64_e32 v[24:25], v[2:3], v[22:23]
	s_wait_loadcnt 0x0
	s_delay_alu instid0(VALU_DEP_2) | instskip(NEXT) | instid1(VALU_DEP_2)
	v_add_f64_e64 v[18:19], v[18:19], -v[6:7]
	v_add_f64_e64 v[20:21], v[20:21], -v[24:25]
	scratch_store_b128 off, v[18:21], s38 offset:-8
	s_wait_xcnt 0x0
	s_add_co_i32 s38, s38, 16
	s_cmp_eq_u32 s40, 0
	s_cbranch_scc0 .LBB224_28
; %bb.29:                               ;   in Loop: Header=BB224_27 Depth=4
	s_add_co_i32 s36, s36, 1
	s_add_co_i32 s37, s37, 16
	s_cmp_eq_u32 s36, s26
	s_cbranch_scc0 .LBB224_27
.LBB224_30:                             ;   in Loop: Header=BB224_23 Depth=3
	s_mul_i32 s36, s26, 0x180
	s_mov_b32 s37, 0
	s_mov_b32 s38, s34
	s_branch .LBB224_32
.LBB224_31:                             ;   in Loop: Header=BB224_32 Depth=4
	s_wait_xcnt 0x0
	s_mulk_i32 s40, 0x190
	s_addk_co_i32 s38, 0x180
	v_mov_b32_e32 v5, s40
	s_lshl_b32 s40, s37, 4
	s_add_co_i32 s37, s37, 1
	s_delay_alu instid0(SALU_CYCLE_1) | instskip(SKIP_4) | instid1(VALU_DEP_2)
	s_cmp_eq_u32 s37, s31
	ds_load_b128 v[18:21], v5
	s_wait_loadcnt_dscnt 0x0
	v_mul_f64_e32 v[6:7], v[20:21], v[2:3]
	v_mul_f64_e32 v[24:25], v[18:19], v[2:3]
	v_fma_f64 v[22:23], v[18:19], v[0:1], -v[6:7]
	s_delay_alu instid0(VALU_DEP_2)
	v_fmac_f64_e32 v[24:25], v[20:21], v[0:1]
	v_add_nc_u32_e32 v0, s39, v9
	scratch_store_b128 off, v[22:25], s40
	ds_store_b128 v0, v[22:25]
	s_cbranch_scc1 .LBB224_22
.LBB224_32:                             ;   Parent Loop BB224_3 Depth=1
                                        ;     Parent Loop BB224_20 Depth=2
                                        ;       Parent Loop BB224_23 Depth=3
                                        ; =>      This Loop Header: Depth=4
                                        ;           Child Loop BB224_34 Depth 5
	s_cmp_lg_u32 s37, 0
	s_cbranch_scc0 .LBB224_36
; %bb.33:                               ;   in Loop: Header=BB224_32 Depth=4
	s_lshl_b32 s41, s37, 4
	s_wait_xcnt 0x0
	s_add_co_i32 s40, s37, s26
	scratch_load_b128 v[0:3], off, s41
	s_mul_i32 s39, s40, 0x180
	s_mov_b32 s42, s38
	s_mov_b32 s43, s18
	;; [unrolled: 1-line block ×3, first 2 shown]
.LBB224_34:                             ;   Parent Loop BB224_3 Depth=1
                                        ;     Parent Loop BB224_20 Depth=2
                                        ;       Parent Loop BB224_23 Depth=3
                                        ;         Parent Loop BB224_32 Depth=4
                                        ; =>        This Inner Loop Header: Depth=5
	scratch_load_b128 v[18:21], off, s43 offset:-8
	v_mov_b32_e32 v5, s42
	s_add_co_i32 s44, s44, -1
	s_wait_xcnt 0x0
	s_add_co_i32 s43, s43, 16
	s_add_co_i32 s42, s42, 16
	s_cmp_eq_u32 s44, 0
	ds_load_b128 v[22:25], v5
	s_wait_loadcnt_dscnt 0x0
	v_mul_f64_e32 v[6:7], v[24:25], v[20:21]
	v_mul_f64_e32 v[20:21], v[22:23], v[20:21]
	s_delay_alu instid0(VALU_DEP_2) | instskip(NEXT) | instid1(VALU_DEP_2)
	v_fma_f64 v[6:7], v[22:23], v[18:19], -v[6:7]
	v_fmac_f64_e32 v[20:21], v[24:25], v[18:19]
	s_delay_alu instid0(VALU_DEP_2) | instskip(NEXT) | instid1(VALU_DEP_2)
	v_add_f64_e64 v[0:1], v[0:1], -v[6:7]
	v_add_f64_e64 v[2:3], v[2:3], -v[20:21]
	scratch_store_b128 off, v[0:3], s41
	s_cbranch_scc0 .LBB224_34
; %bb.35:                               ;   in Loop: Header=BB224_32 Depth=4
	s_wait_xcnt 0x0
	s_branch .LBB224_31
.LBB224_36:                             ;   in Loop: Header=BB224_32 Depth=4
                                        ; implicit-def: $vgpr0_vgpr1
                                        ; implicit-def: $sgpr40
                                        ; implicit-def: $sgpr39
	s_cbranch_execz .LBB224_31
; %bb.37:                               ;   in Loop: Header=BB224_32 Depth=4
	scratch_load_b128 v[0:3], off, off
	s_mov_b32 s39, s36
	s_wait_xcnt 0x1
	s_mov_b32 s40, s26
	s_branch .LBB224_31
.LBB224_38:                             ;   in Loop: Header=BB224_3 Depth=1
	s_mov_b32 s26, 0
.LBB224_39:                             ;   in Loop: Header=BB224_3 Depth=1
	s_delay_alu instid0(SALU_CYCLE_1)
	s_and_b32 vcc_lo, exec_lo, s26
	s_cbranch_vccz .LBB224_59
; %bb.40:                               ;   in Loop: Header=BB224_3 Depth=1
	s_mov_b32 s27, 0
	s_mov_b32 s26, s22
	s_branch .LBB224_42
.LBB224_41:                             ;   in Loop: Header=BB224_42 Depth=2
	s_cmp_gt_i32 s26, -1
	s_cselect_b32 s28, -1, 0
	s_add_co_i32 s29, s27, 1
	s_cmp_lt_u32 s27, 2
	s_wait_xcnt 0x0
	s_cselect_b32 s27, -1, 0
	s_delay_alu instid0(SALU_CYCLE_1) | instskip(NEXT) | instid1(SALU_CYCLE_1)
	s_and_b32 s27, s28, s27
	s_and_not1_b32 vcc_lo, exec_lo, s27
	s_mov_b32 s27, s29
	s_cbranch_vccnz .LBB224_59
.LBB224_42:                             ;   Parent Loop BB224_3 Depth=1
                                        ; =>  This Loop Header: Depth=2
                                        ;       Child Loop BB224_45 Depth 3
                                        ;         Child Loop BB224_46 Depth 4
                                        ;         Child Loop BB224_48 Depth 4
                                        ;           Child Loop BB224_49 Depth 5
                                        ;         Child Loop BB224_53 Depth 4
                                        ;           Child Loop BB224_55 Depth 5
	s_load_b32 s28, s[12:13], s27 offset:0x0 scale_offset
	s_wait_kmcnt 0x0
	s_add_co_i32 s29, s28, -1
	s_delay_alu instid0(SALU_CYCLE_1)
	s_cmp_lt_i32 s26, s29
	s_cbranch_scc1 .LBB224_41
; %bb.43:                               ;   in Loop: Header=BB224_42 Depth=2
	v_mad_u32 v4, 0x180, s26, v9
	s_lshl_b32 s33, s26, 4
	s_lshl_b32 s34, s28, 4
	s_max_i32 s30, s28, 1
	s_mul_i32 s31, s28, 0xfffffe80
	s_add_co_i32 s33, s25, s33
	s_sub_co_i32 s34, 0, s34
	s_mul_i32 s35, s26, 0x190
	s_mul_i32 s36, s28, 0xfffffe70
	s_branch .LBB224_45
.LBB224_44:                             ;   in Loop: Header=BB224_45 Depth=3
	v_add_nc_u32_e32 v4, s31, v4
	s_sub_co_i32 s26, s26, s28
	s_add_co_i32 s33, s33, s34
	s_add_co_i32 s35, s35, s36
	s_cmp_lt_i32 s26, s29
	s_cbranch_scc1 .LBB224_41
.LBB224_45:                             ;   Parent Loop BB224_3 Depth=1
                                        ;     Parent Loop BB224_42 Depth=2
                                        ; =>    This Loop Header: Depth=3
                                        ;         Child Loop BB224_46 Depth 4
                                        ;         Child Loop BB224_48 Depth 4
                                        ;           Child Loop BB224_49 Depth 5
                                        ;         Child Loop BB224_53 Depth 4
                                        ;           Child Loop BB224_55 Depth 5
	s_delay_alu instid0(VALU_DEP_1)
	v_mov_b32_e32 v0, v4
	s_mov_b32 s37, 0
	s_mov_b32 s38, s30
.LBB224_46:                             ;   Parent Loop BB224_3 Depth=1
                                        ;     Parent Loop BB224_42 Depth=2
                                        ;       Parent Loop BB224_45 Depth=3
                                        ; =>      This Inner Loop Header: Depth=4
	ds_load_b128 v[18:21], v0
	v_add_nc_u32_e32 v0, 0xfffffe80, v0
	s_add_co_i32 s38, s38, -1
	s_wait_dscnt 0x0
	scratch_store_b128 off, v[18:21], s37
	s_wait_xcnt 0x0
	s_add_co_i32 s37, s37, 16
	s_cmp_eq_u32 s38, 0
	s_cbranch_scc0 .LBB224_46
; %bb.47:                               ;   in Loop: Header=BB224_45 Depth=3
	s_cmp_le_i32 s22, s26
	s_mov_b32 s37, s33
	s_mov_b32 s38, s22
	s_cbranch_scc1 .LBB224_51
.LBB224_48:                             ;   Parent Loop BB224_3 Depth=1
                                        ;     Parent Loop BB224_42 Depth=2
                                        ;       Parent Loop BB224_45 Depth=3
                                        ; =>      This Loop Header: Depth=4
                                        ;           Child Loop BB224_49 Depth 5
	v_mad_u32 v0, 0x180, s38, v9
	s_mov_b32 s39, s18
	s_mov_b32 s40, s37
	;; [unrolled: 1-line block ×3, first 2 shown]
	ds_load_b128 v[0:3], v0
.LBB224_49:                             ;   Parent Loop BB224_3 Depth=1
                                        ;     Parent Loop BB224_42 Depth=2
                                        ;       Parent Loop BB224_45 Depth=3
                                        ;         Parent Loop BB224_48 Depth=4
                                        ; =>        This Inner Loop Header: Depth=5
	scratch_load_b128 v[18:21], off, s39 offset:-8
	v_mov_b32_e32 v5, s40
	s_add_co_i32 s41, s41, -1
	s_add_co_i32 s40, s40, -16
	ds_load_b128 v[22:25], v5
	s_wait_dscnt 0x0
	v_mul_f64_e32 v[6:7], v[2:3], v[24:25]
	v_mul_f64_e32 v[24:25], v[0:1], v[24:25]
	s_delay_alu instid0(VALU_DEP_2) | instskip(NEXT) | instid1(VALU_DEP_2)
	v_fma_f64 v[6:7], v[0:1], v[22:23], -v[6:7]
	v_fmac_f64_e32 v[24:25], v[2:3], v[22:23]
	s_wait_loadcnt 0x0
	s_delay_alu instid0(VALU_DEP_2) | instskip(NEXT) | instid1(VALU_DEP_2)
	v_add_f64_e64 v[18:19], v[18:19], -v[6:7]
	v_add_f64_e64 v[20:21], v[20:21], -v[24:25]
	scratch_store_b128 off, v[18:21], s39 offset:-8
	s_wait_xcnt 0x0
	s_add_co_i32 s39, s39, 16
	s_cmp_eq_u32 s41, 0
	s_cbranch_scc0 .LBB224_49
; %bb.50:                               ;   in Loop: Header=BB224_48 Depth=4
	s_add_co_i32 s38, s38, -1
	s_addk_co_i32 s37, 0xfe80
	s_cmp_le_i32 s38, s26
	s_cbranch_scc0 .LBB224_48
.LBB224_51:                             ;   in Loop: Header=BB224_45 Depth=3
	s_mov_b32 s37, 0
	s_mov_b32 s38, s35
	s_branch .LBB224_53
.LBB224_52:                             ;   in Loop: Header=BB224_53 Depth=4
	s_mul_i32 s40, s39, 0x190
	s_add_co_i32 s38, s38, -16
	v_mov_b32_e32 v5, s40
	ds_load_b128 v[18:21], v5
	s_wait_loadcnt_dscnt 0x0
	v_mul_f64_e32 v[6:7], v[20:21], v[2:3]
	s_wait_xcnt 0x0
	v_mul_f64_e32 v[24:25], v[18:19], v[2:3]
	s_delay_alu instid0(VALU_DEP_2) | instskip(NEXT) | instid1(VALU_DEP_2)
	v_fma_f64 v[22:23], v[18:19], v[0:1], -v[6:7]
	v_fmac_f64_e32 v[24:25], v[20:21], v[0:1]
	v_mad_u32 v0, 0x180, s39, v9
	s_lshl_b32 s39, s37, 4
	s_add_co_i32 s37, s37, 1
	s_delay_alu instid0(SALU_CYCLE_1)
	s_cmp_eq_u32 s37, s30
	scratch_store_b128 off, v[22:25], s39
	ds_store_b128 v0, v[22:25]
	s_cbranch_scc1 .LBB224_44
.LBB224_53:                             ;   Parent Loop BB224_3 Depth=1
                                        ;     Parent Loop BB224_42 Depth=2
                                        ;       Parent Loop BB224_45 Depth=3
                                        ; =>      This Loop Header: Depth=4
                                        ;           Child Loop BB224_55 Depth 5
	s_cmp_lg_u32 s37, 0
	s_cbranch_scc0 .LBB224_57
; %bb.54:                               ;   in Loop: Header=BB224_53 Depth=4
	s_lshl_b32 s40, s37, 4
	s_wait_xcnt 0x0
	s_sub_co_i32 s39, s26, s37
	scratch_load_b128 v[0:3], off, s40
	s_mov_b32 s41, s18
	s_mov_b32 s42, s38
	;; [unrolled: 1-line block ×3, first 2 shown]
.LBB224_55:                             ;   Parent Loop BB224_3 Depth=1
                                        ;     Parent Loop BB224_42 Depth=2
                                        ;       Parent Loop BB224_45 Depth=3
                                        ;         Parent Loop BB224_53 Depth=4
                                        ; =>        This Inner Loop Header: Depth=5
	scratch_load_b128 v[18:21], off, s41 offset:-8
	v_mov_b32_e32 v5, s42
	s_add_co_i32 s43, s43, -1
	s_addk_co_i32 s42, 0xfe80
	s_wait_xcnt 0x0
	s_add_co_i32 s41, s41, 16
	s_cmp_eq_u32 s43, 0
	ds_load_b128 v[22:25], v5
	s_wait_loadcnt_dscnt 0x0
	v_mul_f64_e32 v[6:7], v[24:25], v[20:21]
	v_mul_f64_e32 v[20:21], v[22:23], v[20:21]
	s_delay_alu instid0(VALU_DEP_2) | instskip(NEXT) | instid1(VALU_DEP_2)
	v_fma_f64 v[6:7], v[22:23], v[18:19], -v[6:7]
	v_fmac_f64_e32 v[20:21], v[24:25], v[18:19]
	s_delay_alu instid0(VALU_DEP_2) | instskip(NEXT) | instid1(VALU_DEP_2)
	v_add_f64_e64 v[0:1], v[0:1], -v[6:7]
	v_add_f64_e64 v[2:3], v[2:3], -v[20:21]
	scratch_store_b128 off, v[0:3], s40
	s_cbranch_scc0 .LBB224_55
; %bb.56:                               ;   in Loop: Header=BB224_53 Depth=4
	s_wait_xcnt 0x0
	s_branch .LBB224_52
.LBB224_57:                             ;   in Loop: Header=BB224_53 Depth=4
                                        ; implicit-def: $vgpr0_vgpr1
                                        ; implicit-def: $sgpr39
	s_cbranch_execz .LBB224_52
; %bb.58:                               ;   in Loop: Header=BB224_53 Depth=4
	scratch_load_b128 v[0:3], off, off
	s_wait_xcnt 0x1
	s_mov_b32 s39, s26
	s_branch .LBB224_52
.LBB224_59:                             ;   in Loop: Header=BB224_3 Depth=1
	; wave barrier
	s_wait_storecnt_dscnt 0x0
	s_wait_xcnt 0x0
	s_and_saveexec_b32 s26, s1
	s_cbranch_execz .LBB224_2
; %bb.60:                               ;   in Loop: Header=BB224_3 Depth=1
	v_add_nc_u64_e32 v[0:1], s[16:17], v[10:11]
	v_mov_b32_e32 v2, v9
	s_mov_b32 s16, s19
.LBB224_61:                             ;   Parent Loop BB224_3 Depth=1
                                        ; =>  This Inner Loop Header: Depth=2
	ds_load_2addr_b64 v[4:7], v2 offset1:1
	v_add_nc_u32_e32 v2, 0x180, v2
	s_add_co_i32 s16, s16, -1
	s_delay_alu instid0(SALU_CYCLE_1)
	s_cmp_lg_u32 s16, 0
	s_wait_dscnt 0x0
	global_store_b128 v[0:1], v[4:7], off
	s_wait_xcnt 0x0
	v_add_nc_u64_e32 v[0:1], 16, v[0:1]
	s_cbranch_scc1 .LBB224_61
	s_branch .LBB224_2
.LBB224_62:
	s_endpgm
	.section	.rodata,"a",@progbits
	.p2align	6, 0x0
	.amdhsa_kernel _ZL38rocblas_trsm_small_left_device_sharedBILi24ELi24ELb0E19rocblas_complex_numIdES1_PKS1_PS1_Ev13rocblas_fill_18rocblas_operation_17rocblas_diagonal_iiT3_T4_lilT5_lili
		.amdhsa_group_segment_fixed_size 18432
		.amdhsa_private_segment_fixed_size 400
		.amdhsa_kernarg_size 368
		.amdhsa_user_sgpr_count 2
		.amdhsa_user_sgpr_dispatch_ptr 0
		.amdhsa_user_sgpr_queue_ptr 0
		.amdhsa_user_sgpr_kernarg_segment_ptr 1
		.amdhsa_user_sgpr_dispatch_id 0
		.amdhsa_user_sgpr_kernarg_preload_length 0
		.amdhsa_user_sgpr_kernarg_preload_offset 0
		.amdhsa_user_sgpr_private_segment_size 0
		.amdhsa_wavefront_size32 1
		.amdhsa_uses_dynamic_stack 0
		.amdhsa_enable_private_segment 1
		.amdhsa_system_sgpr_workgroup_id_x 1
		.amdhsa_system_sgpr_workgroup_id_y 0
		.amdhsa_system_sgpr_workgroup_id_z 1
		.amdhsa_system_sgpr_workgroup_info 0
		.amdhsa_system_vgpr_workitem_id 0
		.amdhsa_next_free_vgpr 161
		.amdhsa_next_free_sgpr 45
		.amdhsa_named_barrier_count 0
		.amdhsa_reserve_vcc 1
		.amdhsa_float_round_mode_32 0
		.amdhsa_float_round_mode_16_64 0
		.amdhsa_float_denorm_mode_32 3
		.amdhsa_float_denorm_mode_16_64 3
		.amdhsa_fp16_overflow 0
		.amdhsa_memory_ordered 1
		.amdhsa_forward_progress 1
		.amdhsa_inst_pref_size 22
		.amdhsa_round_robin_scheduling 0
		.amdhsa_exception_fp_ieee_invalid_op 0
		.amdhsa_exception_fp_denorm_src 0
		.amdhsa_exception_fp_ieee_div_zero 0
		.amdhsa_exception_fp_ieee_overflow 0
		.amdhsa_exception_fp_ieee_underflow 0
		.amdhsa_exception_fp_ieee_inexact 0
		.amdhsa_exception_int_div_zero 0
	.end_amdhsa_kernel
	.section	.text._ZL38rocblas_trsm_small_left_device_sharedBILi24ELi24ELb0E19rocblas_complex_numIdES1_PKS1_PS1_Ev13rocblas_fill_18rocblas_operation_17rocblas_diagonal_iiT3_T4_lilT5_lili,"axG",@progbits,_ZL38rocblas_trsm_small_left_device_sharedBILi24ELi24ELb0E19rocblas_complex_numIdES1_PKS1_PS1_Ev13rocblas_fill_18rocblas_operation_17rocblas_diagonal_iiT3_T4_lilT5_lili,comdat
.Lfunc_end224:
	.size	_ZL38rocblas_trsm_small_left_device_sharedBILi24ELi24ELb0E19rocblas_complex_numIdES1_PKS1_PS1_Ev13rocblas_fill_18rocblas_operation_17rocblas_diagonal_iiT3_T4_lilT5_lili, .Lfunc_end224-_ZL38rocblas_trsm_small_left_device_sharedBILi24ELi24ELb0E19rocblas_complex_numIdES1_PKS1_PS1_Ev13rocblas_fill_18rocblas_operation_17rocblas_diagonal_iiT3_T4_lilT5_lili
                                        ; -- End function
	.set _ZL38rocblas_trsm_small_left_device_sharedBILi24ELi24ELb0E19rocblas_complex_numIdES1_PKS1_PS1_Ev13rocblas_fill_18rocblas_operation_17rocblas_diagonal_iiT3_T4_lilT5_lili.num_vgpr, 26
	.set _ZL38rocblas_trsm_small_left_device_sharedBILi24ELi24ELb0E19rocblas_complex_numIdES1_PKS1_PS1_Ev13rocblas_fill_18rocblas_operation_17rocblas_diagonal_iiT3_T4_lilT5_lili.num_agpr, 0
	.set _ZL38rocblas_trsm_small_left_device_sharedBILi24ELi24ELb0E19rocblas_complex_numIdES1_PKS1_PS1_Ev13rocblas_fill_18rocblas_operation_17rocblas_diagonal_iiT3_T4_lilT5_lili.numbered_sgpr, 45
	.set _ZL38rocblas_trsm_small_left_device_sharedBILi24ELi24ELb0E19rocblas_complex_numIdES1_PKS1_PS1_Ev13rocblas_fill_18rocblas_operation_17rocblas_diagonal_iiT3_T4_lilT5_lili.num_named_barrier, 0
	.set _ZL38rocblas_trsm_small_left_device_sharedBILi24ELi24ELb0E19rocblas_complex_numIdES1_PKS1_PS1_Ev13rocblas_fill_18rocblas_operation_17rocblas_diagonal_iiT3_T4_lilT5_lili.private_seg_size, 400
	.set _ZL38rocblas_trsm_small_left_device_sharedBILi24ELi24ELb0E19rocblas_complex_numIdES1_PKS1_PS1_Ev13rocblas_fill_18rocblas_operation_17rocblas_diagonal_iiT3_T4_lilT5_lili.uses_vcc, 1
	.set _ZL38rocblas_trsm_small_left_device_sharedBILi24ELi24ELb0E19rocblas_complex_numIdES1_PKS1_PS1_Ev13rocblas_fill_18rocblas_operation_17rocblas_diagonal_iiT3_T4_lilT5_lili.uses_flat_scratch, 0
	.set _ZL38rocblas_trsm_small_left_device_sharedBILi24ELi24ELb0E19rocblas_complex_numIdES1_PKS1_PS1_Ev13rocblas_fill_18rocblas_operation_17rocblas_diagonal_iiT3_T4_lilT5_lili.has_dyn_sized_stack, 0
	.set _ZL38rocblas_trsm_small_left_device_sharedBILi24ELi24ELb0E19rocblas_complex_numIdES1_PKS1_PS1_Ev13rocblas_fill_18rocblas_operation_17rocblas_diagonal_iiT3_T4_lilT5_lili.has_recursion, 0
	.set _ZL38rocblas_trsm_small_left_device_sharedBILi24ELi24ELb0E19rocblas_complex_numIdES1_PKS1_PS1_Ev13rocblas_fill_18rocblas_operation_17rocblas_diagonal_iiT3_T4_lilT5_lili.has_indirect_call, 0
	.section	.AMDGPU.csdata,"",@progbits
; Kernel info:
; codeLenInByte = 2752
; TotalNumSgprs: 47
; NumVgprs: 26
; ScratchSize: 400
; MemoryBound: 0
; FloatMode: 240
; IeeeMode: 1
; LDSByteSize: 18432 bytes/workgroup (compile time only)
; SGPRBlocks: 0
; VGPRBlocks: 10
; NumSGPRsForWavesPerEU: 47
; NumVGPRsForWavesPerEU: 161
; NamedBarCnt: 0
; Occupancy: 5
; WaveLimiterHint : 0
; COMPUTE_PGM_RSRC2:SCRATCH_EN: 1
; COMPUTE_PGM_RSRC2:USER_SGPR: 2
; COMPUTE_PGM_RSRC2:TRAP_HANDLER: 0
; COMPUTE_PGM_RSRC2:TGID_X_EN: 1
; COMPUTE_PGM_RSRC2:TGID_Y_EN: 0
; COMPUTE_PGM_RSRC2:TGID_Z_EN: 1
; COMPUTE_PGM_RSRC2:TIDIG_COMP_CNT: 0
	.section	.text._ZL30rocblas_trsm_small_left_deviceILi24ELi24ELb0E19rocblas_complex_numIdES1_PKS1_PS1_Ev13rocblas_fill_18rocblas_operation_17rocblas_diagonal_iiT3_T4_lilT5_lili,"axG",@progbits,_ZL30rocblas_trsm_small_left_deviceILi24ELi24ELb0E19rocblas_complex_numIdES1_PKS1_PS1_Ev13rocblas_fill_18rocblas_operation_17rocblas_diagonal_iiT3_T4_lilT5_lili,comdat
	.globl	_ZL30rocblas_trsm_small_left_deviceILi24ELi24ELb0E19rocblas_complex_numIdES1_PKS1_PS1_Ev13rocblas_fill_18rocblas_operation_17rocblas_diagonal_iiT3_T4_lilT5_lili ; -- Begin function _ZL30rocblas_trsm_small_left_deviceILi24ELi24ELb0E19rocblas_complex_numIdES1_PKS1_PS1_Ev13rocblas_fill_18rocblas_operation_17rocblas_diagonal_iiT3_T4_lilT5_lili
	.p2align	8
	.type	_ZL30rocblas_trsm_small_left_deviceILi24ELi24ELb0E19rocblas_complex_numIdES1_PKS1_PS1_Ev13rocblas_fill_18rocblas_operation_17rocblas_diagonal_iiT3_T4_lilT5_lili,@function
_ZL30rocblas_trsm_small_left_deviceILi24ELi24ELb0E19rocblas_complex_numIdES1_PKS1_PS1_Ev13rocblas_fill_18rocblas_operation_17rocblas_diagonal_iiT3_T4_lilT5_lili: ; @_ZL30rocblas_trsm_small_left_deviceILi24ELi24ELb0E19rocblas_complex_numIdES1_PKS1_PS1_Ev13rocblas_fill_18rocblas_operation_17rocblas_diagonal_iiT3_T4_lilT5_lili
; %bb.0:
	s_load_b32 s3, s[0:1], 0x68
	s_bfe_u32 s2, ttmp6, 0x40014
	s_lshr_b32 s5, ttmp7, 16
	s_add_co_i32 s2, s2, 1
	s_bfe_u32 s6, ttmp6, 0x40008
	s_mul_i32 s2, s5, s2
	s_getreg_b32 s4, hwreg(HW_REG_IB_STS2, 6, 4)
	s_add_co_i32 s6, s6, s2
	s_cmp_eq_u32 s4, 0
	s_mov_b32 s23, 0
	s_cselect_b32 s20, s5, s6
	s_wait_kmcnt 0x0
	s_cmp_ge_u32 s20, s3
	s_cbranch_scc1 .LBB225_59
; %bb.1:
	s_clause 0x5
	s_load_b32 s26, s[0:1], 0x38
	s_load_b96 s[8:10], s[0:1], 0x50
	s_load_b128 s[16:19], s[0:1], 0x4
	s_load_b32 s6, s[0:1], 0x70
	s_load_b64 s[24:25], s[0:1], 0x60
	s_load_b128 s[12:15], s[0:1], 0x40
	v_mov_b32_e32 v9, 0
	v_mul_u32_u24_e32 v1, 0x180, v0
	s_mov_b32 s39, 0
                                        ; implicit-def: $sgpr40
                                        ; implicit-def: $sgpr41
	v_lshlrev_b32_e32 v8, 4, v0
	s_wait_kmcnt 0x0
	s_ashr_i32 s27, s26, 31
	s_ashr_i32 s5, s10, 31
	s_cmp_eq_u32 s16, 0x71
	s_cselect_b32 s2, -1, 0
	s_bfe_u32 s7, ttmp6, 0x4000c
	s_min_i32 s33, s18, 24
	s_add_co_i32 s7, s7, 1
	s_add_co_i32 s18, s6, -1
	s_and_b32 s6, ttmp6, 15
	s_mul_i32 s7, ttmp9, s7
	s_lshl_b64 s[28:29], s[8:9], 4
	s_add_co_i32 s34, s33, -1
	s_add_co_i32 s6, s6, s7
	s_cmp_eq_u32 s4, 0
	s_mov_b32 s4, s10
	s_cselect_b32 s21, ttmp9, s6
	s_mul_i32 s38, s33, 0x180
	v_mad_u32 v2, s21, 24, v0
	s_delay_alu instid0(VALU_DEP_1) | instskip(NEXT) | instid1(VALU_DEP_1)
	v_ashrrev_i32_e32 v3, 31, v2
	v_mul_u64_e32 v[2:3], s[4:5], v[2:3]
	s_load_b256 s[4:11], s[0:1], 0x18
	s_wait_xcnt 0x0
	s_mul_i32 s0, s21, 0xffffffe8
	s_delay_alu instid0(SALU_CYCLE_1)
	s_add_co_i32 s0, s19, s0
	s_cmp_ge_u32 s21, s18
	s_cselect_b32 s18, s0, 24
	s_cmp_lg_u32 s17, 0x84
	s_cselect_b32 s35, -1, 0
	s_cmp_lg_u32 s16, 0x6f
	s_cselect_b32 s36, -1, 0
	s_or_b32 s37, 0, 8
	s_addk_co_i32 s38, 0xfe80
	s_wait_kmcnt 0x0
	s_lshl_b64 s[0:1], s[10:11], 4
	s_add_nc_u64 s[10:11], s[14:15], s[28:29]
	s_add_nc_u64 s[8:9], s[8:9], s[0:1]
	v_cmp_gt_i32_e64 s0, s33, v0
	v_add_nc_u64_e32 v[4:5], s[8:9], v[8:9]
	v_cmp_gt_i32_e64 s1, s18, v0
	v_add_nc_u32_e32 v9, v8, v1
	s_lshl_b64 s[8:9], s[12:13], 4
	s_lshl_b64 s[14:15], s[24:25], 4
	s_get_pc_i64 s[12:13]
	s_add_nc_u64 s[12:13], s[12:13], __const._ZL30rocblas_trsm_small_left_deviceILi24ELi24ELb0E19rocblas_complex_numIdES1_PKS1_PS1_Ev13rocblas_fill_18rocblas_operation_17rocblas_diagonal_iiT3_T4_lilT5_lili.step_sizes@rel64+4
	v_lshl_add_u64 v[10:11], v[2:3], 4, s[10:11]
	v_add_nc_u64_e32 v[12:13], 8, v[4:5]
	s_lshl_b64 s[10:11], s[26:27], 4
	s_delay_alu instid0(VALU_DEP_2)
	v_add_nc_u64_e32 v[14:15], 8, v[10:11]
	s_branch .LBB225_4
.LBB225_2:                              ;   in Loop: Header=BB225_4 Depth=1
	s_add_co_i32 s20, s20, 0x10000
	s_delay_alu instid0(SALU_CYCLE_1)
	s_cmp_ge_u32 s20, s3
	s_cselect_b32 s16, -1, 0
	s_and_not1_b32 s41, s41, exec_lo
	s_or_not1_b32 s16, s16, exec_lo
.LBB225_3:                              ;   in Loop: Header=BB225_4 Depth=1
	s_wait_xcnt 0x0
	s_or_b32 exec_lo, exec_lo, s42
	s_delay_alu instid0(SALU_CYCLE_1) | instskip(NEXT) | instid1(SALU_CYCLE_1)
	s_and_b32 s16, exec_lo, s16
	s_or_b32 s39, s16, s39
	s_and_not1_b32 s16, s40, exec_lo
	s_and_b32 s17, s41, exec_lo
	s_delay_alu instid0(SALU_CYCLE_1)
	s_or_b32 s40, s16, s17
	s_and_not1_b32 exec_lo, exec_lo, s39
	s_cbranch_execz .LBB225_58
.LBB225_4:                              ; =>This Loop Header: Depth=1
                                        ;     Child Loop BB225_6 Depth 2
                                        ;     Child Loop BB225_19 Depth 2
                                        ;       Child Loop BB225_22 Depth 3
                                        ;         Child Loop BB225_23 Depth 4
                                        ;         Child Loop BB225_26 Depth 4
                                        ;           Child Loop BB225_27 Depth 5
                                        ;         Child Loop BB225_31 Depth 4
                                        ;           Child Loop BB225_33 Depth 5
                                        ;     Child Loop BB225_41 Depth 2
                                        ;       Child Loop BB225_44 Depth 3
                                        ;         Child Loop BB225_45 Depth 4
                                        ;         Child Loop BB225_47 Depth 4
                                        ;           Child Loop BB225_48 Depth 5
                                        ;         Child Loop BB225_52 Depth 4
                                        ;           Child Loop BB225_54 Depth 5
	s_mov_b32 s21, s23
	s_and_saveexec_b32 s16, s0
	s_cbranch_execz .LBB225_15
; %bb.5:                                ;   in Loop: Header=BB225_4 Depth=1
	v_mad_nc_u64_u32 v[0:1], s8, s20, v[12:13]
	v_mov_b32_e32 v2, v8
	s_mov_b32 s17, s33
	s_delay_alu instid0(VALU_DEP_2)
	v_mad_u32 v1, s9, s20, v1
.LBB225_6:                              ;   Parent Loop BB225_4 Depth=1
                                        ; =>  This Inner Loop Header: Depth=2
	global_load_b128 v[4:7], v[0:1], off offset:-8
	s_wait_xcnt 0x0
	v_add_nc_u64_e32 v[0:1], s[10:11], v[0:1]
	s_add_co_i32 s17, s17, -1
	s_delay_alu instid0(SALU_CYCLE_1) | instskip(SKIP_2) | instid1(VALU_DEP_1)
	s_cmp_eq_u32 s17, 0
	s_wait_loadcnt 0x0
	v_xor_b32_e32 v3, 0x80000000, v7
	v_cndmask_b32_e64 v7, v7, v3, s2
	ds_store_b128 v2, v[4:7]
	v_add_nc_u32_e32 v2, 0x180, v2
	s_cbranch_scc0 .LBB225_6
; %bb.7:                                ;   in Loop: Header=BB225_4 Depth=1
	s_and_b32 vcc_lo, exec_lo, s35
	s_cbranch_vccz .LBB225_13
; %bb.8:                                ;   in Loop: Header=BB225_4 Depth=1
	ds_load_b128 v[0:3], v9
                                        ; implicit-def: $vgpr6_vgpr7
	s_wait_dscnt 0x0
	v_cmp_ngt_f64_e64 s17, |v[0:1]|, |v[2:3]|
	s_and_saveexec_b32 s18, s17
	s_delay_alu instid0(SALU_CYCLE_1)
	s_xor_b32 s17, exec_lo, s18
	s_cbranch_execz .LBB225_10
; %bb.9:                                ;   in Loop: Header=BB225_4 Depth=1
	v_div_scale_f64 v[4:5], null, v[2:3], v[2:3], v[0:1]
	v_div_scale_f64 v[18:19], vcc_lo, v[0:1], v[2:3], v[0:1]
	s_delay_alu instid0(VALU_DEP_2) | instskip(SKIP_1) | instid1(TRANS32_DEP_1)
	v_rcp_f64_e32 v[6:7], v[4:5]
	v_nop
	v_fma_f64 v[16:17], -v[4:5], v[6:7], 1.0
	s_delay_alu instid0(VALU_DEP_1) | instskip(NEXT) | instid1(VALU_DEP_1)
	v_fmac_f64_e32 v[6:7], v[6:7], v[16:17]
	v_fma_f64 v[16:17], -v[4:5], v[6:7], 1.0
	s_delay_alu instid0(VALU_DEP_1) | instskip(NEXT) | instid1(VALU_DEP_1)
	v_fmac_f64_e32 v[6:7], v[6:7], v[16:17]
	v_mul_f64_e32 v[16:17], v[18:19], v[6:7]
	s_delay_alu instid0(VALU_DEP_1) | instskip(NEXT) | instid1(VALU_DEP_1)
	v_fma_f64 v[4:5], -v[4:5], v[16:17], v[18:19]
	v_div_fmas_f64 v[4:5], v[4:5], v[6:7], v[16:17]
	s_delay_alu instid0(VALU_DEP_1) | instskip(NEXT) | instid1(VALU_DEP_1)
	v_div_fixup_f64 v[4:5], v[4:5], v[2:3], v[0:1]
	v_fmac_f64_e32 v[2:3], v[0:1], v[4:5]
	s_delay_alu instid0(VALU_DEP_1) | instskip(SKIP_1) | instid1(VALU_DEP_2)
	v_div_scale_f64 v[0:1], null, v[2:3], v[2:3], 1.0
	v_div_scale_f64 v[18:19], vcc_lo, 1.0, v[2:3], 1.0
	v_rcp_f64_e32 v[6:7], v[0:1]
	v_nop
	s_delay_alu instid0(TRANS32_DEP_1) | instskip(NEXT) | instid1(VALU_DEP_1)
	v_fma_f64 v[16:17], -v[0:1], v[6:7], 1.0
	v_fmac_f64_e32 v[6:7], v[6:7], v[16:17]
	s_delay_alu instid0(VALU_DEP_1) | instskip(NEXT) | instid1(VALU_DEP_1)
	v_fma_f64 v[16:17], -v[0:1], v[6:7], 1.0
	v_fmac_f64_e32 v[6:7], v[6:7], v[16:17]
	s_delay_alu instid0(VALU_DEP_1) | instskip(NEXT) | instid1(VALU_DEP_1)
	v_mul_f64_e32 v[16:17], v[18:19], v[6:7]
	v_fma_f64 v[0:1], -v[0:1], v[16:17], v[18:19]
	s_delay_alu instid0(VALU_DEP_1) | instskip(SKIP_1) | instid1(VALU_DEP_2)
	v_div_fmas_f64 v[0:1], v[0:1], v[6:7], v[16:17]
	v_add_f64_e32 v[6:7], 0, v[4:5]
	v_div_fixup_f64 v[0:1], v[0:1], v[2:3], 1.0
	v_fma_f64 v[2:3], v[4:5], 0, -1.0
	s_delay_alu instid0(VALU_DEP_2) | instskip(NEXT) | instid1(VALU_DEP_2)
	v_mul_f64_e32 v[4:5], v[6:7], v[0:1]
	v_mul_f64_e32 v[6:7], v[2:3], v[0:1]
                                        ; implicit-def: $vgpr0_vgpr1
.LBB225_10:                             ;   in Loop: Header=BB225_4 Depth=1
	s_and_not1_saveexec_b32 s17, s17
	s_cbranch_execz .LBB225_12
; %bb.11:                               ;   in Loop: Header=BB225_4 Depth=1
	v_div_scale_f64 v[4:5], null, v[0:1], v[0:1], v[2:3]
	v_div_scale_f64 v[18:19], vcc_lo, v[2:3], v[0:1], v[2:3]
	s_delay_alu instid0(VALU_DEP_2) | instskip(SKIP_1) | instid1(TRANS32_DEP_1)
	v_rcp_f64_e32 v[6:7], v[4:5]
	v_nop
	v_fma_f64 v[16:17], -v[4:5], v[6:7], 1.0
	s_delay_alu instid0(VALU_DEP_1) | instskip(NEXT) | instid1(VALU_DEP_1)
	v_fmac_f64_e32 v[6:7], v[6:7], v[16:17]
	v_fma_f64 v[16:17], -v[4:5], v[6:7], 1.0
	s_delay_alu instid0(VALU_DEP_1) | instskip(NEXT) | instid1(VALU_DEP_1)
	v_fmac_f64_e32 v[6:7], v[6:7], v[16:17]
	v_mul_f64_e32 v[16:17], v[18:19], v[6:7]
	s_delay_alu instid0(VALU_DEP_1) | instskip(NEXT) | instid1(VALU_DEP_1)
	v_fma_f64 v[4:5], -v[4:5], v[16:17], v[18:19]
	v_div_fmas_f64 v[4:5], v[4:5], v[6:7], v[16:17]
	s_delay_alu instid0(VALU_DEP_1) | instskip(NEXT) | instid1(VALU_DEP_1)
	v_div_fixup_f64 v[4:5], v[4:5], v[0:1], v[2:3]
	v_fmac_f64_e32 v[0:1], v[2:3], v[4:5]
	s_delay_alu instid0(VALU_DEP_1) | instskip(SKIP_1) | instid1(VALU_DEP_2)
	v_div_scale_f64 v[2:3], null, v[0:1], v[0:1], 1.0
	v_div_scale_f64 v[18:19], vcc_lo, 1.0, v[0:1], 1.0
	v_rcp_f64_e32 v[6:7], v[2:3]
	v_nop
	s_delay_alu instid0(TRANS32_DEP_1) | instskip(NEXT) | instid1(VALU_DEP_1)
	v_fma_f64 v[16:17], -v[2:3], v[6:7], 1.0
	v_fmac_f64_e32 v[6:7], v[6:7], v[16:17]
	s_delay_alu instid0(VALU_DEP_1) | instskip(NEXT) | instid1(VALU_DEP_1)
	v_fma_f64 v[16:17], -v[2:3], v[6:7], 1.0
	v_fmac_f64_e32 v[6:7], v[6:7], v[16:17]
	s_delay_alu instid0(VALU_DEP_1) | instskip(NEXT) | instid1(VALU_DEP_1)
	v_mul_f64_e32 v[16:17], v[18:19], v[6:7]
	v_fma_f64 v[2:3], -v[2:3], v[16:17], v[18:19]
	s_delay_alu instid0(VALU_DEP_1) | instskip(SKIP_1) | instid1(VALU_DEP_2)
	v_div_fmas_f64 v[2:3], v[2:3], v[6:7], v[16:17]
	v_fma_f64 v[6:7], v[4:5], 0, 1.0
	v_div_fixup_f64 v[0:1], v[2:3], v[0:1], 1.0
	v_add_f64_e64 v[2:3], -v[4:5], 0
	s_delay_alu instid0(VALU_DEP_2) | instskip(NEXT) | instid1(VALU_DEP_2)
	v_mul_f64_e32 v[4:5], v[6:7], v[0:1]
	v_mul_f64_e32 v[6:7], v[2:3], v[0:1]
.LBB225_12:                             ;   in Loop: Header=BB225_4 Depth=1
	s_or_b32 exec_lo, exec_lo, s17
	s_branch .LBB225_14
.LBB225_13:                             ;   in Loop: Header=BB225_4 Depth=1
	v_mov_b64_e32 v[6:7], 0
	v_mov_b64_e32 v[4:5], 1.0
.LBB225_14:                             ;   in Loop: Header=BB225_4 Depth=1
	ds_store_b128 v9, v[4:7]
.LBB225_15:                             ;   in Loop: Header=BB225_4 Depth=1
	s_or_b32 exec_lo, exec_lo, s16
	s_mov_b32 s16, -1
	s_or_b32 s41, s41, exec_lo
	s_wait_dscnt 0x0
	; wave barrier
	s_and_saveexec_b32 s42, s1
	s_cbranch_execz .LBB225_3
; %bb.16:                               ;   in Loop: Header=BB225_4 Depth=1
	s_mul_u64 s[16:17], s[24:25], s[20:21]
	s_and_not1_b32 vcc_lo, exec_lo, s36
	v_lshl_add_u64 v[4:5], s[16:17], 4, v[10:11]
	s_mul_u64 s[16:17], s[14:15], s[20:21]
	s_mov_b32 s18, -1
	s_cbranch_vccnz .LBB225_38
; %bb.17:                               ;   in Loop: Header=BB225_4 Depth=1
	v_add_nc_u64_e32 v[6:7], s[16:17], v[14:15]
	s_mov_b32 s21, 0
	s_mov_b32 s18, 0
	s_branch .LBB225_19
.LBB225_18:                             ;   in Loop: Header=BB225_19 Depth=2
	s_cmp_lt_i32 s18, s33
	s_cselect_b32 s19, -1, 0
	s_add_co_i32 s22, s21, 1
	s_cmp_lt_u32 s21, 2
	s_wait_xcnt 0x0
	s_cselect_b32 s21, -1, 0
	s_delay_alu instid0(SALU_CYCLE_1)
	s_and_b32 s19, s19, s21
	s_mov_b32 s21, s22
	s_and_b32 vcc_lo, exec_lo, s19
	s_cbranch_vccz .LBB225_37
.LBB225_19:                             ;   Parent Loop BB225_4 Depth=1
                                        ; =>  This Loop Header: Depth=2
                                        ;       Child Loop BB225_22 Depth 3
                                        ;         Child Loop BB225_23 Depth 4
                                        ;         Child Loop BB225_26 Depth 4
                                        ;           Child Loop BB225_27 Depth 5
                                        ;         Child Loop BB225_31 Depth 4
                                        ;           Child Loop BB225_33 Depth 5
	s_load_b32 s26, s[12:13], s21 offset:0x0 scale_offset
	s_wait_kmcnt 0x0
	s_add_co_i32 s43, s26, -1
	s_delay_alu instid0(SALU_CYCLE_1) | instskip(NEXT) | instid1(SALU_CYCLE_1)
	s_add_co_i32 s19, s43, s18
	s_cmp_ge_i32 s19, s33
	s_cbranch_scc1 .LBB225_18
; %bb.20:                               ;   in Loop: Header=BB225_19 Depth=2
	s_ashr_i32 s19, s18, 31
	s_ashr_i32 s27, s26, 31
	v_lshl_add_u64 v[16:17], s[18:19], 4, v[6:7]
	s_max_i32 s44, s26, 1
	s_lshl_b64 s[28:29], s[26:27], 4
	s_mul_i32 s19, s18, 0x180
	s_mul_i32 s27, s26, 0x180
	;; [unrolled: 1-line block ×4, first 2 shown]
	s_branch .LBB225_22
.LBB225_21:                             ;   in Loop: Header=BB225_22 Depth=3
	v_add_nc_u64_e32 v[16:17], s[28:29], v[16:17]
	s_add_co_i32 s18, s18, s26
	s_add_co_i32 s19, s19, s27
	;; [unrolled: 1-line block ×4, first 2 shown]
	s_cmp_ge_i32 s22, s33
	s_cbranch_scc1 .LBB225_18
.LBB225_22:                             ;   Parent Loop BB225_4 Depth=1
                                        ;     Parent Loop BB225_19 Depth=2
                                        ; =>    This Loop Header: Depth=3
                                        ;         Child Loop BB225_23 Depth 4
                                        ;         Child Loop BB225_26 Depth 4
                                        ;           Child Loop BB225_27 Depth 5
                                        ;         Child Loop BB225_31 Depth 4
                                        ;           Child Loop BB225_33 Depth 5
	s_wait_xcnt 0x0
	v_mov_b64_e32 v[0:1], v[16:17]
	s_mov_b32 s22, 8
	s_mov_b32 s30, s44
.LBB225_23:                             ;   Parent Loop BB225_4 Depth=1
                                        ;     Parent Loop BB225_19 Depth=2
                                        ;       Parent Loop BB225_22 Depth=3
                                        ; =>      This Inner Loop Header: Depth=4
	global_load_b128 v[18:21], v[0:1], off offset:-8
	s_wait_xcnt 0x0
	v_add_nc_u64_e32 v[0:1], 16, v[0:1]
	s_add_co_i32 s30, s30, -1
	s_mov_b32 s31, s22
	s_add_co_i32 s22, s22, 16
	s_cmp_eq_u32 s30, 0
	s_wait_loadcnt 0x0
	v_mul_f64_e32 v[2:3], s[6:7], v[20:21]
	v_mul_f64_e32 v[22:23], s[4:5], v[20:21]
	s_delay_alu instid0(VALU_DEP_2) | instskip(NEXT) | instid1(VALU_DEP_2)
	v_fma_f64 v[20:21], s[4:5], v[18:19], -v[2:3]
	v_fmac_f64_e32 v[22:23], s[6:7], v[18:19]
	scratch_store_b128 off, v[20:23], s31 offset:-8
	s_cbranch_scc0 .LBB225_23
; %bb.24:                               ;   in Loop: Header=BB225_22 Depth=3
	s_cmp_lt_i32 s18, 1
	s_cbranch_scc1 .LBB225_29
; %bb.25:                               ;   in Loop: Header=BB225_22 Depth=3
	s_mov_b32 s22, 0
	s_mov_b32 s30, s19
.LBB225_26:                             ;   Parent Loop BB225_4 Depth=1
                                        ;     Parent Loop BB225_19 Depth=2
                                        ;       Parent Loop BB225_22 Depth=3
                                        ; =>      This Loop Header: Depth=4
                                        ;           Child Loop BB225_27 Depth 5
	v_lshl_add_u64 v[0:1], s[22:23], 4, v[4:5]
	s_wait_xcnt 0x0
	s_mov_b32 s31, s37
	s_mov_b32 s47, s30
	;; [unrolled: 1-line block ×3, first 2 shown]
	global_load_b128 v[0:3], v[0:1], off
.LBB225_27:                             ;   Parent Loop BB225_4 Depth=1
                                        ;     Parent Loop BB225_19 Depth=2
                                        ;       Parent Loop BB225_22 Depth=3
                                        ;         Parent Loop BB225_26 Depth=4
                                        ; =>        This Inner Loop Header: Depth=5
	scratch_load_b128 v[18:21], off, s31 offset:-8
	v_mov_b32_e32 v22, s47
	s_add_co_i32 s48, s48, -1
	s_addk_co_i32 s47, 0x180
	ds_load_b128 v[22:25], v22
	s_wait_loadcnt_dscnt 0x100
	v_mul_f64_e32 v[26:27], v[2:3], v[24:25]
	v_mul_f64_e32 v[24:25], v[0:1], v[24:25]
	s_delay_alu instid0(VALU_DEP_2) | instskip(NEXT) | instid1(VALU_DEP_2)
	v_fma_f64 v[26:27], v[0:1], v[22:23], -v[26:27]
	v_fmac_f64_e32 v[24:25], v[2:3], v[22:23]
	s_wait_loadcnt 0x0
	s_delay_alu instid0(VALU_DEP_2) | instskip(NEXT) | instid1(VALU_DEP_2)
	v_add_f64_e64 v[18:19], v[18:19], -v[26:27]
	v_add_f64_e64 v[20:21], v[20:21], -v[24:25]
	scratch_store_b128 off, v[18:21], s31 offset:-8
	s_wait_xcnt 0x0
	s_add_co_i32 s31, s31, 16
	s_cmp_eq_u32 s48, 0
	s_cbranch_scc0 .LBB225_27
; %bb.28:                               ;   in Loop: Header=BB225_26 Depth=4
	s_add_co_i32 s22, s22, 1
	s_add_co_i32 s30, s30, 16
	s_cmp_eq_u32 s22, s18
	s_cbranch_scc0 .LBB225_26
.LBB225_29:                             ;   in Loop: Header=BB225_22 Depth=3
	s_mov_b32 s22, 0
	s_mov_b32 s47, s45
	s_branch .LBB225_31
.LBB225_30:                             ;   in Loop: Header=BB225_31 Depth=4
	s_mul_i32 s31, s30, 0x190
	s_lshl_b32 s48, s22, 4
	v_mov_b32_e32 v18, s31
	s_ashr_i32 s31, s30, 31
	s_add_co_i32 s22, s22, 1
	s_addk_co_i32 s47, 0x180
	s_cmp_eq_u32 s22, s44
	ds_load_b128 v[18:21], v18
	s_wait_loadcnt_dscnt 0x0
	v_mul_f64_e32 v[22:23], v[20:21], v[2:3]
	v_mul_f64_e32 v[24:25], v[18:19], v[2:3]
	s_delay_alu instid0(VALU_DEP_2) | instskip(NEXT) | instid1(VALU_DEP_2)
	v_fma_f64 v[22:23], v[18:19], v[0:1], -v[22:23]
	v_fmac_f64_e32 v[24:25], v[20:21], v[0:1]
	v_lshl_add_u64 v[0:1], s[30:31], 4, v[4:5]
	scratch_store_b128 off, v[22:25], s48
	global_store_b128 v[0:1], v[22:25], off
	s_cbranch_scc1 .LBB225_21
.LBB225_31:                             ;   Parent Loop BB225_4 Depth=1
                                        ;     Parent Loop BB225_19 Depth=2
                                        ;       Parent Loop BB225_22 Depth=3
                                        ; =>      This Loop Header: Depth=4
                                        ;           Child Loop BB225_33 Depth 5
	s_cmp_lg_u32 s22, 0
	s_cbranch_scc0 .LBB225_35
; %bb.32:                               ;   in Loop: Header=BB225_31 Depth=4
	s_wait_xcnt 0x0
	s_lshl_b32 s31, s22, 4
	s_add_co_i32 s30, s22, s18
	scratch_load_b128 v[0:3], off, s31
	s_mov_b32 s48, s47
	s_mov_b32 s49, s37
	;; [unrolled: 1-line block ×3, first 2 shown]
.LBB225_33:                             ;   Parent Loop BB225_4 Depth=1
                                        ;     Parent Loop BB225_19 Depth=2
                                        ;       Parent Loop BB225_22 Depth=3
                                        ;         Parent Loop BB225_31 Depth=4
                                        ; =>        This Inner Loop Header: Depth=5
	scratch_load_b128 v[18:21], off, s49 offset:-8
	v_mov_b32_e32 v22, s48
	s_add_co_i32 s50, s50, -1
	s_wait_xcnt 0x0
	s_add_co_i32 s49, s49, 16
	s_add_co_i32 s48, s48, 16
	s_cmp_eq_u32 s50, 0
	ds_load_b128 v[22:25], v22
	s_wait_loadcnt_dscnt 0x0
	v_mul_f64_e32 v[26:27], v[24:25], v[20:21]
	v_mul_f64_e32 v[20:21], v[22:23], v[20:21]
	s_delay_alu instid0(VALU_DEP_2) | instskip(NEXT) | instid1(VALU_DEP_2)
	v_fma_f64 v[22:23], v[22:23], v[18:19], -v[26:27]
	v_fmac_f64_e32 v[20:21], v[24:25], v[18:19]
	s_delay_alu instid0(VALU_DEP_2) | instskip(NEXT) | instid1(VALU_DEP_2)
	v_add_f64_e64 v[0:1], v[0:1], -v[22:23]
	v_add_f64_e64 v[2:3], v[2:3], -v[20:21]
	scratch_store_b128 off, v[0:3], s31
	s_cbranch_scc0 .LBB225_33
; %bb.34:                               ;   in Loop: Header=BB225_31 Depth=4
	s_wait_xcnt 0x0
	s_branch .LBB225_30
.LBB225_35:                             ;   in Loop: Header=BB225_31 Depth=4
	s_wait_xcnt 0x0
                                        ; implicit-def: $vgpr0_vgpr1
                                        ; implicit-def: $sgpr30
	s_cbranch_execz .LBB225_30
; %bb.36:                               ;   in Loop: Header=BB225_31 Depth=4
	scratch_load_b128 v[0:3], off, off
	s_mov_b32 s30, s18
	s_branch .LBB225_30
.LBB225_37:                             ;   in Loop: Header=BB225_4 Depth=1
	s_mov_b32 s18, 0
.LBB225_38:                             ;   in Loop: Header=BB225_4 Depth=1
	s_delay_alu instid0(SALU_CYCLE_1)
	s_and_b32 vcc_lo, exec_lo, s18
	s_cbranch_vccz .LBB225_2
; %bb.39:                               ;   in Loop: Header=BB225_4 Depth=1
	v_add_nc_u64_e32 v[6:7], s[16:17], v[14:15]
	s_mov_b32 s21, 0
	s_mov_b32 s16, s34
	s_branch .LBB225_41
.LBB225_40:                             ;   in Loop: Header=BB225_41 Depth=2
	s_cmp_gt_i32 s16, -1
	s_cselect_b32 s17, -1, 0
	s_add_co_i32 s18, s21, 1
	s_cmp_lt_u32 s21, 2
	s_wait_xcnt 0x0
	s_mov_b32 s21, s18
	s_cselect_b32 s19, -1, 0
	s_delay_alu instid0(SALU_CYCLE_1) | instskip(NEXT) | instid1(SALU_CYCLE_1)
	s_and_b32 s17, s17, s19
	s_and_not1_b32 vcc_lo, exec_lo, s17
	s_cbranch_vccnz .LBB225_2
.LBB225_41:                             ;   Parent Loop BB225_4 Depth=1
                                        ; =>  This Loop Header: Depth=2
                                        ;       Child Loop BB225_44 Depth 3
                                        ;         Child Loop BB225_45 Depth 4
                                        ;         Child Loop BB225_47 Depth 4
                                        ;           Child Loop BB225_48 Depth 5
                                        ;         Child Loop BB225_52 Depth 4
                                        ;           Child Loop BB225_54 Depth 5
	s_load_b32 s22, s[12:13], s21 offset:0x0 scale_offset
	s_wait_kmcnt 0x0
	s_add_co_i32 s28, s22, -1
	s_delay_alu instid0(SALU_CYCLE_1)
	s_cmp_lt_i32 s16, s28
	s_cbranch_scc1 .LBB225_40
; %bb.42:                               ;   in Loop: Header=BB225_41 Depth=2
	s_lshl_b32 s17, s16, 4
	s_lshl_b32 s18, s22, 4
	s_max_i32 s29, s22, 1
	s_add_co_i32 s30, s38, s17
	s_sub_co_i32 s31, 0, s18
	s_mul_i32 s43, s16, 0x190
	s_mul_i32 s44, s22, 0xfffffe70
	s_branch .LBB225_44
.LBB225_43:                             ;   in Loop: Header=BB225_44 Depth=3
	s_sub_co_i32 s16, s16, s22
	s_add_co_i32 s30, s30, s31
	s_add_co_i32 s43, s43, s44
	s_cmp_lt_i32 s16, s28
	s_cbranch_scc1 .LBB225_40
.LBB225_44:                             ;   Parent Loop BB225_4 Depth=1
                                        ;     Parent Loop BB225_41 Depth=2
                                        ; =>    This Loop Header: Depth=3
                                        ;         Child Loop BB225_45 Depth 4
                                        ;         Child Loop BB225_47 Depth 4
                                        ;           Child Loop BB225_48 Depth 5
                                        ;         Child Loop BB225_52 Depth 4
                                        ;           Child Loop BB225_54 Depth 5
	s_ashr_i32 s17, s16, 31
	s_mov_b32 s18, 8
	s_wait_xcnt 0x0
	v_lshl_add_u64 v[0:1], s[16:17], 4, v[6:7]
	s_mov_b32 s19, s29
.LBB225_45:                             ;   Parent Loop BB225_4 Depth=1
                                        ;     Parent Loop BB225_41 Depth=2
                                        ;       Parent Loop BB225_44 Depth=3
                                        ; =>      This Inner Loop Header: Depth=4
	global_load_b128 v[16:19], v[0:1], off offset:-8
	s_wait_xcnt 0x0
	v_add_nc_u64_e32 v[0:1], -16, v[0:1]
	s_add_co_i32 s19, s19, -1
	s_mov_b32 s26, s18
	s_add_co_i32 s18, s18, 16
	s_cmp_eq_u32 s19, 0
	s_wait_loadcnt 0x0
	v_mul_f64_e32 v[2:3], s[6:7], v[18:19]
	v_mul_f64_e32 v[20:21], s[4:5], v[18:19]
	s_delay_alu instid0(VALU_DEP_2) | instskip(NEXT) | instid1(VALU_DEP_2)
	v_fma_f64 v[18:19], s[4:5], v[16:17], -v[2:3]
	v_fmac_f64_e32 v[20:21], s[6:7], v[16:17]
	scratch_store_b128 off, v[18:21], s26 offset:-8
	s_cbranch_scc0 .LBB225_45
; %bb.46:                               ;   in Loop: Header=BB225_44 Depth=3
	s_cmp_le_i32 s34, s16
	s_wait_xcnt 0x0
	s_mov_b32 s26, s30
	s_mov_b32 s18, s34
	s_cbranch_scc1 .LBB225_50
.LBB225_47:                             ;   Parent Loop BB225_4 Depth=1
                                        ;     Parent Loop BB225_41 Depth=2
                                        ;       Parent Loop BB225_44 Depth=3
                                        ; =>      This Loop Header: Depth=4
                                        ;           Child Loop BB225_48 Depth 5
	s_ashr_i32 s19, s18, 31
	s_mov_b32 s27, s26
	v_lshl_add_u64 v[0:1], s[18:19], 4, v[4:5]
	s_mov_b32 s19, s37
	s_mov_b32 s45, s29
	global_load_b128 v[0:3], v[0:1], off
.LBB225_48:                             ;   Parent Loop BB225_4 Depth=1
                                        ;     Parent Loop BB225_41 Depth=2
                                        ;       Parent Loop BB225_44 Depth=3
                                        ;         Parent Loop BB225_47 Depth=4
                                        ; =>        This Inner Loop Header: Depth=5
	scratch_load_b128 v[16:19], off, s19 offset:-8
	v_mov_b32_e32 v20, s27
	s_add_co_i32 s45, s45, -1
	s_add_co_i32 s27, s27, -16
	ds_load_b128 v[20:23], v20
	s_wait_loadcnt_dscnt 0x100
	v_mul_f64_e32 v[24:25], v[2:3], v[22:23]
	v_mul_f64_e32 v[22:23], v[0:1], v[22:23]
	s_delay_alu instid0(VALU_DEP_2) | instskip(NEXT) | instid1(VALU_DEP_2)
	v_fma_f64 v[24:25], v[0:1], v[20:21], -v[24:25]
	v_fmac_f64_e32 v[22:23], v[2:3], v[20:21]
	s_wait_loadcnt 0x0
	s_delay_alu instid0(VALU_DEP_2) | instskip(NEXT) | instid1(VALU_DEP_2)
	v_add_f64_e64 v[16:17], v[16:17], -v[24:25]
	v_add_f64_e64 v[18:19], v[18:19], -v[22:23]
	scratch_store_b128 off, v[16:19], s19 offset:-8
	s_wait_xcnt 0x0
	s_add_co_i32 s19, s19, 16
	s_cmp_eq_u32 s45, 0
	s_cbranch_scc0 .LBB225_48
; %bb.49:                               ;   in Loop: Header=BB225_47 Depth=4
	s_add_co_i32 s18, s18, -1
	s_addk_co_i32 s26, 0xfe80
	s_cmp_le_i32 s18, s16
	s_cbranch_scc0 .LBB225_47
.LBB225_50:                             ;   in Loop: Header=BB225_44 Depth=3
	s_mov_b32 s45, 0
	s_mov_b32 s46, s43
	s_branch .LBB225_52
.LBB225_51:                             ;   in Loop: Header=BB225_52 Depth=4
	s_wait_xcnt 0x1
	s_mulk_i32 s26, 0x190
	s_add_co_i32 s46, s46, -16
	v_mov_b32_e32 v16, s26
	s_lshl_b32 s26, s45, 4
	s_add_co_i32 s45, s45, 1
	s_delay_alu instid0(SALU_CYCLE_1)
	s_cmp_eq_u32 s45, s29
	ds_load_b128 v[16:19], v16
	s_wait_loadcnt_dscnt 0x0
	s_wait_xcnt 0x0
	v_mul_f64_e32 v[20:21], v[18:19], v[2:3]
	v_mul_f64_e32 v[22:23], v[16:17], v[2:3]
	s_delay_alu instid0(VALU_DEP_2) | instskip(NEXT) | instid1(VALU_DEP_2)
	v_fma_f64 v[20:21], v[16:17], v[0:1], -v[20:21]
	v_fmac_f64_e32 v[22:23], v[18:19], v[0:1]
	v_lshl_add_u64 v[0:1], s[18:19], 4, v[4:5]
	scratch_store_b128 off, v[20:23], s26
	global_store_b128 v[0:1], v[20:23], off
	s_cbranch_scc1 .LBB225_43
.LBB225_52:                             ;   Parent Loop BB225_4 Depth=1
                                        ;     Parent Loop BB225_41 Depth=2
                                        ;       Parent Loop BB225_44 Depth=3
                                        ; =>      This Loop Header: Depth=4
                                        ;           Child Loop BB225_54 Depth 5
	s_cmp_lg_u32 s45, 0
	s_cbranch_scc0 .LBB225_56
; %bb.53:                               ;   in Loop: Header=BB225_52 Depth=4
	s_lshl_b32 s18, s45, 4
	s_mov_b32 s19, s37
	scratch_load_b128 v[0:3], off, s18
	s_mov_b32 s26, s46
	s_mov_b32 s27, s45
.LBB225_54:                             ;   Parent Loop BB225_4 Depth=1
                                        ;     Parent Loop BB225_41 Depth=2
                                        ;       Parent Loop BB225_44 Depth=3
                                        ;         Parent Loop BB225_52 Depth=4
                                        ; =>        This Inner Loop Header: Depth=5
	scratch_load_b128 v[16:19], off, s19 offset:-8
	v_mov_b32_e32 v20, s26
	s_add_co_i32 s27, s27, -1
	s_addk_co_i32 s26, 0xfe80
	s_wait_xcnt 0x0
	s_add_co_i32 s19, s19, 16
	s_cmp_eq_u32 s27, 0
	ds_load_b128 v[20:23], v20
	s_wait_loadcnt_dscnt 0x0
	v_mul_f64_e32 v[24:25], v[22:23], v[18:19]
	v_mul_f64_e32 v[18:19], v[20:21], v[18:19]
	s_delay_alu instid0(VALU_DEP_2) | instskip(NEXT) | instid1(VALU_DEP_2)
	v_fma_f64 v[20:21], v[20:21], v[16:17], -v[24:25]
	v_fmac_f64_e32 v[18:19], v[22:23], v[16:17]
	s_delay_alu instid0(VALU_DEP_2) | instskip(NEXT) | instid1(VALU_DEP_2)
	v_add_f64_e64 v[0:1], v[0:1], -v[20:21]
	v_add_f64_e64 v[2:3], v[2:3], -v[18:19]
	scratch_store_b128 off, v[0:3], s18
	s_cbranch_scc0 .LBB225_54
; %bb.55:                               ;   in Loop: Header=BB225_52 Depth=4
	s_sub_co_i32 s26, s16, s45
	s_delay_alu instid0(SALU_CYCLE_1)
	s_ashr_i32 s27, s26, 31
	s_wait_xcnt 0x0
	s_mov_b64 s[18:19], s[26:27]
	s_branch .LBB225_51
.LBB225_56:                             ;   in Loop: Header=BB225_52 Depth=4
                                        ; implicit-def: $vgpr0_vgpr1
                                        ; implicit-def: $sgpr26
                                        ; implicit-def: $sgpr18_sgpr19
	s_cbranch_execz .LBB225_51
; %bb.57:                               ;   in Loop: Header=BB225_52 Depth=4
	scratch_load_b128 v[0:3], off, off
	s_mov_b64 s[18:19], s[16:17]
	s_mov_b32 s26, s16
	s_branch .LBB225_51
.LBB225_58:
	s_or_b32 exec_lo, exec_lo, s39
	s_and_saveexec_b32 s0, s40
	s_delay_alu instid0(SALU_CYCLE_1)
	s_xor_b32 s0, exec_lo, s0
.LBB225_59:
	s_endpgm
	.section	.rodata,"a",@progbits
	.p2align	6, 0x0
	.amdhsa_kernel _ZL30rocblas_trsm_small_left_deviceILi24ELi24ELb0E19rocblas_complex_numIdES1_PKS1_PS1_Ev13rocblas_fill_18rocblas_operation_17rocblas_diagonal_iiT3_T4_lilT5_lili
		.amdhsa_group_segment_fixed_size 9216
		.amdhsa_private_segment_fixed_size 400
		.amdhsa_kernarg_size 368
		.amdhsa_user_sgpr_count 2
		.amdhsa_user_sgpr_dispatch_ptr 0
		.amdhsa_user_sgpr_queue_ptr 0
		.amdhsa_user_sgpr_kernarg_segment_ptr 1
		.amdhsa_user_sgpr_dispatch_id 0
		.amdhsa_user_sgpr_kernarg_preload_length 0
		.amdhsa_user_sgpr_kernarg_preload_offset 0
		.amdhsa_user_sgpr_private_segment_size 0
		.amdhsa_wavefront_size32 1
		.amdhsa_uses_dynamic_stack 0
		.amdhsa_enable_private_segment 1
		.amdhsa_system_sgpr_workgroup_id_x 1
		.amdhsa_system_sgpr_workgroup_id_y 0
		.amdhsa_system_sgpr_workgroup_id_z 1
		.amdhsa_system_sgpr_workgroup_info 0
		.amdhsa_system_vgpr_workitem_id 0
		.amdhsa_next_free_vgpr 97
		.amdhsa_next_free_sgpr 51
		.amdhsa_named_barrier_count 0
		.amdhsa_reserve_vcc 1
		.amdhsa_float_round_mode_32 0
		.amdhsa_float_round_mode_16_64 0
		.amdhsa_float_denorm_mode_32 3
		.amdhsa_float_denorm_mode_16_64 3
		.amdhsa_fp16_overflow 0
		.amdhsa_memory_ordered 1
		.amdhsa_forward_progress 1
		.amdhsa_inst_pref_size 22
		.amdhsa_round_robin_scheduling 0
		.amdhsa_exception_fp_ieee_invalid_op 0
		.amdhsa_exception_fp_denorm_src 0
		.amdhsa_exception_fp_ieee_div_zero 0
		.amdhsa_exception_fp_ieee_overflow 0
		.amdhsa_exception_fp_ieee_underflow 0
		.amdhsa_exception_fp_ieee_inexact 0
		.amdhsa_exception_int_div_zero 0
	.end_amdhsa_kernel
	.section	.text._ZL30rocblas_trsm_small_left_deviceILi24ELi24ELb0E19rocblas_complex_numIdES1_PKS1_PS1_Ev13rocblas_fill_18rocblas_operation_17rocblas_diagonal_iiT3_T4_lilT5_lili,"axG",@progbits,_ZL30rocblas_trsm_small_left_deviceILi24ELi24ELb0E19rocblas_complex_numIdES1_PKS1_PS1_Ev13rocblas_fill_18rocblas_operation_17rocblas_diagonal_iiT3_T4_lilT5_lili,comdat
.Lfunc_end225:
	.size	_ZL30rocblas_trsm_small_left_deviceILi24ELi24ELb0E19rocblas_complex_numIdES1_PKS1_PS1_Ev13rocblas_fill_18rocblas_operation_17rocblas_diagonal_iiT3_T4_lilT5_lili, .Lfunc_end225-_ZL30rocblas_trsm_small_left_deviceILi24ELi24ELb0E19rocblas_complex_numIdES1_PKS1_PS1_Ev13rocblas_fill_18rocblas_operation_17rocblas_diagonal_iiT3_T4_lilT5_lili
                                        ; -- End function
	.set _ZL30rocblas_trsm_small_left_deviceILi24ELi24ELb0E19rocblas_complex_numIdES1_PKS1_PS1_Ev13rocblas_fill_18rocblas_operation_17rocblas_diagonal_iiT3_T4_lilT5_lili.num_vgpr, 28
	.set _ZL30rocblas_trsm_small_left_deviceILi24ELi24ELb0E19rocblas_complex_numIdES1_PKS1_PS1_Ev13rocblas_fill_18rocblas_operation_17rocblas_diagonal_iiT3_T4_lilT5_lili.num_agpr, 0
	.set _ZL30rocblas_trsm_small_left_deviceILi24ELi24ELb0E19rocblas_complex_numIdES1_PKS1_PS1_Ev13rocblas_fill_18rocblas_operation_17rocblas_diagonal_iiT3_T4_lilT5_lili.numbered_sgpr, 51
	.set _ZL30rocblas_trsm_small_left_deviceILi24ELi24ELb0E19rocblas_complex_numIdES1_PKS1_PS1_Ev13rocblas_fill_18rocblas_operation_17rocblas_diagonal_iiT3_T4_lilT5_lili.num_named_barrier, 0
	.set _ZL30rocblas_trsm_small_left_deviceILi24ELi24ELb0E19rocblas_complex_numIdES1_PKS1_PS1_Ev13rocblas_fill_18rocblas_operation_17rocblas_diagonal_iiT3_T4_lilT5_lili.private_seg_size, 400
	.set _ZL30rocblas_trsm_small_left_deviceILi24ELi24ELb0E19rocblas_complex_numIdES1_PKS1_PS1_Ev13rocblas_fill_18rocblas_operation_17rocblas_diagonal_iiT3_T4_lilT5_lili.uses_vcc, 1
	.set _ZL30rocblas_trsm_small_left_deviceILi24ELi24ELb0E19rocblas_complex_numIdES1_PKS1_PS1_Ev13rocblas_fill_18rocblas_operation_17rocblas_diagonal_iiT3_T4_lilT5_lili.uses_flat_scratch, 0
	.set _ZL30rocblas_trsm_small_left_deviceILi24ELi24ELb0E19rocblas_complex_numIdES1_PKS1_PS1_Ev13rocblas_fill_18rocblas_operation_17rocblas_diagonal_iiT3_T4_lilT5_lili.has_dyn_sized_stack, 0
	.set _ZL30rocblas_trsm_small_left_deviceILi24ELi24ELb0E19rocblas_complex_numIdES1_PKS1_PS1_Ev13rocblas_fill_18rocblas_operation_17rocblas_diagonal_iiT3_T4_lilT5_lili.has_recursion, 0
	.set _ZL30rocblas_trsm_small_left_deviceILi24ELi24ELb0E19rocblas_complex_numIdES1_PKS1_PS1_Ev13rocblas_fill_18rocblas_operation_17rocblas_diagonal_iiT3_T4_lilT5_lili.has_indirect_call, 0
	.section	.AMDGPU.csdata,"",@progbits
; Kernel info:
; codeLenInByte = 2708
; TotalNumSgprs: 53
; NumVgprs: 28
; ScratchSize: 400
; MemoryBound: 0
; FloatMode: 240
; IeeeMode: 1
; LDSByteSize: 9216 bytes/workgroup (compile time only)
; SGPRBlocks: 0
; VGPRBlocks: 6
; NumSGPRsForWavesPerEU: 53
; NumVGPRsForWavesPerEU: 97
; NamedBarCnt: 0
; Occupancy: 9
; WaveLimiterHint : 0
; COMPUTE_PGM_RSRC2:SCRATCH_EN: 1
; COMPUTE_PGM_RSRC2:USER_SGPR: 2
; COMPUTE_PGM_RSRC2:TRAP_HANDLER: 0
; COMPUTE_PGM_RSRC2:TGID_X_EN: 1
; COMPUTE_PGM_RSRC2:TGID_Y_EN: 0
; COMPUTE_PGM_RSRC2:TGID_Z_EN: 1
; COMPUTE_PGM_RSRC2:TIDIG_COMP_CNT: 0
	.section	.text._ZL38rocblas_trsm_small_left_device_sharedBILi24ELi24ELb1E19rocblas_complex_numIdES1_PKS1_PS1_Ev13rocblas_fill_18rocblas_operation_17rocblas_diagonal_iiT3_T4_lilT5_lili,"axG",@progbits,_ZL38rocblas_trsm_small_left_device_sharedBILi24ELi24ELb1E19rocblas_complex_numIdES1_PKS1_PS1_Ev13rocblas_fill_18rocblas_operation_17rocblas_diagonal_iiT3_T4_lilT5_lili,comdat
	.globl	_ZL38rocblas_trsm_small_left_device_sharedBILi24ELi24ELb1E19rocblas_complex_numIdES1_PKS1_PS1_Ev13rocblas_fill_18rocblas_operation_17rocblas_diagonal_iiT3_T4_lilT5_lili ; -- Begin function _ZL38rocblas_trsm_small_left_device_sharedBILi24ELi24ELb1E19rocblas_complex_numIdES1_PKS1_PS1_Ev13rocblas_fill_18rocblas_operation_17rocblas_diagonal_iiT3_T4_lilT5_lili
	.p2align	8
	.type	_ZL38rocblas_trsm_small_left_device_sharedBILi24ELi24ELb1E19rocblas_complex_numIdES1_PKS1_PS1_Ev13rocblas_fill_18rocblas_operation_17rocblas_diagonal_iiT3_T4_lilT5_lili,@function
_ZL38rocblas_trsm_small_left_device_sharedBILi24ELi24ELb1E19rocblas_complex_numIdES1_PKS1_PS1_Ev13rocblas_fill_18rocblas_operation_17rocblas_diagonal_iiT3_T4_lilT5_lili: ; @_ZL38rocblas_trsm_small_left_device_sharedBILi24ELi24ELb1E19rocblas_complex_numIdES1_PKS1_PS1_Ev13rocblas_fill_18rocblas_operation_17rocblas_diagonal_iiT3_T4_lilT5_lili
; %bb.0:
	s_load_b32 s3, s[0:1], 0x68
	s_bfe_u32 s2, ttmp6, 0x40014
	s_lshr_b32 s4, ttmp7, 16
	s_add_co_i32 s2, s2, 1
	s_bfe_u32 s5, ttmp6, 0x40008
	s_mul_i32 s2, s4, s2
	s_getreg_b32 s8, hwreg(HW_REG_IB_STS2, 6, 4)
	s_add_co_i32 s5, s5, s2
	s_cmp_eq_u32 s8, 0
	s_mov_b32 s21, 0
	s_cselect_b32 s20, s4, s5
	s_wait_kmcnt 0x0
	s_cmp_ge_u32 s20, s3
	s_cbranch_scc1 .LBB226_62
; %bb.1:
	s_clause 0x5
	s_load_b32 s26, s[0:1], 0x38
	s_load_b96 s[16:18], s[0:1], 0x50
	s_load_b128 s[4:7], s[0:1], 0x4
	s_load_b32 s9, s[0:1], 0x70
	s_load_b64 s[28:29], s[0:1], 0x60
	s_load_b128 s[12:15], s[0:1], 0x40
	v_dual_mov_b32 v9, 0 :: v_dual_lshlrev_b32 v8, 4, v0
	s_wait_kmcnt 0x0
	s_ashr_i32 s27, s26, 31
	s_ashr_i32 s25, s18, 31
	s_cmp_eq_u32 s4, 0x71
	s_cselect_b32 s2, -1, 0
	s_bfe_u32 s10, ttmp6, 0x4000c
	s_min_i32 s19, s6, 24
	s_add_co_i32 s10, s10, 1
	s_and_b32 s11, ttmp6, 15
	s_mul_i32 s10, ttmp9, s10
	s_add_co_i32 s9, s9, -1
	s_add_co_i32 s22, s19, -1
	s_add_co_i32 s11, s11, s10
	s_cmp_eq_u32 s8, 0
	s_cselect_b32 s8, ttmp9, s11
	s_delay_alu instid0(SALU_CYCLE_1) | instskip(NEXT) | instid1(SALU_CYCLE_1)
	s_mul_i32 s10, s8, 0xffffffe8
	s_add_co_i32 s7, s7, s10
	s_cmp_ge_u32 s8, s9
	s_mul_i32 s8, s8, 24
	s_cselect_b32 s30, s7, 24
	s_ashr_i32 s9, s8, 31
	s_cmp_lg_u32 s5, 0x84
	v_lshl_add_u64 v[2:3], s[8:9], 4, v[8:9]
	s_cselect_b32 s23, -1, 0
	s_cmp_gt_i32 s6, 0
	v_cmp_gt_i32_e32 vcc_lo, s30, v0
	s_cselect_b32 s31, -1, 0
	s_cmp_lg_u32 s4, 0x6f
	s_cselect_b32 s24, -1, 0
	s_lshl_b64 s[4:5], s[16:17], 4
	s_delay_alu instid0(SALU_CYCLE_1) | instskip(SKIP_3) | instid1(VALU_DEP_1)
	s_add_nc_u64 s[4:5], s[14:15], s[4:5]
	s_lshl_b64 s[14:15], s[28:29], 4
	v_mad_nc_u64_u32 v[10:11], v2, s18, s[4:5]
	s_load_b256 s[4:11], s[0:1], 0x18
	v_mad_u32 v1, v3, s18, v11
	s_or_b32 s18, 0, 8
	s_wait_kmcnt 0x0
	s_lshl_b64 s[0:1], s[10:11], 4
	s_delay_alu instid0(VALU_DEP_1)
	v_mad_u32 v11, v2, s25, v1
	s_add_nc_u64 s[0:1], s[8:9], s[0:1]
	v_mul_u32_u24_e32 v1, 0x180, v0
	v_add_nc_u64_e32 v[2:3], s[0:1], v[8:9]
	v_or_b32_e32 v9, 0x2400, v8
	v_cmp_gt_i32_e64 s0, s19, v0
	s_lshl_b32 s25, s19, 4
	v_add_nc_u32_e32 v16, v8, v1
	s_and_b32 s1, vcc_lo, s31
	s_lshl_b64 s[8:9], s[12:13], 4
	v_add_nc_u64_e32 v[12:13], 8, v[2:3]
	v_add_nc_u64_e32 v[14:15], 8, v[10:11]
	s_lshl_b64 s[10:11], s[26:27], 4
	s_add_co_i32 s25, s25, -16
	s_get_pc_i64 s[12:13]
	s_add_nc_u64 s[12:13], s[12:13], __const._ZL38rocblas_trsm_small_left_device_sharedBILi24ELi24ELb1E19rocblas_complex_numIdES1_PKS1_PS1_Ev13rocblas_fill_18rocblas_operation_17rocblas_diagonal_iiT3_T4_lilT5_lili.step_sizes@rel64+4
	s_branch .LBB226_3
.LBB226_2:                              ;   in Loop: Header=BB226_3 Depth=1
	s_or_b32 exec_lo, exec_lo, s26
	s_add_co_i32 s20, s20, 0x10000
	s_delay_alu instid0(SALU_CYCLE_1)
	s_cmp_lt_u32 s20, s3
	s_cbranch_scc0 .LBB226_62
.LBB226_3:                              ; =>This Loop Header: Depth=1
                                        ;     Child Loop BB226_5 Depth 2
                                        ;     Child Loop BB226_16 Depth 2
	;; [unrolled: 1-line block ×3, first 2 shown]
                                        ;       Child Loop BB226_23 Depth 3
                                        ;         Child Loop BB226_24 Depth 4
                                        ;         Child Loop BB226_26 Depth 4
                                        ;           Child Loop BB226_27 Depth 5
                                        ;         Child Loop BB226_31 Depth 4
                                        ;           Child Loop BB226_33 Depth 5
                                        ;     Child Loop BB226_41 Depth 2
                                        ;       Child Loop BB226_44 Depth 3
                                        ;         Child Loop BB226_45 Depth 4
                                        ;         Child Loop BB226_48 Depth 4
                                        ;           Child Loop BB226_49 Depth 5
                                        ;         Child Loop BB226_53 Depth 4
                                        ;           Child Loop BB226_55 Depth 5
                                        ;     Child Loop BB226_61 Depth 2
	s_and_saveexec_b32 s16, s0
	s_cbranch_execz .LBB226_14
; %bb.4:                                ;   in Loop: Header=BB226_3 Depth=1
	v_mad_nc_u64_u32 v[0:1], s8, s20, v[12:13]
	v_mov_b32_e32 v2, v8
	s_mov_b32 s17, s19
	s_delay_alu instid0(VALU_DEP_2)
	v_mad_u32 v1, s9, s20, v1
.LBB226_5:                              ;   Parent Loop BB226_3 Depth=1
                                        ; =>  This Inner Loop Header: Depth=2
	global_load_b128 v[4:7], v[0:1], off offset:-8
	s_wait_xcnt 0x0
	v_add_nc_u64_e32 v[0:1], s[10:11], v[0:1]
	s_add_co_i32 s17, s17, -1
	s_delay_alu instid0(SALU_CYCLE_1) | instskip(SKIP_2) | instid1(VALU_DEP_1)
	s_cmp_eq_u32 s17, 0
	s_wait_loadcnt 0x0
	v_xor_b32_e32 v3, 0x80000000, v7
	v_cndmask_b32_e64 v7, v7, v3, s2
	ds_store_b128 v2, v[4:7]
	v_add_nc_u32_e32 v2, 0x180, v2
	s_cbranch_scc0 .LBB226_5
; %bb.6:                                ;   in Loop: Header=BB226_3 Depth=1
	s_and_b32 vcc_lo, exec_lo, s23
	s_cbranch_vccz .LBB226_12
; %bb.7:                                ;   in Loop: Header=BB226_3 Depth=1
	ds_load_b128 v[0:3], v16
                                        ; implicit-def: $vgpr6_vgpr7
	s_wait_dscnt 0x0
	v_cmp_ngt_f64_e64 s17, |v[0:1]|, |v[2:3]|
	s_and_saveexec_b32 s26, s17
	s_delay_alu instid0(SALU_CYCLE_1)
	s_xor_b32 s17, exec_lo, s26
	s_cbranch_execz .LBB226_9
; %bb.8:                                ;   in Loop: Header=BB226_3 Depth=1
	v_div_scale_f64 v[4:5], null, v[2:3], v[2:3], v[0:1]
	v_div_scale_f64 v[20:21], vcc_lo, v[0:1], v[2:3], v[0:1]
	s_delay_alu instid0(VALU_DEP_2) | instskip(SKIP_1) | instid1(TRANS32_DEP_1)
	v_rcp_f64_e32 v[6:7], v[4:5]
	v_nop
	v_fma_f64 v[18:19], -v[4:5], v[6:7], 1.0
	s_delay_alu instid0(VALU_DEP_1) | instskip(NEXT) | instid1(VALU_DEP_1)
	v_fmac_f64_e32 v[6:7], v[6:7], v[18:19]
	v_fma_f64 v[18:19], -v[4:5], v[6:7], 1.0
	s_delay_alu instid0(VALU_DEP_1) | instskip(NEXT) | instid1(VALU_DEP_1)
	v_fmac_f64_e32 v[6:7], v[6:7], v[18:19]
	v_mul_f64_e32 v[18:19], v[20:21], v[6:7]
	s_delay_alu instid0(VALU_DEP_1) | instskip(NEXT) | instid1(VALU_DEP_1)
	v_fma_f64 v[4:5], -v[4:5], v[18:19], v[20:21]
	v_div_fmas_f64 v[4:5], v[4:5], v[6:7], v[18:19]
	s_delay_alu instid0(VALU_DEP_1) | instskip(NEXT) | instid1(VALU_DEP_1)
	v_div_fixup_f64 v[4:5], v[4:5], v[2:3], v[0:1]
	v_fmac_f64_e32 v[2:3], v[0:1], v[4:5]
	s_delay_alu instid0(VALU_DEP_1) | instskip(SKIP_1) | instid1(VALU_DEP_2)
	v_div_scale_f64 v[0:1], null, v[2:3], v[2:3], 1.0
	v_div_scale_f64 v[20:21], vcc_lo, 1.0, v[2:3], 1.0
	v_rcp_f64_e32 v[6:7], v[0:1]
	v_nop
	s_delay_alu instid0(TRANS32_DEP_1) | instskip(NEXT) | instid1(VALU_DEP_1)
	v_fma_f64 v[18:19], -v[0:1], v[6:7], 1.0
	v_fmac_f64_e32 v[6:7], v[6:7], v[18:19]
	s_delay_alu instid0(VALU_DEP_1) | instskip(NEXT) | instid1(VALU_DEP_1)
	v_fma_f64 v[18:19], -v[0:1], v[6:7], 1.0
	v_fmac_f64_e32 v[6:7], v[6:7], v[18:19]
	s_delay_alu instid0(VALU_DEP_1) | instskip(NEXT) | instid1(VALU_DEP_1)
	v_mul_f64_e32 v[18:19], v[20:21], v[6:7]
	v_fma_f64 v[0:1], -v[0:1], v[18:19], v[20:21]
	s_delay_alu instid0(VALU_DEP_1) | instskip(SKIP_1) | instid1(VALU_DEP_2)
	v_div_fmas_f64 v[0:1], v[0:1], v[6:7], v[18:19]
	v_add_f64_e32 v[6:7], 0, v[4:5]
	v_div_fixup_f64 v[0:1], v[0:1], v[2:3], 1.0
	v_fma_f64 v[2:3], v[4:5], 0, -1.0
	s_delay_alu instid0(VALU_DEP_2) | instskip(NEXT) | instid1(VALU_DEP_2)
	v_mul_f64_e32 v[4:5], v[6:7], v[0:1]
	v_mul_f64_e32 v[6:7], v[2:3], v[0:1]
                                        ; implicit-def: $vgpr0_vgpr1
.LBB226_9:                              ;   in Loop: Header=BB226_3 Depth=1
	s_and_not1_saveexec_b32 s17, s17
	s_cbranch_execz .LBB226_11
; %bb.10:                               ;   in Loop: Header=BB226_3 Depth=1
	v_div_scale_f64 v[4:5], null, v[0:1], v[0:1], v[2:3]
	v_div_scale_f64 v[20:21], vcc_lo, v[2:3], v[0:1], v[2:3]
	s_delay_alu instid0(VALU_DEP_2) | instskip(SKIP_1) | instid1(TRANS32_DEP_1)
	v_rcp_f64_e32 v[6:7], v[4:5]
	v_nop
	v_fma_f64 v[18:19], -v[4:5], v[6:7], 1.0
	s_delay_alu instid0(VALU_DEP_1) | instskip(NEXT) | instid1(VALU_DEP_1)
	v_fmac_f64_e32 v[6:7], v[6:7], v[18:19]
	v_fma_f64 v[18:19], -v[4:5], v[6:7], 1.0
	s_delay_alu instid0(VALU_DEP_1) | instskip(NEXT) | instid1(VALU_DEP_1)
	v_fmac_f64_e32 v[6:7], v[6:7], v[18:19]
	v_mul_f64_e32 v[18:19], v[20:21], v[6:7]
	s_delay_alu instid0(VALU_DEP_1) | instskip(NEXT) | instid1(VALU_DEP_1)
	v_fma_f64 v[4:5], -v[4:5], v[18:19], v[20:21]
	v_div_fmas_f64 v[4:5], v[4:5], v[6:7], v[18:19]
	s_delay_alu instid0(VALU_DEP_1) | instskip(NEXT) | instid1(VALU_DEP_1)
	v_div_fixup_f64 v[4:5], v[4:5], v[0:1], v[2:3]
	v_fmac_f64_e32 v[0:1], v[2:3], v[4:5]
	s_delay_alu instid0(VALU_DEP_1) | instskip(SKIP_1) | instid1(VALU_DEP_2)
	v_div_scale_f64 v[2:3], null, v[0:1], v[0:1], 1.0
	v_div_scale_f64 v[20:21], vcc_lo, 1.0, v[0:1], 1.0
	v_rcp_f64_e32 v[6:7], v[2:3]
	v_nop
	s_delay_alu instid0(TRANS32_DEP_1) | instskip(NEXT) | instid1(VALU_DEP_1)
	v_fma_f64 v[18:19], -v[2:3], v[6:7], 1.0
	v_fmac_f64_e32 v[6:7], v[6:7], v[18:19]
	s_delay_alu instid0(VALU_DEP_1) | instskip(NEXT) | instid1(VALU_DEP_1)
	v_fma_f64 v[18:19], -v[2:3], v[6:7], 1.0
	v_fmac_f64_e32 v[6:7], v[6:7], v[18:19]
	s_delay_alu instid0(VALU_DEP_1) | instskip(NEXT) | instid1(VALU_DEP_1)
	v_mul_f64_e32 v[18:19], v[20:21], v[6:7]
	v_fma_f64 v[2:3], -v[2:3], v[18:19], v[20:21]
	s_delay_alu instid0(VALU_DEP_1) | instskip(SKIP_1) | instid1(VALU_DEP_2)
	v_div_fmas_f64 v[2:3], v[2:3], v[6:7], v[18:19]
	v_fma_f64 v[6:7], v[4:5], 0, 1.0
	v_div_fixup_f64 v[0:1], v[2:3], v[0:1], 1.0
	v_add_f64_e64 v[2:3], -v[4:5], 0
	s_delay_alu instid0(VALU_DEP_2) | instskip(NEXT) | instid1(VALU_DEP_2)
	v_mul_f64_e32 v[4:5], v[6:7], v[0:1]
	v_mul_f64_e32 v[6:7], v[2:3], v[0:1]
.LBB226_11:                             ;   in Loop: Header=BB226_3 Depth=1
	s_or_b32 exec_lo, exec_lo, s17
	s_branch .LBB226_13
.LBB226_12:                             ;   in Loop: Header=BB226_3 Depth=1
	v_mov_b64_e32 v[6:7], 0
	v_mov_b64_e32 v[4:5], 1.0
.LBB226_13:                             ;   in Loop: Header=BB226_3 Depth=1
	ds_store_b128 v16, v[4:7]
.LBB226_14:                             ;   in Loop: Header=BB226_3 Depth=1
	s_or_b32 exec_lo, exec_lo, s16
	s_mul_u64 s[16:17], s[14:15], s[20:21]
	s_and_saveexec_b32 s26, s1
	s_cbranch_execz .LBB226_17
; %bb.15:                               ;   in Loop: Header=BB226_3 Depth=1
	v_add_nc_u64_e32 v[0:1], s[16:17], v[14:15]
	v_mov_b32_e32 v2, v9
	s_mov_b32 s27, s19
.LBB226_16:                             ;   Parent Loop BB226_3 Depth=1
                                        ; =>  This Inner Loop Header: Depth=2
	global_load_b128 v[4:7], v[0:1], off offset:-8
	s_wait_xcnt 0x0
	v_add_nc_u64_e32 v[0:1], 16, v[0:1]
	s_add_co_i32 s27, s27, -1
	s_delay_alu instid0(SALU_CYCLE_1) | instskip(SKIP_3) | instid1(VALU_DEP_2)
	s_cmp_lg_u32 s27, 0
	s_wait_loadcnt 0x0
	v_mul_f64_e32 v[18:19], s[6:7], v[6:7]
	v_mul_f64_e32 v[20:21], s[4:5], v[6:7]
	v_fma_f64 v[18:19], s[4:5], v[4:5], -v[18:19]
	s_delay_alu instid0(VALU_DEP_2)
	v_fmac_f64_e32 v[20:21], s[6:7], v[4:5]
	ds_store_b128 v2, v[18:21]
	v_add_nc_u32_e32 v2, 0x180, v2
	s_cbranch_scc1 .LBB226_16
.LBB226_17:                             ;   in Loop: Header=BB226_3 Depth=1
	s_or_b32 exec_lo, exec_lo, s26
	s_delay_alu instid0(SALU_CYCLE_1)
	s_and_not1_b32 vcc_lo, exec_lo, s24
	s_mov_b32 s26, -1
	s_wait_dscnt 0x0
	; wave barrier
	s_cbranch_vccnz .LBB226_38
; %bb.18:                               ;   in Loop: Header=BB226_3 Depth=1
	s_mov_b32 s27, 0
	s_mov_b32 s26, s22
	s_branch .LBB226_20
.LBB226_19:                             ;   in Loop: Header=BB226_20 Depth=2
	s_cmp_gt_i32 s26, -1
	s_cselect_b32 s28, -1, 0
	s_add_co_i32 s29, s27, 1
	s_cmp_lt_u32 s27, 2
	s_wait_xcnt 0x0
	s_cselect_b32 s27, -1, 0
	s_delay_alu instid0(SALU_CYCLE_1) | instskip(NEXT) | instid1(SALU_CYCLE_1)
	s_and_b32 s27, s28, s27
	s_and_b32 vcc_lo, exec_lo, s27
	s_mov_b32 s27, s29
	s_cbranch_vccz .LBB226_37
.LBB226_20:                             ;   Parent Loop BB226_3 Depth=1
                                        ; =>  This Loop Header: Depth=2
                                        ;       Child Loop BB226_23 Depth 3
                                        ;         Child Loop BB226_24 Depth 4
                                        ;         Child Loop BB226_26 Depth 4
                                        ;           Child Loop BB226_27 Depth 5
                                        ;         Child Loop BB226_31 Depth 4
                                        ;           Child Loop BB226_33 Depth 5
	s_load_b32 s28, s[12:13], s27 offset:0x0 scale_offset
	s_wait_kmcnt 0x0
	s_add_co_i32 s29, s28, -1
	s_delay_alu instid0(SALU_CYCLE_1)
	s_cmp_lt_i32 s26, s29
	s_cbranch_scc1 .LBB226_19
; %bb.21:                               ;   in Loop: Header=BB226_20 Depth=2
	s_mul_i32 s33, s26, 0x180
	s_max_i32 s30, s28, 1
	v_add_nc_u32_e32 v4, s33, v9
	s_mul_i32 s31, s28, 0xfffffe80
	s_add_co_i32 s33, s25, s33
	s_mul_i32 s34, s26, 0x190
	s_mul_i32 s35, s28, 0xfffffe70
	s_branch .LBB226_23
.LBB226_22:                             ;   in Loop: Header=BB226_23 Depth=3
	v_add_nc_u32_e32 v4, s31, v4
	s_sub_co_i32 s26, s26, s28
	s_add_co_i32 s33, s33, s31
	s_add_co_i32 s34, s34, s35
	s_cmp_lt_i32 s26, s29
	s_cbranch_scc1 .LBB226_19
.LBB226_23:                             ;   Parent Loop BB226_3 Depth=1
                                        ;     Parent Loop BB226_20 Depth=2
                                        ; =>    This Loop Header: Depth=3
                                        ;         Child Loop BB226_24 Depth 4
                                        ;         Child Loop BB226_26 Depth 4
                                        ;           Child Loop BB226_27 Depth 5
                                        ;         Child Loop BB226_31 Depth 4
                                        ;           Child Loop BB226_33 Depth 5
	v_mov_b32_e32 v0, v4
	s_mov_b32 s36, 0
	s_mov_b32 s37, s30
.LBB226_24:                             ;   Parent Loop BB226_3 Depth=1
                                        ;     Parent Loop BB226_20 Depth=2
                                        ;       Parent Loop BB226_23 Depth=3
                                        ; =>      This Inner Loop Header: Depth=4
	ds_load_b128 v[18:21], v0
	v_add_nc_u32_e32 v0, 0xfffffe80, v0
	s_add_co_i32 s37, s37, -1
	s_wait_dscnt 0x0
	scratch_store_b128 off, v[18:21], s36
	s_wait_xcnt 0x0
	s_add_co_i32 s36, s36, 16
	s_cmp_eq_u32 s37, 0
	s_cbranch_scc0 .LBB226_24
; %bb.25:                               ;   in Loop: Header=BB226_23 Depth=3
	s_cmp_le_i32 s22, s26
	s_mov_b32 s36, s33
	s_mov_b32 s37, s22
	s_cbranch_scc1 .LBB226_29
.LBB226_26:                             ;   Parent Loop BB226_3 Depth=1
                                        ;     Parent Loop BB226_20 Depth=2
                                        ;       Parent Loop BB226_23 Depth=3
                                        ; =>      This Loop Header: Depth=4
                                        ;           Child Loop BB226_27 Depth 5
	v_mad_u32 v0, 0x180, s37, v9
	s_mov_b32 s38, s18
	s_mov_b32 s39, s36
	;; [unrolled: 1-line block ×3, first 2 shown]
	ds_load_b128 v[0:3], v0
.LBB226_27:                             ;   Parent Loop BB226_3 Depth=1
                                        ;     Parent Loop BB226_20 Depth=2
                                        ;       Parent Loop BB226_23 Depth=3
                                        ;         Parent Loop BB226_26 Depth=4
                                        ; =>        This Inner Loop Header: Depth=5
	scratch_load_b128 v[18:21], off, s38 offset:-8
	v_mov_b32_e32 v5, s39
	s_add_co_i32 s40, s40, -1
	s_addk_co_i32 s39, 0xfe80
	ds_load_b128 v[22:25], v5
	s_wait_dscnt 0x0
	v_mul_f64_e32 v[6:7], v[2:3], v[24:25]
	v_mul_f64_e32 v[24:25], v[0:1], v[24:25]
	s_delay_alu instid0(VALU_DEP_2) | instskip(NEXT) | instid1(VALU_DEP_2)
	v_fma_f64 v[6:7], v[0:1], v[22:23], -v[6:7]
	v_fmac_f64_e32 v[24:25], v[2:3], v[22:23]
	s_wait_loadcnt 0x0
	s_delay_alu instid0(VALU_DEP_2) | instskip(NEXT) | instid1(VALU_DEP_2)
	v_add_f64_e64 v[18:19], v[18:19], -v[6:7]
	v_add_f64_e64 v[20:21], v[20:21], -v[24:25]
	scratch_store_b128 off, v[18:21], s38 offset:-8
	s_wait_xcnt 0x0
	s_add_co_i32 s38, s38, 16
	s_cmp_eq_u32 s40, 0
	s_cbranch_scc0 .LBB226_27
; %bb.28:                               ;   in Loop: Header=BB226_26 Depth=4
	s_add_co_i32 s37, s37, -1
	s_add_co_i32 s36, s36, -16
	s_cmp_le_i32 s37, s26
	s_cbranch_scc0 .LBB226_26
.LBB226_29:                             ;   in Loop: Header=BB226_23 Depth=3
	s_mul_i32 s36, s26, 0x180
	s_mov_b32 s37, 0
	s_mov_b32 s38, s34
	s_branch .LBB226_31
.LBB226_30:                             ;   in Loop: Header=BB226_31 Depth=4
	s_wait_xcnt 0x0
	s_mulk_i32 s40, 0x190
	s_addk_co_i32 s38, 0xfe80
	v_mov_b32_e32 v5, s40
	s_lshl_b32 s40, s37, 4
	s_add_co_i32 s37, s37, 1
	s_delay_alu instid0(SALU_CYCLE_1) | instskip(SKIP_4) | instid1(VALU_DEP_2)
	s_cmp_eq_u32 s37, s30
	ds_load_b128 v[18:21], v5
	s_wait_loadcnt_dscnt 0x0
	v_mul_f64_e32 v[6:7], v[20:21], v[2:3]
	v_mul_f64_e32 v[24:25], v[18:19], v[2:3]
	v_fma_f64 v[22:23], v[18:19], v[0:1], -v[6:7]
	s_delay_alu instid0(VALU_DEP_2)
	v_fmac_f64_e32 v[24:25], v[20:21], v[0:1]
	v_add_nc_u32_e32 v0, s39, v9
	scratch_store_b128 off, v[22:25], s40
	ds_store_b128 v0, v[22:25]
	s_cbranch_scc1 .LBB226_22
.LBB226_31:                             ;   Parent Loop BB226_3 Depth=1
                                        ;     Parent Loop BB226_20 Depth=2
                                        ;       Parent Loop BB226_23 Depth=3
                                        ; =>      This Loop Header: Depth=4
                                        ;           Child Loop BB226_33 Depth 5
	s_cmp_lg_u32 s37, 0
	s_cbranch_scc0 .LBB226_35
; %bb.32:                               ;   in Loop: Header=BB226_31 Depth=4
	s_lshl_b32 s41, s37, 4
	s_wait_xcnt 0x0
	s_sub_co_i32 s40, s26, s37
	scratch_load_b128 v[0:3], off, s41
	s_mul_i32 s39, s40, 0x180
	s_mov_b32 s42, s18
	s_mov_b32 s43, s38
	;; [unrolled: 1-line block ×3, first 2 shown]
.LBB226_33:                             ;   Parent Loop BB226_3 Depth=1
                                        ;     Parent Loop BB226_20 Depth=2
                                        ;       Parent Loop BB226_23 Depth=3
                                        ;         Parent Loop BB226_31 Depth=4
                                        ; =>        This Inner Loop Header: Depth=5
	scratch_load_b128 v[18:21], off, s42 offset:-8
	v_mov_b32_e32 v5, s43
	s_add_co_i32 s44, s44, -1
	s_add_co_i32 s43, s43, -16
	s_wait_xcnt 0x0
	s_add_co_i32 s42, s42, 16
	s_cmp_eq_u32 s44, 0
	ds_load_b128 v[22:25], v5
	s_wait_loadcnt_dscnt 0x0
	v_mul_f64_e32 v[6:7], v[24:25], v[20:21]
	v_mul_f64_e32 v[20:21], v[22:23], v[20:21]
	s_delay_alu instid0(VALU_DEP_2) | instskip(NEXT) | instid1(VALU_DEP_2)
	v_fma_f64 v[6:7], v[22:23], v[18:19], -v[6:7]
	v_fmac_f64_e32 v[20:21], v[24:25], v[18:19]
	s_delay_alu instid0(VALU_DEP_2) | instskip(NEXT) | instid1(VALU_DEP_2)
	v_add_f64_e64 v[0:1], v[0:1], -v[6:7]
	v_add_f64_e64 v[2:3], v[2:3], -v[20:21]
	scratch_store_b128 off, v[0:3], s41
	s_cbranch_scc0 .LBB226_33
; %bb.34:                               ;   in Loop: Header=BB226_31 Depth=4
	s_wait_xcnt 0x0
	s_branch .LBB226_30
.LBB226_35:                             ;   in Loop: Header=BB226_31 Depth=4
                                        ; implicit-def: $vgpr0_vgpr1
                                        ; implicit-def: $sgpr40
                                        ; implicit-def: $sgpr39
	s_cbranch_execz .LBB226_30
; %bb.36:                               ;   in Loop: Header=BB226_31 Depth=4
	scratch_load_b128 v[0:3], off, off
	s_mov_b32 s39, s36
	s_wait_xcnt 0x1
	s_mov_b32 s40, s26
	s_branch .LBB226_30
.LBB226_37:                             ;   in Loop: Header=BB226_3 Depth=1
	s_mov_b32 s26, 0
.LBB226_38:                             ;   in Loop: Header=BB226_3 Depth=1
	s_delay_alu instid0(SALU_CYCLE_1)
	s_and_b32 vcc_lo, exec_lo, s26
	s_cbranch_vccz .LBB226_59
; %bb.39:                               ;   in Loop: Header=BB226_3 Depth=1
	s_mov_b32 s27, 0
	s_mov_b32 s26, 0
	s_branch .LBB226_41
.LBB226_40:                             ;   in Loop: Header=BB226_41 Depth=2
	s_cmp_lt_i32 s26, s19
	s_cselect_b32 s28, -1, 0
	s_add_co_i32 s29, s27, 1
	s_cmp_lt_u32 s27, 2
	s_wait_xcnt 0x0
	s_cselect_b32 s27, -1, 0
	s_delay_alu instid0(SALU_CYCLE_1) | instskip(NEXT) | instid1(SALU_CYCLE_1)
	s_and_b32 s27, s28, s27
	s_and_not1_b32 vcc_lo, exec_lo, s27
	s_mov_b32 s27, s29
	s_cbranch_vccnz .LBB226_59
.LBB226_41:                             ;   Parent Loop BB226_3 Depth=1
                                        ; =>  This Loop Header: Depth=2
                                        ;       Child Loop BB226_44 Depth 3
                                        ;         Child Loop BB226_45 Depth 4
                                        ;         Child Loop BB226_48 Depth 4
                                        ;           Child Loop BB226_49 Depth 5
                                        ;         Child Loop BB226_53 Depth 4
                                        ;           Child Loop BB226_55 Depth 5
	s_load_b32 s28, s[12:13], s27 offset:0x0 scale_offset
	s_wait_kmcnt 0x0
	s_add_co_i32 s29, s28, -1
	s_delay_alu instid0(SALU_CYCLE_1) | instskip(NEXT) | instid1(SALU_CYCLE_1)
	s_add_co_i32 s30, s29, s26
	s_cmp_ge_i32 s30, s19
	s_cbranch_scc1 .LBB226_40
; %bb.42:                               ;   in Loop: Header=BB226_41 Depth=2
	v_mad_u32 v4, 0x180, s26, v9
	s_max_i32 s30, s28, 1
	s_mul_i32 s31, s28, 0x180
	s_lshl_b32 s33, s26, 4
	s_lshl_b32 s34, s28, 4
	s_mul_i32 s35, s26, 0x190
	s_mul_i32 s36, s28, 0x190
	s_branch .LBB226_44
.LBB226_43:                             ;   in Loop: Header=BB226_44 Depth=3
	s_add_co_i32 s26, s26, s28
	v_add_nc_u32_e32 v4, s31, v4
	s_add_co_i32 s37, s29, s26
	s_add_co_i32 s33, s33, s34
	;; [unrolled: 1-line block ×3, first 2 shown]
	s_cmp_ge_i32 s37, s19
	s_cbranch_scc1 .LBB226_40
.LBB226_44:                             ;   Parent Loop BB226_3 Depth=1
                                        ;     Parent Loop BB226_41 Depth=2
                                        ; =>    This Loop Header: Depth=3
                                        ;         Child Loop BB226_45 Depth 4
                                        ;         Child Loop BB226_48 Depth 4
                                        ;           Child Loop BB226_49 Depth 5
                                        ;         Child Loop BB226_53 Depth 4
                                        ;           Child Loop BB226_55 Depth 5
	s_delay_alu instid0(VALU_DEP_1)
	v_mov_b32_e32 v0, v4
	s_mov_b32 s37, 0
	s_mov_b32 s38, s30
.LBB226_45:                             ;   Parent Loop BB226_3 Depth=1
                                        ;     Parent Loop BB226_41 Depth=2
                                        ;       Parent Loop BB226_44 Depth=3
                                        ; =>      This Inner Loop Header: Depth=4
	ds_load_b128 v[18:21], v0
	v_add_nc_u32_e32 v0, 0x180, v0
	s_add_co_i32 s38, s38, -1
	s_wait_dscnt 0x0
	scratch_store_b128 off, v[18:21], s37
	s_wait_xcnt 0x0
	s_add_co_i32 s37, s37, 16
	s_cmp_eq_u32 s38, 0
	s_cbranch_scc0 .LBB226_45
; %bb.46:                               ;   in Loop: Header=BB226_44 Depth=3
	s_cmp_lt_i32 s26, 1
	s_cbranch_scc1 .LBB226_51
; %bb.47:                               ;   in Loop: Header=BB226_44 Depth=3
	s_mov_b32 s37, 0
	s_mov_b32 s38, s33
.LBB226_48:                             ;   Parent Loop BB226_3 Depth=1
                                        ;     Parent Loop BB226_41 Depth=2
                                        ;       Parent Loop BB226_44 Depth=3
                                        ; =>      This Loop Header: Depth=4
                                        ;           Child Loop BB226_49 Depth 5
	v_mad_u32 v0, 0x180, s37, v9
	s_mov_b32 s39, s18
	s_mov_b32 s40, s38
	;; [unrolled: 1-line block ×3, first 2 shown]
	ds_load_b128 v[0:3], v0
.LBB226_49:                             ;   Parent Loop BB226_3 Depth=1
                                        ;     Parent Loop BB226_41 Depth=2
                                        ;       Parent Loop BB226_44 Depth=3
                                        ;         Parent Loop BB226_48 Depth=4
                                        ; =>        This Inner Loop Header: Depth=5
	scratch_load_b128 v[18:21], off, s39 offset:-8
	v_mov_b32_e32 v5, s40
	s_add_co_i32 s41, s41, -1
	s_add_co_i32 s40, s40, 16
	ds_load_b128 v[22:25], v5
	s_wait_dscnt 0x0
	v_mul_f64_e32 v[6:7], v[2:3], v[24:25]
	v_mul_f64_e32 v[24:25], v[0:1], v[24:25]
	s_delay_alu instid0(VALU_DEP_2) | instskip(NEXT) | instid1(VALU_DEP_2)
	v_fma_f64 v[6:7], v[0:1], v[22:23], -v[6:7]
	v_fmac_f64_e32 v[24:25], v[2:3], v[22:23]
	s_wait_loadcnt 0x0
	s_delay_alu instid0(VALU_DEP_2) | instskip(NEXT) | instid1(VALU_DEP_2)
	v_add_f64_e64 v[18:19], v[18:19], -v[6:7]
	v_add_f64_e64 v[20:21], v[20:21], -v[24:25]
	scratch_store_b128 off, v[18:21], s39 offset:-8
	s_wait_xcnt 0x0
	s_add_co_i32 s39, s39, 16
	s_cmp_eq_u32 s41, 0
	s_cbranch_scc0 .LBB226_49
; %bb.50:                               ;   in Loop: Header=BB226_48 Depth=4
	s_add_co_i32 s37, s37, 1
	s_addk_co_i32 s38, 0x180
	s_cmp_eq_u32 s37, s26
	s_cbranch_scc0 .LBB226_48
.LBB226_51:                             ;   in Loop: Header=BB226_44 Depth=3
	s_mov_b32 s37, 0
	s_mov_b32 s38, s35
	s_branch .LBB226_53
.LBB226_52:                             ;   in Loop: Header=BB226_53 Depth=4
	s_add_co_i32 s39, s37, s26
	s_add_co_i32 s38, s38, 16
	s_mul_i32 s40, s39, 0x190
	s_delay_alu instid0(SALU_CYCLE_1) | instskip(SKIP_4) | instid1(VALU_DEP_2)
	v_mov_b32_e32 v5, s40
	ds_load_b128 v[18:21], v5
	s_wait_loadcnt_dscnt 0x0
	v_mul_f64_e32 v[6:7], v[20:21], v[2:3]
	v_mul_f64_e32 v[24:25], v[18:19], v[2:3]
	v_fma_f64 v[22:23], v[18:19], v[0:1], -v[6:7]
	s_delay_alu instid0(VALU_DEP_2) | instskip(SKIP_3) | instid1(SALU_CYCLE_1)
	v_fmac_f64_e32 v[24:25], v[20:21], v[0:1]
	v_mad_u32 v0, 0x180, s39, v9
	s_lshl_b32 s39, s37, 4
	s_add_co_i32 s37, s37, 1
	s_cmp_eq_u32 s37, s30
	scratch_store_b128 off, v[22:25], s39
	ds_store_b128 v0, v[22:25]
	s_cbranch_scc1 .LBB226_43
.LBB226_53:                             ;   Parent Loop BB226_3 Depth=1
                                        ;     Parent Loop BB226_41 Depth=2
                                        ;       Parent Loop BB226_44 Depth=3
                                        ; =>      This Loop Header: Depth=4
                                        ;           Child Loop BB226_55 Depth 5
	s_cmp_lg_u32 s37, 0
	s_cbranch_scc0 .LBB226_57
; %bb.54:                               ;   in Loop: Header=BB226_53 Depth=4
	s_wait_xcnt 0x0
	s_lshl_b32 s39, s37, 4
	s_mov_b32 s40, s18
	scratch_load_b128 v[0:3], off, s39
	s_mov_b32 s41, s38
	s_mov_b32 s42, s37
.LBB226_55:                             ;   Parent Loop BB226_3 Depth=1
                                        ;     Parent Loop BB226_41 Depth=2
                                        ;       Parent Loop BB226_44 Depth=3
                                        ;         Parent Loop BB226_53 Depth=4
                                        ; =>        This Inner Loop Header: Depth=5
	scratch_load_b128 v[18:21], off, s40 offset:-8
	v_mov_b32_e32 v5, s41
	s_add_co_i32 s42, s42, -1
	s_addk_co_i32 s41, 0x180
	s_wait_xcnt 0x0
	s_add_co_i32 s40, s40, 16
	s_cmp_eq_u32 s42, 0
	ds_load_b128 v[22:25], v5
	s_wait_loadcnt_dscnt 0x0
	v_mul_f64_e32 v[6:7], v[24:25], v[20:21]
	v_mul_f64_e32 v[20:21], v[22:23], v[20:21]
	s_delay_alu instid0(VALU_DEP_2) | instskip(NEXT) | instid1(VALU_DEP_2)
	v_fma_f64 v[6:7], v[22:23], v[18:19], -v[6:7]
	v_fmac_f64_e32 v[20:21], v[24:25], v[18:19]
	s_delay_alu instid0(VALU_DEP_2) | instskip(NEXT) | instid1(VALU_DEP_2)
	v_add_f64_e64 v[0:1], v[0:1], -v[6:7]
	v_add_f64_e64 v[2:3], v[2:3], -v[20:21]
	scratch_store_b128 off, v[0:3], s39
	s_cbranch_scc0 .LBB226_55
; %bb.56:                               ;   in Loop: Header=BB226_53 Depth=4
	s_wait_xcnt 0x0
	s_branch .LBB226_52
.LBB226_57:                             ;   in Loop: Header=BB226_53 Depth=4
	s_wait_xcnt 0x0
                                        ; implicit-def: $vgpr0_vgpr1
	s_cbranch_execz .LBB226_52
; %bb.58:                               ;   in Loop: Header=BB226_53 Depth=4
	scratch_load_b128 v[0:3], off, off
	s_branch .LBB226_52
.LBB226_59:                             ;   in Loop: Header=BB226_3 Depth=1
	; wave barrier
	s_wait_storecnt_dscnt 0x0
	s_wait_xcnt 0x0
	s_and_saveexec_b32 s26, s1
	s_cbranch_execz .LBB226_2
; %bb.60:                               ;   in Loop: Header=BB226_3 Depth=1
	v_add_nc_u64_e32 v[0:1], s[16:17], v[10:11]
	v_mov_b32_e32 v2, v9
	s_mov_b32 s16, s19
.LBB226_61:                             ;   Parent Loop BB226_3 Depth=1
                                        ; =>  This Inner Loop Header: Depth=2
	ds_load_2addr_b64 v[4:7], v2 offset1:1
	v_add_nc_u32_e32 v2, 0x180, v2
	s_add_co_i32 s16, s16, -1
	s_delay_alu instid0(SALU_CYCLE_1)
	s_cmp_lg_u32 s16, 0
	s_wait_dscnt 0x0
	global_store_b128 v[0:1], v[4:7], off
	s_wait_xcnt 0x0
	v_add_nc_u64_e32 v[0:1], 16, v[0:1]
	s_cbranch_scc1 .LBB226_61
	s_branch .LBB226_2
.LBB226_62:
	s_endpgm
	.section	.rodata,"a",@progbits
	.p2align	6, 0x0
	.amdhsa_kernel _ZL38rocblas_trsm_small_left_device_sharedBILi24ELi24ELb1E19rocblas_complex_numIdES1_PKS1_PS1_Ev13rocblas_fill_18rocblas_operation_17rocblas_diagonal_iiT3_T4_lilT5_lili
		.amdhsa_group_segment_fixed_size 18432
		.amdhsa_private_segment_fixed_size 400
		.amdhsa_kernarg_size 368
		.amdhsa_user_sgpr_count 2
		.amdhsa_user_sgpr_dispatch_ptr 0
		.amdhsa_user_sgpr_queue_ptr 0
		.amdhsa_user_sgpr_kernarg_segment_ptr 1
		.amdhsa_user_sgpr_dispatch_id 0
		.amdhsa_user_sgpr_kernarg_preload_length 0
		.amdhsa_user_sgpr_kernarg_preload_offset 0
		.amdhsa_user_sgpr_private_segment_size 0
		.amdhsa_wavefront_size32 1
		.amdhsa_uses_dynamic_stack 0
		.amdhsa_enable_private_segment 1
		.amdhsa_system_sgpr_workgroup_id_x 1
		.amdhsa_system_sgpr_workgroup_id_y 0
		.amdhsa_system_sgpr_workgroup_id_z 1
		.amdhsa_system_sgpr_workgroup_info 0
		.amdhsa_system_vgpr_workitem_id 0
		.amdhsa_next_free_vgpr 161
		.amdhsa_next_free_sgpr 45
		.amdhsa_named_barrier_count 0
		.amdhsa_reserve_vcc 1
		.amdhsa_float_round_mode_32 0
		.amdhsa_float_round_mode_16_64 0
		.amdhsa_float_denorm_mode_32 3
		.amdhsa_float_denorm_mode_16_64 3
		.amdhsa_fp16_overflow 0
		.amdhsa_memory_ordered 1
		.amdhsa_forward_progress 1
		.amdhsa_inst_pref_size 22
		.amdhsa_round_robin_scheduling 0
		.amdhsa_exception_fp_ieee_invalid_op 0
		.amdhsa_exception_fp_denorm_src 0
		.amdhsa_exception_fp_ieee_div_zero 0
		.amdhsa_exception_fp_ieee_overflow 0
		.amdhsa_exception_fp_ieee_underflow 0
		.amdhsa_exception_fp_ieee_inexact 0
		.amdhsa_exception_int_div_zero 0
	.end_amdhsa_kernel
	.section	.text._ZL38rocblas_trsm_small_left_device_sharedBILi24ELi24ELb1E19rocblas_complex_numIdES1_PKS1_PS1_Ev13rocblas_fill_18rocblas_operation_17rocblas_diagonal_iiT3_T4_lilT5_lili,"axG",@progbits,_ZL38rocblas_trsm_small_left_device_sharedBILi24ELi24ELb1E19rocblas_complex_numIdES1_PKS1_PS1_Ev13rocblas_fill_18rocblas_operation_17rocblas_diagonal_iiT3_T4_lilT5_lili,comdat
.Lfunc_end226:
	.size	_ZL38rocblas_trsm_small_left_device_sharedBILi24ELi24ELb1E19rocblas_complex_numIdES1_PKS1_PS1_Ev13rocblas_fill_18rocblas_operation_17rocblas_diagonal_iiT3_T4_lilT5_lili, .Lfunc_end226-_ZL38rocblas_trsm_small_left_device_sharedBILi24ELi24ELb1E19rocblas_complex_numIdES1_PKS1_PS1_Ev13rocblas_fill_18rocblas_operation_17rocblas_diagonal_iiT3_T4_lilT5_lili
                                        ; -- End function
	.set _ZL38rocblas_trsm_small_left_device_sharedBILi24ELi24ELb1E19rocblas_complex_numIdES1_PKS1_PS1_Ev13rocblas_fill_18rocblas_operation_17rocblas_diagonal_iiT3_T4_lilT5_lili.num_vgpr, 26
	.set _ZL38rocblas_trsm_small_left_device_sharedBILi24ELi24ELb1E19rocblas_complex_numIdES1_PKS1_PS1_Ev13rocblas_fill_18rocblas_operation_17rocblas_diagonal_iiT3_T4_lilT5_lili.num_agpr, 0
	.set _ZL38rocblas_trsm_small_left_device_sharedBILi24ELi24ELb1E19rocblas_complex_numIdES1_PKS1_PS1_Ev13rocblas_fill_18rocblas_operation_17rocblas_diagonal_iiT3_T4_lilT5_lili.numbered_sgpr, 45
	.set _ZL38rocblas_trsm_small_left_device_sharedBILi24ELi24ELb1E19rocblas_complex_numIdES1_PKS1_PS1_Ev13rocblas_fill_18rocblas_operation_17rocblas_diagonal_iiT3_T4_lilT5_lili.num_named_barrier, 0
	.set _ZL38rocblas_trsm_small_left_device_sharedBILi24ELi24ELb1E19rocblas_complex_numIdES1_PKS1_PS1_Ev13rocblas_fill_18rocblas_operation_17rocblas_diagonal_iiT3_T4_lilT5_lili.private_seg_size, 400
	.set _ZL38rocblas_trsm_small_left_device_sharedBILi24ELi24ELb1E19rocblas_complex_numIdES1_PKS1_PS1_Ev13rocblas_fill_18rocblas_operation_17rocblas_diagonal_iiT3_T4_lilT5_lili.uses_vcc, 1
	.set _ZL38rocblas_trsm_small_left_device_sharedBILi24ELi24ELb1E19rocblas_complex_numIdES1_PKS1_PS1_Ev13rocblas_fill_18rocblas_operation_17rocblas_diagonal_iiT3_T4_lilT5_lili.uses_flat_scratch, 0
	.set _ZL38rocblas_trsm_small_left_device_sharedBILi24ELi24ELb1E19rocblas_complex_numIdES1_PKS1_PS1_Ev13rocblas_fill_18rocblas_operation_17rocblas_diagonal_iiT3_T4_lilT5_lili.has_dyn_sized_stack, 0
	.set _ZL38rocblas_trsm_small_left_device_sharedBILi24ELi24ELb1E19rocblas_complex_numIdES1_PKS1_PS1_Ev13rocblas_fill_18rocblas_operation_17rocblas_diagonal_iiT3_T4_lilT5_lili.has_recursion, 0
	.set _ZL38rocblas_trsm_small_left_device_sharedBILi24ELi24ELb1E19rocblas_complex_numIdES1_PKS1_PS1_Ev13rocblas_fill_18rocblas_operation_17rocblas_diagonal_iiT3_T4_lilT5_lili.has_indirect_call, 0
	.section	.AMDGPU.csdata,"",@progbits
; Kernel info:
; codeLenInByte = 2736
; TotalNumSgprs: 47
; NumVgprs: 26
; ScratchSize: 400
; MemoryBound: 0
; FloatMode: 240
; IeeeMode: 1
; LDSByteSize: 18432 bytes/workgroup (compile time only)
; SGPRBlocks: 0
; VGPRBlocks: 10
; NumSGPRsForWavesPerEU: 47
; NumVGPRsForWavesPerEU: 161
; NamedBarCnt: 0
; Occupancy: 5
; WaveLimiterHint : 0
; COMPUTE_PGM_RSRC2:SCRATCH_EN: 1
; COMPUTE_PGM_RSRC2:USER_SGPR: 2
; COMPUTE_PGM_RSRC2:TRAP_HANDLER: 0
; COMPUTE_PGM_RSRC2:TGID_X_EN: 1
; COMPUTE_PGM_RSRC2:TGID_Y_EN: 0
; COMPUTE_PGM_RSRC2:TGID_Z_EN: 1
; COMPUTE_PGM_RSRC2:TIDIG_COMP_CNT: 0
	.section	.text._ZL30rocblas_trsm_small_left_deviceILi24ELi24ELb1E19rocblas_complex_numIdES1_PKS1_PS1_Ev13rocblas_fill_18rocblas_operation_17rocblas_diagonal_iiT3_T4_lilT5_lili,"axG",@progbits,_ZL30rocblas_trsm_small_left_deviceILi24ELi24ELb1E19rocblas_complex_numIdES1_PKS1_PS1_Ev13rocblas_fill_18rocblas_operation_17rocblas_diagonal_iiT3_T4_lilT5_lili,comdat
	.globl	_ZL30rocblas_trsm_small_left_deviceILi24ELi24ELb1E19rocblas_complex_numIdES1_PKS1_PS1_Ev13rocblas_fill_18rocblas_operation_17rocblas_diagonal_iiT3_T4_lilT5_lili ; -- Begin function _ZL30rocblas_trsm_small_left_deviceILi24ELi24ELb1E19rocblas_complex_numIdES1_PKS1_PS1_Ev13rocblas_fill_18rocblas_operation_17rocblas_diagonal_iiT3_T4_lilT5_lili
	.p2align	8
	.type	_ZL30rocblas_trsm_small_left_deviceILi24ELi24ELb1E19rocblas_complex_numIdES1_PKS1_PS1_Ev13rocblas_fill_18rocblas_operation_17rocblas_diagonal_iiT3_T4_lilT5_lili,@function
_ZL30rocblas_trsm_small_left_deviceILi24ELi24ELb1E19rocblas_complex_numIdES1_PKS1_PS1_Ev13rocblas_fill_18rocblas_operation_17rocblas_diagonal_iiT3_T4_lilT5_lili: ; @_ZL30rocblas_trsm_small_left_deviceILi24ELi24ELb1E19rocblas_complex_numIdES1_PKS1_PS1_Ev13rocblas_fill_18rocblas_operation_17rocblas_diagonal_iiT3_T4_lilT5_lili
; %bb.0:
	s_load_b32 s3, s[0:1], 0x68
	s_bfe_u32 s2, ttmp6, 0x40014
	s_lshr_b32 s5, ttmp7, 16
	s_add_co_i32 s2, s2, 1
	s_bfe_u32 s6, ttmp6, 0x40008
	s_mul_i32 s2, s5, s2
	s_getreg_b32 s4, hwreg(HW_REG_IB_STS2, 6, 4)
	s_add_co_i32 s6, s6, s2
	s_cmp_eq_u32 s4, 0
	s_mov_b32 s23, 0
	s_cselect_b32 s20, s5, s6
	s_wait_kmcnt 0x0
	s_cmp_ge_u32 s20, s3
	s_cbranch_scc1 .LBB227_59
; %bb.1:
	s_clause 0x5
	s_load_b32 s26, s[0:1], 0x38
	s_load_b96 s[8:10], s[0:1], 0x50
	s_load_b128 s[12:15], s[0:1], 0x4
	s_load_b32 s6, s[0:1], 0x70
	s_load_b64 s[24:25], s[0:1], 0x60
	s_load_b128 s[16:19], s[0:1], 0x40
	v_mov_b32_e32 v9, 0
	v_mul_u32_u24_e32 v1, 0x180, v0
	s_mov_b32 s37, 0
                                        ; implicit-def: $sgpr38
                                        ; implicit-def: $sgpr39
	v_lshlrev_b32_e32 v8, 4, v0
	s_wait_kmcnt 0x0
	s_ashr_i32 s27, s26, 31
	s_ashr_i32 s5, s10, 31
	s_cmp_eq_u32 s12, 0x71
	s_cselect_b32 s2, -1, 0
	s_bfe_u32 s7, ttmp6, 0x4000c
	s_min_i32 s30, s14, 24
	s_add_co_i32 s7, s7, 1
	s_add_co_i32 s14, s6, -1
	s_and_b32 s6, ttmp6, 15
	s_mul_i32 s7, ttmp9, s7
	s_lshl_b64 s[28:29], s[8:9], 4
	s_add_co_i32 s31, s30, -1
	s_add_co_i32 s6, s6, s7
	s_cmp_eq_u32 s4, 0
	s_mov_b32 s4, s10
	s_cselect_b32 s21, ttmp9, s6
	s_delay_alu instid0(SALU_CYCLE_1) | instskip(NEXT) | instid1(VALU_DEP_1)
	v_mad_u32 v2, s21, 24, v0
	v_ashrrev_i32_e32 v3, 31, v2
	s_delay_alu instid0(VALU_DEP_1) | instskip(SKIP_3) | instid1(SALU_CYCLE_1)
	v_mul_u64_e32 v[2:3], s[4:5], v[2:3]
	s_load_b256 s[4:11], s[0:1], 0x18
	s_wait_xcnt 0x0
	s_mul_i32 s0, s21, 0xffffffe8
	s_add_co_i32 s0, s15, s0
	s_cmp_ge_u32 s21, s14
	s_cselect_b32 s14, s0, 24
	s_cmp_lg_u32 s13, 0x84
	s_cselect_b32 s33, -1, 0
	s_cmp_lg_u32 s12, 0x6f
	s_get_pc_i64 s[12:13]
	s_add_nc_u64 s[12:13], s[12:13], __const._ZL30rocblas_trsm_small_left_deviceILi24ELi24ELb1E19rocblas_complex_numIdES1_PKS1_PS1_Ev13rocblas_fill_18rocblas_operation_17rocblas_diagonal_iiT3_T4_lilT5_lili.step_sizes@rel64+4
	s_cselect_b32 s34, -1, 0
	s_lshl_b32 s36, s30, 4
	s_or_b32 s35, 0, 8
	s_add_co_i32 s36, s36, -16
	s_wait_kmcnt 0x0
	s_lshl_b64 s[0:1], s[10:11], 4
	s_add_nc_u64 s[10:11], s[18:19], s[28:29]
	s_add_nc_u64 s[8:9], s[8:9], s[0:1]
	v_cmp_gt_i32_e64 s0, s30, v0
	v_add_nc_u64_e32 v[4:5], s[8:9], v[8:9]
	v_cmp_gt_i32_e64 s1, s14, v0
	v_add_nc_u32_e32 v9, v8, v1
	s_lshl_b64 s[8:9], s[16:17], 4
	s_lshl_b64 s[14:15], s[24:25], 4
	v_lshl_add_u64 v[10:11], v[2:3], 4, s[10:11]
	v_add_nc_u64_e32 v[12:13], 8, v[4:5]
	s_lshl_b64 s[10:11], s[26:27], 4
	s_delay_alu instid0(VALU_DEP_2)
	v_add_nc_u64_e32 v[14:15], 8, v[10:11]
	s_branch .LBB227_4
.LBB227_2:                              ;   in Loop: Header=BB227_4 Depth=1
	s_add_co_i32 s20, s20, 0x10000
	s_delay_alu instid0(SALU_CYCLE_1)
	s_cmp_ge_u32 s20, s3
	s_cselect_b32 s16, -1, 0
	s_and_not1_b32 s39, s39, exec_lo
	s_or_not1_b32 s16, s16, exec_lo
.LBB227_3:                              ;   in Loop: Header=BB227_4 Depth=1
	s_wait_xcnt 0x0
	s_or_b32 exec_lo, exec_lo, s40
	s_delay_alu instid0(SALU_CYCLE_1) | instskip(NEXT) | instid1(SALU_CYCLE_1)
	s_and_b32 s16, exec_lo, s16
	s_or_b32 s37, s16, s37
	s_and_not1_b32 s16, s38, exec_lo
	s_and_b32 s17, s39, exec_lo
	s_delay_alu instid0(SALU_CYCLE_1)
	s_or_b32 s38, s16, s17
	s_and_not1_b32 exec_lo, exec_lo, s37
	s_cbranch_execz .LBB227_58
.LBB227_4:                              ; =>This Loop Header: Depth=1
                                        ;     Child Loop BB227_6 Depth 2
                                        ;     Child Loop BB227_19 Depth 2
                                        ;       Child Loop BB227_22 Depth 3
                                        ;         Child Loop BB227_23 Depth 4
                                        ;         Child Loop BB227_25 Depth 4
                                        ;           Child Loop BB227_26 Depth 5
                                        ;         Child Loop BB227_30 Depth 4
                                        ;           Child Loop BB227_32 Depth 5
                                        ;     Child Loop BB227_40 Depth 2
                                        ;       Child Loop BB227_43 Depth 3
                                        ;         Child Loop BB227_44 Depth 4
                                        ;         Child Loop BB227_47 Depth 4
                                        ;           Child Loop BB227_48 Depth 5
                                        ;         Child Loop BB227_52 Depth 4
                                        ;           Child Loop BB227_54 Depth 5
	s_mov_b32 s21, s23
	s_and_saveexec_b32 s16, s0
	s_cbranch_execz .LBB227_15
; %bb.5:                                ;   in Loop: Header=BB227_4 Depth=1
	v_mad_nc_u64_u32 v[0:1], s8, s20, v[12:13]
	v_mov_b32_e32 v2, v8
	s_mov_b32 s17, s30
	s_delay_alu instid0(VALU_DEP_2)
	v_mad_u32 v1, s9, s20, v1
.LBB227_6:                              ;   Parent Loop BB227_4 Depth=1
                                        ; =>  This Inner Loop Header: Depth=2
	global_load_b128 v[4:7], v[0:1], off offset:-8
	s_wait_xcnt 0x0
	v_add_nc_u64_e32 v[0:1], s[10:11], v[0:1]
	s_add_co_i32 s17, s17, -1
	s_delay_alu instid0(SALU_CYCLE_1) | instskip(SKIP_2) | instid1(VALU_DEP_1)
	s_cmp_eq_u32 s17, 0
	s_wait_loadcnt 0x0
	v_xor_b32_e32 v3, 0x80000000, v7
	v_cndmask_b32_e64 v7, v7, v3, s2
	ds_store_b128 v2, v[4:7]
	v_add_nc_u32_e32 v2, 0x180, v2
	s_cbranch_scc0 .LBB227_6
; %bb.7:                                ;   in Loop: Header=BB227_4 Depth=1
	s_and_b32 vcc_lo, exec_lo, s33
	s_cbranch_vccz .LBB227_13
; %bb.8:                                ;   in Loop: Header=BB227_4 Depth=1
	ds_load_b128 v[0:3], v9
                                        ; implicit-def: $vgpr6_vgpr7
	s_wait_dscnt 0x0
	v_cmp_ngt_f64_e64 s17, |v[0:1]|, |v[2:3]|
	s_and_saveexec_b32 s18, s17
	s_delay_alu instid0(SALU_CYCLE_1)
	s_xor_b32 s17, exec_lo, s18
	s_cbranch_execz .LBB227_10
; %bb.9:                                ;   in Loop: Header=BB227_4 Depth=1
	v_div_scale_f64 v[4:5], null, v[2:3], v[2:3], v[0:1]
	v_div_scale_f64 v[18:19], vcc_lo, v[0:1], v[2:3], v[0:1]
	s_delay_alu instid0(VALU_DEP_2) | instskip(SKIP_1) | instid1(TRANS32_DEP_1)
	v_rcp_f64_e32 v[6:7], v[4:5]
	v_nop
	v_fma_f64 v[16:17], -v[4:5], v[6:7], 1.0
	s_delay_alu instid0(VALU_DEP_1) | instskip(NEXT) | instid1(VALU_DEP_1)
	v_fmac_f64_e32 v[6:7], v[6:7], v[16:17]
	v_fma_f64 v[16:17], -v[4:5], v[6:7], 1.0
	s_delay_alu instid0(VALU_DEP_1) | instskip(NEXT) | instid1(VALU_DEP_1)
	v_fmac_f64_e32 v[6:7], v[6:7], v[16:17]
	v_mul_f64_e32 v[16:17], v[18:19], v[6:7]
	s_delay_alu instid0(VALU_DEP_1) | instskip(NEXT) | instid1(VALU_DEP_1)
	v_fma_f64 v[4:5], -v[4:5], v[16:17], v[18:19]
	v_div_fmas_f64 v[4:5], v[4:5], v[6:7], v[16:17]
	s_delay_alu instid0(VALU_DEP_1) | instskip(NEXT) | instid1(VALU_DEP_1)
	v_div_fixup_f64 v[4:5], v[4:5], v[2:3], v[0:1]
	v_fmac_f64_e32 v[2:3], v[0:1], v[4:5]
	s_delay_alu instid0(VALU_DEP_1) | instskip(SKIP_1) | instid1(VALU_DEP_2)
	v_div_scale_f64 v[0:1], null, v[2:3], v[2:3], 1.0
	v_div_scale_f64 v[18:19], vcc_lo, 1.0, v[2:3], 1.0
	v_rcp_f64_e32 v[6:7], v[0:1]
	v_nop
	s_delay_alu instid0(TRANS32_DEP_1) | instskip(NEXT) | instid1(VALU_DEP_1)
	v_fma_f64 v[16:17], -v[0:1], v[6:7], 1.0
	v_fmac_f64_e32 v[6:7], v[6:7], v[16:17]
	s_delay_alu instid0(VALU_DEP_1) | instskip(NEXT) | instid1(VALU_DEP_1)
	v_fma_f64 v[16:17], -v[0:1], v[6:7], 1.0
	v_fmac_f64_e32 v[6:7], v[6:7], v[16:17]
	s_delay_alu instid0(VALU_DEP_1) | instskip(NEXT) | instid1(VALU_DEP_1)
	v_mul_f64_e32 v[16:17], v[18:19], v[6:7]
	v_fma_f64 v[0:1], -v[0:1], v[16:17], v[18:19]
	s_delay_alu instid0(VALU_DEP_1) | instskip(SKIP_1) | instid1(VALU_DEP_2)
	v_div_fmas_f64 v[0:1], v[0:1], v[6:7], v[16:17]
	v_add_f64_e32 v[6:7], 0, v[4:5]
	v_div_fixup_f64 v[0:1], v[0:1], v[2:3], 1.0
	v_fma_f64 v[2:3], v[4:5], 0, -1.0
	s_delay_alu instid0(VALU_DEP_2) | instskip(NEXT) | instid1(VALU_DEP_2)
	v_mul_f64_e32 v[4:5], v[6:7], v[0:1]
	v_mul_f64_e32 v[6:7], v[2:3], v[0:1]
                                        ; implicit-def: $vgpr0_vgpr1
.LBB227_10:                             ;   in Loop: Header=BB227_4 Depth=1
	s_and_not1_saveexec_b32 s17, s17
	s_cbranch_execz .LBB227_12
; %bb.11:                               ;   in Loop: Header=BB227_4 Depth=1
	v_div_scale_f64 v[4:5], null, v[0:1], v[0:1], v[2:3]
	v_div_scale_f64 v[18:19], vcc_lo, v[2:3], v[0:1], v[2:3]
	s_delay_alu instid0(VALU_DEP_2) | instskip(SKIP_1) | instid1(TRANS32_DEP_1)
	v_rcp_f64_e32 v[6:7], v[4:5]
	v_nop
	v_fma_f64 v[16:17], -v[4:5], v[6:7], 1.0
	s_delay_alu instid0(VALU_DEP_1) | instskip(NEXT) | instid1(VALU_DEP_1)
	v_fmac_f64_e32 v[6:7], v[6:7], v[16:17]
	v_fma_f64 v[16:17], -v[4:5], v[6:7], 1.0
	s_delay_alu instid0(VALU_DEP_1) | instskip(NEXT) | instid1(VALU_DEP_1)
	v_fmac_f64_e32 v[6:7], v[6:7], v[16:17]
	v_mul_f64_e32 v[16:17], v[18:19], v[6:7]
	s_delay_alu instid0(VALU_DEP_1) | instskip(NEXT) | instid1(VALU_DEP_1)
	v_fma_f64 v[4:5], -v[4:5], v[16:17], v[18:19]
	v_div_fmas_f64 v[4:5], v[4:5], v[6:7], v[16:17]
	s_delay_alu instid0(VALU_DEP_1) | instskip(NEXT) | instid1(VALU_DEP_1)
	v_div_fixup_f64 v[4:5], v[4:5], v[0:1], v[2:3]
	v_fmac_f64_e32 v[0:1], v[2:3], v[4:5]
	s_delay_alu instid0(VALU_DEP_1) | instskip(SKIP_1) | instid1(VALU_DEP_2)
	v_div_scale_f64 v[2:3], null, v[0:1], v[0:1], 1.0
	v_div_scale_f64 v[18:19], vcc_lo, 1.0, v[0:1], 1.0
	v_rcp_f64_e32 v[6:7], v[2:3]
	v_nop
	s_delay_alu instid0(TRANS32_DEP_1) | instskip(NEXT) | instid1(VALU_DEP_1)
	v_fma_f64 v[16:17], -v[2:3], v[6:7], 1.0
	v_fmac_f64_e32 v[6:7], v[6:7], v[16:17]
	s_delay_alu instid0(VALU_DEP_1) | instskip(NEXT) | instid1(VALU_DEP_1)
	v_fma_f64 v[16:17], -v[2:3], v[6:7], 1.0
	v_fmac_f64_e32 v[6:7], v[6:7], v[16:17]
	s_delay_alu instid0(VALU_DEP_1) | instskip(NEXT) | instid1(VALU_DEP_1)
	v_mul_f64_e32 v[16:17], v[18:19], v[6:7]
	v_fma_f64 v[2:3], -v[2:3], v[16:17], v[18:19]
	s_delay_alu instid0(VALU_DEP_1) | instskip(SKIP_1) | instid1(VALU_DEP_2)
	v_div_fmas_f64 v[2:3], v[2:3], v[6:7], v[16:17]
	v_fma_f64 v[6:7], v[4:5], 0, 1.0
	v_div_fixup_f64 v[0:1], v[2:3], v[0:1], 1.0
	v_add_f64_e64 v[2:3], -v[4:5], 0
	s_delay_alu instid0(VALU_DEP_2) | instskip(NEXT) | instid1(VALU_DEP_2)
	v_mul_f64_e32 v[4:5], v[6:7], v[0:1]
	v_mul_f64_e32 v[6:7], v[2:3], v[0:1]
.LBB227_12:                             ;   in Loop: Header=BB227_4 Depth=1
	s_or_b32 exec_lo, exec_lo, s17
	s_branch .LBB227_14
.LBB227_13:                             ;   in Loop: Header=BB227_4 Depth=1
	v_mov_b64_e32 v[6:7], 0
	v_mov_b64_e32 v[4:5], 1.0
.LBB227_14:                             ;   in Loop: Header=BB227_4 Depth=1
	ds_store_b128 v9, v[4:7]
.LBB227_15:                             ;   in Loop: Header=BB227_4 Depth=1
	s_or_b32 exec_lo, exec_lo, s16
	s_mov_b32 s16, -1
	s_or_b32 s39, s39, exec_lo
	s_wait_dscnt 0x0
	; wave barrier
	s_and_saveexec_b32 s40, s1
	s_cbranch_execz .LBB227_3
; %bb.16:                               ;   in Loop: Header=BB227_4 Depth=1
	s_mul_u64 s[16:17], s[24:25], s[20:21]
	s_and_not1_b32 vcc_lo, exec_lo, s34
	v_lshl_add_u64 v[4:5], s[16:17], 4, v[10:11]
	s_mul_u64 s[16:17], s[14:15], s[20:21]
	s_mov_b32 s18, -1
	s_cbranch_vccnz .LBB227_37
; %bb.17:                               ;   in Loop: Header=BB227_4 Depth=1
	v_add_nc_u64_e32 v[6:7], s[16:17], v[14:15]
	s_mov_b32 s21, 0
	s_mov_b32 s18, s31
	s_branch .LBB227_19
.LBB227_18:                             ;   in Loop: Header=BB227_19 Depth=2
	s_cmp_gt_i32 s18, -1
	s_cselect_b32 s19, -1, 0
	s_add_co_i32 s22, s21, 1
	s_cmp_lt_u32 s21, 2
	s_wait_xcnt 0x0
	s_cselect_b32 s21, -1, 0
	s_delay_alu instid0(SALU_CYCLE_1)
	s_and_b32 s19, s19, s21
	s_mov_b32 s21, s22
	s_and_b32 vcc_lo, exec_lo, s19
	s_cbranch_vccz .LBB227_36
.LBB227_19:                             ;   Parent Loop BB227_4 Depth=1
                                        ; =>  This Loop Header: Depth=2
                                        ;       Child Loop BB227_22 Depth 3
                                        ;         Child Loop BB227_23 Depth 4
                                        ;         Child Loop BB227_25 Depth 4
                                        ;           Child Loop BB227_26 Depth 5
                                        ;         Child Loop BB227_30 Depth 4
                                        ;           Child Loop BB227_32 Depth 5
	s_load_b32 s22, s[12:13], s21 offset:0x0 scale_offset
	s_wait_kmcnt 0x0
	s_add_co_i32 s41, s22, -1
	s_delay_alu instid0(SALU_CYCLE_1)
	s_cmp_lt_i32 s18, s41
	s_cbranch_scc1 .LBB227_18
; %bb.20:                               ;   in Loop: Header=BB227_19 Depth=2
	s_mul_i32 s19, s18, 0x180
	s_max_i32 s42, s22, 1
	s_add_co_i32 s43, s36, s19
	s_mul_i32 s44, s22, 0xfffffe80
	s_mul_i32 s45, s18, 0x190
	;; [unrolled: 1-line block ×3, first 2 shown]
	s_branch .LBB227_22
.LBB227_21:                             ;   in Loop: Header=BB227_22 Depth=3
	s_sub_co_i32 s18, s18, s22
	s_add_co_i32 s43, s43, s44
	s_add_co_i32 s45, s45, s46
	s_cmp_lt_i32 s18, s41
	s_cbranch_scc1 .LBB227_18
.LBB227_22:                             ;   Parent Loop BB227_4 Depth=1
                                        ;     Parent Loop BB227_19 Depth=2
                                        ; =>    This Loop Header: Depth=3
                                        ;         Child Loop BB227_23 Depth 4
                                        ;         Child Loop BB227_25 Depth 4
                                        ;           Child Loop BB227_26 Depth 5
                                        ;         Child Loop BB227_30 Depth 4
                                        ;           Child Loop BB227_32 Depth 5
	s_ashr_i32 s19, s18, 31
	s_mov_b32 s26, 8
	s_wait_xcnt 0x0
	v_lshl_add_u64 v[0:1], s[18:19], 4, v[6:7]
	s_mov_b32 s27, s42
.LBB227_23:                             ;   Parent Loop BB227_4 Depth=1
                                        ;     Parent Loop BB227_19 Depth=2
                                        ;       Parent Loop BB227_22 Depth=3
                                        ; =>      This Inner Loop Header: Depth=4
	global_load_b128 v[16:19], v[0:1], off offset:-8
	s_wait_xcnt 0x0
	v_add_nc_u64_e32 v[0:1], -16, v[0:1]
	s_add_co_i32 s27, s27, -1
	s_mov_b32 s28, s26
	s_add_co_i32 s26, s26, 16
	s_cmp_eq_u32 s27, 0
	s_wait_loadcnt 0x0
	v_mul_f64_e32 v[2:3], s[6:7], v[18:19]
	v_mul_f64_e32 v[20:21], s[4:5], v[18:19]
	s_delay_alu instid0(VALU_DEP_2) | instskip(NEXT) | instid1(VALU_DEP_2)
	v_fma_f64 v[18:19], s[4:5], v[16:17], -v[2:3]
	v_fmac_f64_e32 v[20:21], s[6:7], v[16:17]
	scratch_store_b128 off, v[18:21], s28 offset:-8
	s_cbranch_scc0 .LBB227_23
; %bb.24:                               ;   in Loop: Header=BB227_22 Depth=3
	s_cmp_le_i32 s31, s18
	s_wait_xcnt 0x0
	s_mov_b32 s28, s43
	s_mov_b32 s26, s31
	s_cbranch_scc1 .LBB227_28
.LBB227_25:                             ;   Parent Loop BB227_4 Depth=1
                                        ;     Parent Loop BB227_19 Depth=2
                                        ;       Parent Loop BB227_22 Depth=3
                                        ; =>      This Loop Header: Depth=4
                                        ;           Child Loop BB227_26 Depth 5
	s_ashr_i32 s27, s26, 31
	s_mov_b32 s29, s28
	v_lshl_add_u64 v[0:1], s[26:27], 4, v[4:5]
	s_mov_b32 s27, s35
	s_mov_b32 s47, s42
	global_load_b128 v[0:3], v[0:1], off
.LBB227_26:                             ;   Parent Loop BB227_4 Depth=1
                                        ;     Parent Loop BB227_19 Depth=2
                                        ;       Parent Loop BB227_22 Depth=3
                                        ;         Parent Loop BB227_25 Depth=4
                                        ; =>        This Inner Loop Header: Depth=5
	scratch_load_b128 v[16:19], off, s27 offset:-8
	v_mov_b32_e32 v20, s29
	s_add_co_i32 s47, s47, -1
	s_addk_co_i32 s29, 0xfe80
	ds_load_b128 v[20:23], v20
	s_wait_loadcnt_dscnt 0x100
	v_mul_f64_e32 v[24:25], v[2:3], v[22:23]
	v_mul_f64_e32 v[22:23], v[0:1], v[22:23]
	s_delay_alu instid0(VALU_DEP_2) | instskip(NEXT) | instid1(VALU_DEP_2)
	v_fma_f64 v[24:25], v[0:1], v[20:21], -v[24:25]
	v_fmac_f64_e32 v[22:23], v[2:3], v[20:21]
	s_wait_loadcnt 0x0
	s_delay_alu instid0(VALU_DEP_2) | instskip(NEXT) | instid1(VALU_DEP_2)
	v_add_f64_e64 v[16:17], v[16:17], -v[24:25]
	v_add_f64_e64 v[18:19], v[18:19], -v[22:23]
	scratch_store_b128 off, v[16:19], s27 offset:-8
	s_wait_xcnt 0x0
	s_add_co_i32 s27, s27, 16
	s_cmp_eq_u32 s47, 0
	s_cbranch_scc0 .LBB227_26
; %bb.27:                               ;   in Loop: Header=BB227_25 Depth=4
	s_add_co_i32 s26, s26, -1
	s_add_co_i32 s28, s28, -16
	s_cmp_le_i32 s26, s18
	s_cbranch_scc0 .LBB227_25
.LBB227_28:                             ;   in Loop: Header=BB227_22 Depth=3
	s_mov_b32 s47, 0
	s_mov_b32 s48, s45
	s_branch .LBB227_30
.LBB227_29:                             ;   in Loop: Header=BB227_30 Depth=4
	s_wait_xcnt 0x1
	s_mulk_i32 s28, 0x190
	s_addk_co_i32 s48, 0xfe80
	v_mov_b32_e32 v16, s28
	s_lshl_b32 s28, s47, 4
	s_add_co_i32 s47, s47, 1
	s_delay_alu instid0(SALU_CYCLE_1)
	s_cmp_eq_u32 s47, s42
	ds_load_b128 v[16:19], v16
	s_wait_loadcnt_dscnt 0x0
	s_wait_xcnt 0x0
	v_mul_f64_e32 v[20:21], v[18:19], v[2:3]
	v_mul_f64_e32 v[22:23], v[16:17], v[2:3]
	s_delay_alu instid0(VALU_DEP_2) | instskip(NEXT) | instid1(VALU_DEP_2)
	v_fma_f64 v[20:21], v[16:17], v[0:1], -v[20:21]
	v_fmac_f64_e32 v[22:23], v[18:19], v[0:1]
	v_lshl_add_u64 v[0:1], s[26:27], 4, v[4:5]
	scratch_store_b128 off, v[20:23], s28
	global_store_b128 v[0:1], v[20:23], off
	s_cbranch_scc1 .LBB227_21
.LBB227_30:                             ;   Parent Loop BB227_4 Depth=1
                                        ;     Parent Loop BB227_19 Depth=2
                                        ;       Parent Loop BB227_22 Depth=3
                                        ; =>      This Loop Header: Depth=4
                                        ;           Child Loop BB227_32 Depth 5
	s_cmp_lg_u32 s47, 0
	s_cbranch_scc0 .LBB227_34
; %bb.31:                               ;   in Loop: Header=BB227_30 Depth=4
	s_lshl_b32 s26, s47, 4
	s_mov_b32 s27, s35
	scratch_load_b128 v[0:3], off, s26
	s_mov_b32 s28, s48
	s_mov_b32 s29, s47
.LBB227_32:                             ;   Parent Loop BB227_4 Depth=1
                                        ;     Parent Loop BB227_19 Depth=2
                                        ;       Parent Loop BB227_22 Depth=3
                                        ;         Parent Loop BB227_30 Depth=4
                                        ; =>        This Inner Loop Header: Depth=5
	scratch_load_b128 v[16:19], off, s27 offset:-8
	v_mov_b32_e32 v20, s28
	s_add_co_i32 s29, s29, -1
	s_add_co_i32 s28, s28, -16
	s_wait_xcnt 0x0
	s_add_co_i32 s27, s27, 16
	s_cmp_eq_u32 s29, 0
	ds_load_b128 v[20:23], v20
	s_wait_loadcnt_dscnt 0x0
	v_mul_f64_e32 v[24:25], v[22:23], v[18:19]
	v_mul_f64_e32 v[18:19], v[20:21], v[18:19]
	s_delay_alu instid0(VALU_DEP_2) | instskip(NEXT) | instid1(VALU_DEP_2)
	v_fma_f64 v[20:21], v[20:21], v[16:17], -v[24:25]
	v_fmac_f64_e32 v[18:19], v[22:23], v[16:17]
	s_delay_alu instid0(VALU_DEP_2) | instskip(NEXT) | instid1(VALU_DEP_2)
	v_add_f64_e64 v[0:1], v[0:1], -v[20:21]
	v_add_f64_e64 v[2:3], v[2:3], -v[18:19]
	scratch_store_b128 off, v[0:3], s26
	s_cbranch_scc0 .LBB227_32
; %bb.33:                               ;   in Loop: Header=BB227_30 Depth=4
	s_sub_co_i32 s28, s18, s47
	s_delay_alu instid0(SALU_CYCLE_1)
	s_ashr_i32 s29, s28, 31
	s_wait_xcnt 0x0
	s_mov_b64 s[26:27], s[28:29]
	s_branch .LBB227_29
.LBB227_34:                             ;   in Loop: Header=BB227_30 Depth=4
                                        ; implicit-def: $vgpr0_vgpr1
                                        ; implicit-def: $sgpr28
                                        ; implicit-def: $sgpr26_sgpr27
	s_cbranch_execz .LBB227_29
; %bb.35:                               ;   in Loop: Header=BB227_30 Depth=4
	scratch_load_b128 v[0:3], off, off
	s_mov_b64 s[26:27], s[18:19]
	s_mov_b32 s28, s18
	s_branch .LBB227_29
.LBB227_36:                             ;   in Loop: Header=BB227_4 Depth=1
	s_mov_b32 s18, 0
.LBB227_37:                             ;   in Loop: Header=BB227_4 Depth=1
	s_delay_alu instid0(SALU_CYCLE_1)
	s_and_b32 vcc_lo, exec_lo, s18
	s_cbranch_vccz .LBB227_2
; %bb.38:                               ;   in Loop: Header=BB227_4 Depth=1
	v_add_nc_u64_e32 v[6:7], s[16:17], v[14:15]
	s_mov_b32 s16, 0
	s_mov_b32 s21, 0
	s_branch .LBB227_40
.LBB227_39:                             ;   in Loop: Header=BB227_40 Depth=2
	s_cmp_lt_i32 s16, s30
	s_cselect_b32 s17, -1, 0
	s_add_co_i32 s18, s21, 1
	s_cmp_lt_u32 s21, 2
	s_wait_xcnt 0x0
	s_mov_b32 s21, s18
	s_cselect_b32 s19, -1, 0
	s_delay_alu instid0(SALU_CYCLE_1) | instskip(NEXT) | instid1(SALU_CYCLE_1)
	s_and_b32 s17, s17, s19
	s_and_not1_b32 vcc_lo, exec_lo, s17
	s_cbranch_vccnz .LBB227_2
.LBB227_40:                             ;   Parent Loop BB227_4 Depth=1
                                        ; =>  This Loop Header: Depth=2
                                        ;       Child Loop BB227_43 Depth 3
                                        ;         Child Loop BB227_44 Depth 4
                                        ;         Child Loop BB227_47 Depth 4
                                        ;           Child Loop BB227_48 Depth 5
                                        ;         Child Loop BB227_52 Depth 4
                                        ;           Child Loop BB227_54 Depth 5
	s_load_b32 s18, s[12:13], s21 offset:0x0 scale_offset
	s_wait_kmcnt 0x0
	s_add_co_i32 s28, s18, -1
	s_delay_alu instid0(SALU_CYCLE_1) | instskip(NEXT) | instid1(SALU_CYCLE_1)
	s_add_co_i32 s17, s28, s16
	s_cmp_ge_i32 s17, s30
	s_cbranch_scc1 .LBB227_39
; %bb.41:                               ;   in Loop: Header=BB227_40 Depth=2
	s_ashr_i32 s17, s16, 31
	s_ashr_i32 s19, s18, 31
	v_lshl_add_u64 v[16:17], s[16:17], 4, v[6:7]
	s_max_i32 s29, s18, 1
	s_lshl_b64 s[26:27], s[18:19], 4
	s_lshl_b32 s17, s16, 4
	s_lshl_b32 s19, s18, 4
	s_mul_i32 s41, s16, 0x190
	s_mul_i32 s42, s18, 0x190
	s_branch .LBB227_43
.LBB227_42:                             ;   in Loop: Header=BB227_43 Depth=3
	v_add_nc_u64_e32 v[16:17], s[26:27], v[16:17]
	s_add_co_i32 s16, s16, s18
	s_add_co_i32 s17, s17, s19
	;; [unrolled: 1-line block ×4, first 2 shown]
	s_cmp_ge_i32 s22, s30
	s_cbranch_scc1 .LBB227_39
.LBB227_43:                             ;   Parent Loop BB227_4 Depth=1
                                        ;     Parent Loop BB227_40 Depth=2
                                        ; =>    This Loop Header: Depth=3
                                        ;         Child Loop BB227_44 Depth 4
                                        ;         Child Loop BB227_47 Depth 4
                                        ;           Child Loop BB227_48 Depth 5
                                        ;         Child Loop BB227_52 Depth 4
                                        ;           Child Loop BB227_54 Depth 5
	s_wait_xcnt 0x0
	v_mov_b64_e32 v[0:1], v[16:17]
	s_mov_b32 s22, 8
	s_mov_b32 s43, s29
.LBB227_44:                             ;   Parent Loop BB227_4 Depth=1
                                        ;     Parent Loop BB227_40 Depth=2
                                        ;       Parent Loop BB227_43 Depth=3
                                        ; =>      This Inner Loop Header: Depth=4
	global_load_b128 v[18:21], v[0:1], off offset:-8
	s_wait_xcnt 0x0
	v_add_nc_u64_e32 v[0:1], 16, v[0:1]
	s_add_co_i32 s43, s43, -1
	s_mov_b32 s44, s22
	s_add_co_i32 s22, s22, 16
	s_cmp_eq_u32 s43, 0
	s_wait_loadcnt 0x0
	v_mul_f64_e32 v[2:3], s[6:7], v[20:21]
	v_mul_f64_e32 v[22:23], s[4:5], v[20:21]
	s_delay_alu instid0(VALU_DEP_2) | instskip(NEXT) | instid1(VALU_DEP_2)
	v_fma_f64 v[20:21], s[4:5], v[18:19], -v[2:3]
	v_fmac_f64_e32 v[22:23], s[6:7], v[18:19]
	scratch_store_b128 off, v[20:23], s44 offset:-8
	s_cbranch_scc0 .LBB227_44
; %bb.45:                               ;   in Loop: Header=BB227_43 Depth=3
	s_cmp_lt_i32 s16, 1
	s_cbranch_scc1 .LBB227_50
; %bb.46:                               ;   in Loop: Header=BB227_43 Depth=3
	s_mov_b32 s22, 0
	s_mov_b32 s43, s17
.LBB227_47:                             ;   Parent Loop BB227_4 Depth=1
                                        ;     Parent Loop BB227_40 Depth=2
                                        ;       Parent Loop BB227_43 Depth=3
                                        ; =>      This Loop Header: Depth=4
                                        ;           Child Loop BB227_48 Depth 5
	v_lshl_add_u64 v[0:1], s[22:23], 4, v[4:5]
	s_wait_xcnt 0x0
	s_mov_b32 s44, s35
	s_mov_b32 s45, s43
	;; [unrolled: 1-line block ×3, first 2 shown]
	global_load_b128 v[0:3], v[0:1], off
.LBB227_48:                             ;   Parent Loop BB227_4 Depth=1
                                        ;     Parent Loop BB227_40 Depth=2
                                        ;       Parent Loop BB227_43 Depth=3
                                        ;         Parent Loop BB227_47 Depth=4
                                        ; =>        This Inner Loop Header: Depth=5
	scratch_load_b128 v[18:21], off, s44 offset:-8
	v_mov_b32_e32 v22, s45
	s_add_co_i32 s46, s46, -1
	s_add_co_i32 s45, s45, 16
	ds_load_b128 v[22:25], v22
	s_wait_loadcnt_dscnt 0x100
	v_mul_f64_e32 v[26:27], v[2:3], v[24:25]
	v_mul_f64_e32 v[24:25], v[0:1], v[24:25]
	s_delay_alu instid0(VALU_DEP_2) | instskip(NEXT) | instid1(VALU_DEP_2)
	v_fma_f64 v[26:27], v[0:1], v[22:23], -v[26:27]
	v_fmac_f64_e32 v[24:25], v[2:3], v[22:23]
	s_wait_loadcnt 0x0
	s_delay_alu instid0(VALU_DEP_2) | instskip(NEXT) | instid1(VALU_DEP_2)
	v_add_f64_e64 v[18:19], v[18:19], -v[26:27]
	v_add_f64_e64 v[20:21], v[20:21], -v[24:25]
	scratch_store_b128 off, v[18:21], s44 offset:-8
	s_wait_xcnt 0x0
	s_add_co_i32 s44, s44, 16
	s_cmp_eq_u32 s46, 0
	s_cbranch_scc0 .LBB227_48
; %bb.49:                               ;   in Loop: Header=BB227_47 Depth=4
	s_add_co_i32 s22, s22, 1
	s_addk_co_i32 s43, 0x180
	s_cmp_eq_u32 s22, s16
	s_cbranch_scc0 .LBB227_47
.LBB227_50:                             ;   in Loop: Header=BB227_43 Depth=3
	s_mov_b32 s22, 0
	s_mov_b32 s43, s41
	s_branch .LBB227_52
.LBB227_51:                             ;   in Loop: Header=BB227_52 Depth=4
	s_add_co_i32 s44, s22, s16
	s_lshl_b32 s46, s22, 4
	s_mul_i32 s45, s44, 0x190
	s_add_co_i32 s22, s22, 1
	v_mov_b32_e32 v18, s45
	s_ashr_i32 s45, s44, 31
	s_add_co_i32 s43, s43, 16
	s_cmp_eq_u32 s22, s29
	ds_load_b128 v[18:21], v18
	s_wait_loadcnt_dscnt 0x0
	v_mul_f64_e32 v[22:23], v[20:21], v[2:3]
	v_mul_f64_e32 v[24:25], v[18:19], v[2:3]
	s_delay_alu instid0(VALU_DEP_2) | instskip(NEXT) | instid1(VALU_DEP_2)
	v_fma_f64 v[22:23], v[18:19], v[0:1], -v[22:23]
	v_fmac_f64_e32 v[24:25], v[20:21], v[0:1]
	v_lshl_add_u64 v[0:1], s[44:45], 4, v[4:5]
	scratch_store_b128 off, v[22:25], s46
	global_store_b128 v[0:1], v[22:25], off
	s_cbranch_scc1 .LBB227_42
.LBB227_52:                             ;   Parent Loop BB227_4 Depth=1
                                        ;     Parent Loop BB227_40 Depth=2
                                        ;       Parent Loop BB227_43 Depth=3
                                        ; =>      This Loop Header: Depth=4
                                        ;           Child Loop BB227_54 Depth 5
	s_cmp_lg_u32 s22, 0
	s_cbranch_scc0 .LBB227_56
; %bb.53:                               ;   in Loop: Header=BB227_52 Depth=4
	s_wait_xcnt 0x0
	s_lshl_b32 s44, s22, 4
	s_mov_b32 s45, s35
	scratch_load_b128 v[0:3], off, s44
	s_mov_b32 s46, s43
	s_mov_b32 s47, s22
.LBB227_54:                             ;   Parent Loop BB227_4 Depth=1
                                        ;     Parent Loop BB227_40 Depth=2
                                        ;       Parent Loop BB227_43 Depth=3
                                        ;         Parent Loop BB227_52 Depth=4
                                        ; =>        This Inner Loop Header: Depth=5
	scratch_load_b128 v[18:21], off, s45 offset:-8
	v_mov_b32_e32 v22, s46
	s_add_co_i32 s47, s47, -1
	s_addk_co_i32 s46, 0x180
	s_wait_xcnt 0x0
	s_add_co_i32 s45, s45, 16
	s_cmp_eq_u32 s47, 0
	ds_load_b128 v[22:25], v22
	s_wait_loadcnt_dscnt 0x0
	v_mul_f64_e32 v[26:27], v[24:25], v[20:21]
	v_mul_f64_e32 v[20:21], v[22:23], v[20:21]
	s_delay_alu instid0(VALU_DEP_2) | instskip(NEXT) | instid1(VALU_DEP_2)
	v_fma_f64 v[22:23], v[22:23], v[18:19], -v[26:27]
	v_fmac_f64_e32 v[20:21], v[24:25], v[18:19]
	s_delay_alu instid0(VALU_DEP_2) | instskip(NEXT) | instid1(VALU_DEP_2)
	v_add_f64_e64 v[0:1], v[0:1], -v[22:23]
	v_add_f64_e64 v[2:3], v[2:3], -v[20:21]
	scratch_store_b128 off, v[0:3], s44
	s_cbranch_scc0 .LBB227_54
; %bb.55:                               ;   in Loop: Header=BB227_52 Depth=4
	s_wait_xcnt 0x0
	s_branch .LBB227_51
.LBB227_56:                             ;   in Loop: Header=BB227_52 Depth=4
	s_wait_xcnt 0x0
                                        ; implicit-def: $vgpr0_vgpr1
	s_cbranch_execz .LBB227_51
; %bb.57:                               ;   in Loop: Header=BB227_52 Depth=4
	scratch_load_b128 v[0:3], off, off
	s_branch .LBB227_51
.LBB227_58:
	s_or_b32 exec_lo, exec_lo, s37
	s_and_saveexec_b32 s0, s38
	s_delay_alu instid0(SALU_CYCLE_1)
	s_xor_b32 s0, exec_lo, s0
.LBB227_59:
	s_endpgm
	.section	.rodata,"a",@progbits
	.p2align	6, 0x0
	.amdhsa_kernel _ZL30rocblas_trsm_small_left_deviceILi24ELi24ELb1E19rocblas_complex_numIdES1_PKS1_PS1_Ev13rocblas_fill_18rocblas_operation_17rocblas_diagonal_iiT3_T4_lilT5_lili
		.amdhsa_group_segment_fixed_size 9216
		.amdhsa_private_segment_fixed_size 400
		.amdhsa_kernarg_size 368
		.amdhsa_user_sgpr_count 2
		.amdhsa_user_sgpr_dispatch_ptr 0
		.amdhsa_user_sgpr_queue_ptr 0
		.amdhsa_user_sgpr_kernarg_segment_ptr 1
		.amdhsa_user_sgpr_dispatch_id 0
		.amdhsa_user_sgpr_kernarg_preload_length 0
		.amdhsa_user_sgpr_kernarg_preload_offset 0
		.amdhsa_user_sgpr_private_segment_size 0
		.amdhsa_wavefront_size32 1
		.amdhsa_uses_dynamic_stack 0
		.amdhsa_enable_private_segment 1
		.amdhsa_system_sgpr_workgroup_id_x 1
		.amdhsa_system_sgpr_workgroup_id_y 0
		.amdhsa_system_sgpr_workgroup_id_z 1
		.amdhsa_system_sgpr_workgroup_info 0
		.amdhsa_system_vgpr_workitem_id 0
		.amdhsa_next_free_vgpr 97
		.amdhsa_next_free_sgpr 49
		.amdhsa_named_barrier_count 0
		.amdhsa_reserve_vcc 1
		.amdhsa_float_round_mode_32 0
		.amdhsa_float_round_mode_16_64 0
		.amdhsa_float_denorm_mode_32 3
		.amdhsa_float_denorm_mode_16_64 3
		.amdhsa_fp16_overflow 0
		.amdhsa_memory_ordered 1
		.amdhsa_forward_progress 1
		.amdhsa_inst_pref_size 22
		.amdhsa_round_robin_scheduling 0
		.amdhsa_exception_fp_ieee_invalid_op 0
		.amdhsa_exception_fp_denorm_src 0
		.amdhsa_exception_fp_ieee_div_zero 0
		.amdhsa_exception_fp_ieee_overflow 0
		.amdhsa_exception_fp_ieee_underflow 0
		.amdhsa_exception_fp_ieee_inexact 0
		.amdhsa_exception_int_div_zero 0
	.end_amdhsa_kernel
	.section	.text._ZL30rocblas_trsm_small_left_deviceILi24ELi24ELb1E19rocblas_complex_numIdES1_PKS1_PS1_Ev13rocblas_fill_18rocblas_operation_17rocblas_diagonal_iiT3_T4_lilT5_lili,"axG",@progbits,_ZL30rocblas_trsm_small_left_deviceILi24ELi24ELb1E19rocblas_complex_numIdES1_PKS1_PS1_Ev13rocblas_fill_18rocblas_operation_17rocblas_diagonal_iiT3_T4_lilT5_lili,comdat
.Lfunc_end227:
	.size	_ZL30rocblas_trsm_small_left_deviceILi24ELi24ELb1E19rocblas_complex_numIdES1_PKS1_PS1_Ev13rocblas_fill_18rocblas_operation_17rocblas_diagonal_iiT3_T4_lilT5_lili, .Lfunc_end227-_ZL30rocblas_trsm_small_left_deviceILi24ELi24ELb1E19rocblas_complex_numIdES1_PKS1_PS1_Ev13rocblas_fill_18rocblas_operation_17rocblas_diagonal_iiT3_T4_lilT5_lili
                                        ; -- End function
	.set _ZL30rocblas_trsm_small_left_deviceILi24ELi24ELb1E19rocblas_complex_numIdES1_PKS1_PS1_Ev13rocblas_fill_18rocblas_operation_17rocblas_diagonal_iiT3_T4_lilT5_lili.num_vgpr, 28
	.set _ZL30rocblas_trsm_small_left_deviceILi24ELi24ELb1E19rocblas_complex_numIdES1_PKS1_PS1_Ev13rocblas_fill_18rocblas_operation_17rocblas_diagonal_iiT3_T4_lilT5_lili.num_agpr, 0
	.set _ZL30rocblas_trsm_small_left_deviceILi24ELi24ELb1E19rocblas_complex_numIdES1_PKS1_PS1_Ev13rocblas_fill_18rocblas_operation_17rocblas_diagonal_iiT3_T4_lilT5_lili.numbered_sgpr, 49
	.set _ZL30rocblas_trsm_small_left_deviceILi24ELi24ELb1E19rocblas_complex_numIdES1_PKS1_PS1_Ev13rocblas_fill_18rocblas_operation_17rocblas_diagonal_iiT3_T4_lilT5_lili.num_named_barrier, 0
	.set _ZL30rocblas_trsm_small_left_deviceILi24ELi24ELb1E19rocblas_complex_numIdES1_PKS1_PS1_Ev13rocblas_fill_18rocblas_operation_17rocblas_diagonal_iiT3_T4_lilT5_lili.private_seg_size, 400
	.set _ZL30rocblas_trsm_small_left_deviceILi24ELi24ELb1E19rocblas_complex_numIdES1_PKS1_PS1_Ev13rocblas_fill_18rocblas_operation_17rocblas_diagonal_iiT3_T4_lilT5_lili.uses_vcc, 1
	.set _ZL30rocblas_trsm_small_left_deviceILi24ELi24ELb1E19rocblas_complex_numIdES1_PKS1_PS1_Ev13rocblas_fill_18rocblas_operation_17rocblas_diagonal_iiT3_T4_lilT5_lili.uses_flat_scratch, 0
	.set _ZL30rocblas_trsm_small_left_deviceILi24ELi24ELb1E19rocblas_complex_numIdES1_PKS1_PS1_Ev13rocblas_fill_18rocblas_operation_17rocblas_diagonal_iiT3_T4_lilT5_lili.has_dyn_sized_stack, 0
	.set _ZL30rocblas_trsm_small_left_deviceILi24ELi24ELb1E19rocblas_complex_numIdES1_PKS1_PS1_Ev13rocblas_fill_18rocblas_operation_17rocblas_diagonal_iiT3_T4_lilT5_lili.has_recursion, 0
	.set _ZL30rocblas_trsm_small_left_deviceILi24ELi24ELb1E19rocblas_complex_numIdES1_PKS1_PS1_Ev13rocblas_fill_18rocblas_operation_17rocblas_diagonal_iiT3_T4_lilT5_lili.has_indirect_call, 0
	.section	.AMDGPU.csdata,"",@progbits
; Kernel info:
; codeLenInByte = 2696
; TotalNumSgprs: 51
; NumVgprs: 28
; ScratchSize: 400
; MemoryBound: 0
; FloatMode: 240
; IeeeMode: 1
; LDSByteSize: 9216 bytes/workgroup (compile time only)
; SGPRBlocks: 0
; VGPRBlocks: 6
; NumSGPRsForWavesPerEU: 51
; NumVGPRsForWavesPerEU: 97
; NamedBarCnt: 0
; Occupancy: 9
; WaveLimiterHint : 0
; COMPUTE_PGM_RSRC2:SCRATCH_EN: 1
; COMPUTE_PGM_RSRC2:USER_SGPR: 2
; COMPUTE_PGM_RSRC2:TRAP_HANDLER: 0
; COMPUTE_PGM_RSRC2:TGID_X_EN: 1
; COMPUTE_PGM_RSRC2:TGID_Y_EN: 0
; COMPUTE_PGM_RSRC2:TGID_Z_EN: 1
; COMPUTE_PGM_RSRC2:TIDIG_COMP_CNT: 0
	.section	.text._ZL31rocblas_trsm_small_right_deviceI19rocblas_complex_numIdES1_PKS1_PS1_Li24EEv13rocblas_fill_18rocblas_operation_17rocblas_diagonal_iiT0_T1_lilT2_lili,"axG",@progbits,_ZL31rocblas_trsm_small_right_deviceI19rocblas_complex_numIdES1_PKS1_PS1_Li24EEv13rocblas_fill_18rocblas_operation_17rocblas_diagonal_iiT0_T1_lilT2_lili,comdat
	.globl	_ZL31rocblas_trsm_small_right_deviceI19rocblas_complex_numIdES1_PKS1_PS1_Li24EEv13rocblas_fill_18rocblas_operation_17rocblas_diagonal_iiT0_T1_lilT2_lili ; -- Begin function _ZL31rocblas_trsm_small_right_deviceI19rocblas_complex_numIdES1_PKS1_PS1_Li24EEv13rocblas_fill_18rocblas_operation_17rocblas_diagonal_iiT0_T1_lilT2_lili
	.p2align	8
	.type	_ZL31rocblas_trsm_small_right_deviceI19rocblas_complex_numIdES1_PKS1_PS1_Li24EEv13rocblas_fill_18rocblas_operation_17rocblas_diagonal_iiT0_T1_lilT2_lili,@function
_ZL31rocblas_trsm_small_right_deviceI19rocblas_complex_numIdES1_PKS1_PS1_Li24EEv13rocblas_fill_18rocblas_operation_17rocblas_diagonal_iiT0_T1_lilT2_lili: ; @_ZL31rocblas_trsm_small_right_deviceI19rocblas_complex_numIdES1_PKS1_PS1_Li24EEv13rocblas_fill_18rocblas_operation_17rocblas_diagonal_iiT0_T1_lilT2_lili
; %bb.0:
	s_load_b32 s23, s[0:1], 0x68
	s_bfe_u32 s2, ttmp6, 0x40014
	s_lshr_b32 s3, ttmp7, 16
	s_add_co_i32 s2, s2, 1
	s_bfe_u32 s4, ttmp6, 0x40008
	s_mul_i32 s2, s3, s2
	s_getreg_b32 s31, hwreg(HW_REG_IB_STS2, 6, 4)
	s_add_co_i32 s4, s4, s2
	s_cmp_eq_u32 s31, 0
	s_cselect_b32 s2, s3, s4
	s_mov_b32 s3, 0
	s_wait_kmcnt 0x0
	s_cmp_ge_u32 s2, s23
	s_cbranch_scc1 .LBB228_146
; %bb.1:
	s_clause 0x7
	s_load_b32 s24, s[0:1], 0x38
	s_load_b96 s[20:22], s[0:1], 0x50
	s_load_b128 s[12:15], s[0:1], 0x0
	s_load_b32 s28, s[0:1], 0x10
	s_load_b32 s30, s[0:1], 0x70
	s_load_b64 s[26:27], s[0:1], 0x60
	s_load_b256 s[4:11], s[0:1], 0x18
	s_load_b128 s[16:19], s[0:1], 0x40
	v_dual_lshlrev_b32 v28, 4, v0 :: v_dual_mov_b32 v2, 0
	v_mul_u32_u24_e32 v3, 0x180, v0
	s_delay_alu instid0(VALU_DEP_2) | instskip(NEXT) | instid1(VALU_DEP_3)
	v_or_b32_e32 v34, 0x2400, v28
	v_mov_b32_e32 v29, v2
	s_wait_kmcnt 0x0
	s_ashr_i32 s25, s24, 31
	s_ashr_i32 s37, s22, 31
	s_cmp_lg_u32 s12, 0x7a
	s_mov_b32 s36, s22
	s_cselect_b32 s33, -1, 0
	s_cmp_eq_u32 s13, 0x71
	s_cselect_b32 s0, -1, 0
	s_bfe_u32 s1, ttmp6, 0x4000c
	s_min_i32 s29, s28, 24
	s_add_co_i32 s1, s1, 1
	s_and_b32 s34, ttmp6, 15
	s_mul_i32 s1, ttmp9, s1
	s_add_co_i32 s35, s30, -1
	s_add_co_i32 s30, s29, -1
	s_add_co_i32 s34, s34, s1
	s_cmp_eq_u32 s31, 0
	s_mul_i32 s39, s29, 0x180
	s_cselect_b32 s34, ttmp9, s34
	v_add3_u32 v35, s39, v28, 0x2280
	s_mul_i32 s1, s34, 0xffffffe8
	s_mul_i32 s38, s29, 0x190
	s_add_co_i32 s15, s15, s1
	s_cmp_ge_u32 s34, s35
	v_cmp_gt_i32_e64 s1, s29, v0
	s_cselect_b32 s15, s15, 24
	s_ashr_i32 s35, s34, 31
	s_cmp_eq_u32 s14, 0x84
	v_cmp_gt_i32_e32 vcc_lo, s15, v0
	s_cselect_b32 s22, -1, 0
	s_cmp_gt_i32 s28, 0
	s_cselect_b32 s14, -1, 0
	s_cmp_lg_u32 s13, 0x6f
	s_cselect_b32 s13, -1, 0
	s_cmp_lg_u32 s12, 0x79
	s_cselect_b32 s12, -1, 0
	s_or_b32 s31, s33, s13
	s_or_b32 s33, s12, s13
	s_cmp_gt_i32 s28, 3
	v_cndmask_b32_e64 v36, 0, 1, s12
	s_mul_u64 s[12:13], s[34:35], 0x180
	s_cselect_b32 s34, -1, 0
	s_and_b32 s35, vcc_lo, s14
	s_lshl_b64 s[14:15], s[20:21], 4
	s_lshl_b64 s[10:11], s[10:11], 4
	s_add_nc_u64 s[12:13], s[12:13], s[14:15]
	s_add_nc_u64 s[8:9], s[8:9], s[10:11]
	;; [unrolled: 1-line block ×3, first 2 shown]
	v_add_nc_u64_e32 v[4:5], s[8:9], v[28:29]
	v_add_nc_u64_e32 v[0:1], s[10:11], v[28:29]
	v_add_nc_u32_e32 v29, v28, v3
	v_mov_b32_e32 v3, 0x3ff00000
	s_lshl_b32 s21, s29, 4
	s_lshl_b64 s[8:9], s[16:17], 4
	s_lshl_b64 s[10:11], s[24:25], 4
	v_add_nc_u64_e32 v[30:31], 8, v[4:5]
	v_add_nc_u64_e32 v[32:33], 8, v[0:1]
	s_lshl_b64 s[12:13], s[26:27], 4
	s_lshl_b64 s[14:15], s[36:37], 4
	s_add_co_i32 s18, s38, 0xfffffe40
	s_add_co_i32 s19, s39, 0xfffffe80
	;; [unrolled: 1-line block ×3, first 2 shown]
	s_add_co_i32 s21, s21, -16
	s_branch .LBB228_3
.LBB228_2:                              ;   in Loop: Header=BB228_3 Depth=1
	s_or_b32 exec_lo, exec_lo, s24
	s_add_co_i32 s2, s2, 0x10000
	s_delay_alu instid0(SALU_CYCLE_1)
	s_cmp_lt_u32 s2, s23
	s_cbranch_scc0 .LBB228_146
.LBB228_3:                              ; =>This Loop Header: Depth=1
                                        ;     Child Loop BB228_5 Depth 2
                                        ;     Child Loop BB228_10 Depth 2
	;; [unrolled: 1-line block ×3, first 2 shown]
                                        ;       Child Loop BB228_17 Depth 3
                                        ;     Child Loop BB228_39 Depth 2
                                        ;       Child Loop BB228_40 Depth 3
                                        ;     Child Loop BB228_48 Depth 2
	;; [unrolled: 2-line block ×8, first 2 shown]
	s_and_saveexec_b32 s16, s1
	s_cbranch_execz .LBB228_8
; %bb.4:                                ;   in Loop: Header=BB228_3 Depth=1
	v_mad_nc_u64_u32 v[4:5], s8, s2, v[30:31]
	v_mov_b32_e32 v6, v28
	s_mov_b32 s17, s29
	s_delay_alu instid0(VALU_DEP_2)
	v_mad_u32 v5, s9, s2, v5
.LBB228_5:                              ;   Parent Loop BB228_3 Depth=1
                                        ; =>  This Inner Loop Header: Depth=2
	global_load_b128 v[8:11], v[4:5], off offset:-8
	s_wait_xcnt 0x0
	v_add_nc_u64_e32 v[4:5], s[10:11], v[4:5]
	s_add_co_i32 s17, s17, -1
	s_delay_alu instid0(SALU_CYCLE_1) | instskip(SKIP_2) | instid1(VALU_DEP_1)
	s_cmp_eq_u32 s17, 0
	s_wait_loadcnt 0x0
	v_xor_b32_e32 v7, 0x80000000, v11
	v_cndmask_b32_e64 v11, v11, v7, s0
	ds_store_b128 v6, v[8:11]
	v_add_nc_u32_e32 v6, 0x180, v6
	s_cbranch_scc0 .LBB228_5
; %bb.6:                                ;   in Loop: Header=BB228_3 Depth=1
	s_and_b32 vcc_lo, exec_lo, s22
	s_cbranch_vccz .LBB228_8
; %bb.7:                                ;   in Loop: Header=BB228_3 Depth=1
	v_dual_mov_b32 v4, v2 :: v_dual_mov_b32 v5, v2
	ds_store_b128 v29, v[2:5]
.LBB228_8:                              ;   in Loop: Header=BB228_3 Depth=1
	s_or_b32 exec_lo, exec_lo, s16
	s_mul_u64 s[16:17], s[12:13], s[2:3]
	s_and_saveexec_b32 s24, s35
	s_cbranch_execz .LBB228_11
; %bb.9:                                ;   in Loop: Header=BB228_3 Depth=1
	v_add_nc_u64_e32 v[4:5], s[16:17], v[32:33]
	v_mov_b32_e32 v6, v34
	s_mov_b32 s25, s28
.LBB228_10:                             ;   Parent Loop BB228_3 Depth=1
                                        ; =>  This Inner Loop Header: Depth=2
	global_load_b128 v[8:11], v[4:5], off offset:-8
	s_wait_xcnt 0x0
	v_add_nc_u64_e32 v[4:5], s[14:15], v[4:5]
	s_add_co_i32 s25, s25, -1
	s_delay_alu instid0(SALU_CYCLE_1) | instskip(SKIP_3) | instid1(VALU_DEP_2)
	s_cmp_lg_u32 s25, 0
	s_wait_loadcnt 0x0
	v_mul_f64_e32 v[14:15], s[6:7], v[10:11]
	v_mul_f64_e32 v[12:13], s[4:5], v[10:11]
	v_fma_f64 v[10:11], s[4:5], v[8:9], -v[14:15]
	s_delay_alu instid0(VALU_DEP_2)
	v_fmac_f64_e32 v[12:13], s[6:7], v[8:9]
	ds_store_b128 v6, v[10:13]
	v_add_nc_u32_e32 v6, 0x180, v6
	s_cbranch_scc1 .LBB228_10
.LBB228_11:                             ;   in Loop: Header=BB228_3 Depth=1
	s_or_b32 exec_lo, exec_lo, s24
	s_delay_alu instid0(SALU_CYCLE_1)
	s_and_b32 vcc_lo, exec_lo, s33
	s_mov_b32 s24, -1
	s_wait_dscnt 0x0
	; wave barrier
	s_cbranch_vccz .LBB228_111
; %bb.12:                               ;   in Loop: Header=BB228_3 Depth=1
	s_and_b32 vcc_lo, exec_lo, s31
	s_cbranch_vccz .LBB228_79
; %bb.13:                               ;   in Loop: Header=BB228_3 Depth=1
	v_cmp_ne_u32_e32 vcc_lo, 1, v36
	s_cbranch_vccnz .LBB228_46
; %bb.14:                               ;   in Loop: Header=BB228_3 Depth=1
	s_and_not1_b32 vcc_lo, exec_lo, s34
	s_mov_b32 s26, 0
	s_cbranch_vccnz .LBB228_36
; %bb.15:                               ;   in Loop: Header=BB228_3 Depth=1
	s_mov_b32 s24, 0
	s_mov_b32 s25, 0
.LBB228_16:                             ;   Parent Loop BB228_3 Depth=1
                                        ; =>  This Loop Header: Depth=2
                                        ;       Child Loop BB228_17 Depth 3
	s_delay_alu instid0(SALU_CYCLE_1) | instskip(SKIP_3) | instid1(SALU_CYCLE_1)
	v_mad_u32 v38, 0x180, s25, v34
	s_or_b32 s26, s25, 3
	s_cmp_eq_u32 s25, 0
	s_mulk_i32 s26, 0x180
	v_dual_mov_b32 v12, v34 :: v_dual_add_nc_u32 v37, s26, v34
	s_mov_b32 s26, s24
	s_mov_b32 s27, s25
	ds_load_b128 v[20:23], v38
	ds_load_b128 v[16:19], v38 offset:384
	ds_load_b128 v[8:11], v38 offset:768
	ds_load_b128 v[4:7], v37
	s_cbranch_scc1 .LBB228_18
.LBB228_17:                             ;   Parent Loop BB228_3 Depth=1
                                        ;     Parent Loop BB228_16 Depth=2
                                        ; =>    This Inner Loop Header: Depth=3
	v_mov_b32_e32 v13, s26
	s_add_co_i32 s27, s27, -1
	s_addk_co_i32 s26, 0x180
	s_cmp_eq_u32 s27, 0
	ds_load_b128 v[24:27], v12
	ds_load_b128 v[40:43], v13
	ds_load_b128 v[44:47], v13 offset:16
	ds_load_b128 v[48:51], v13 offset:32
	;; [unrolled: 1-line block ×3, first 2 shown]
	v_add_nc_u32_e32 v12, 0x180, v12
	s_wait_dscnt 0x3
	v_mul_f64_e32 v[14:15], v[26:27], v[42:43]
	v_mul_f64_e32 v[42:43], v[24:25], v[42:43]
	s_wait_dscnt 0x2
	v_mul_f64_e32 v[56:57], v[26:27], v[46:47]
	v_mul_f64_e32 v[46:47], v[24:25], v[46:47]
	;; [unrolled: 3-line block ×4, first 2 shown]
	v_fma_f64 v[14:15], v[24:25], v[40:41], -v[14:15]
	v_fmac_f64_e32 v[42:43], v[26:27], v[40:41]
	v_fma_f64 v[40:41], v[24:25], v[44:45], -v[56:57]
	v_fmac_f64_e32 v[46:47], v[26:27], v[44:45]
	;; [unrolled: 2-line block ×4, first 2 shown]
	v_add_f64_e64 v[20:21], v[20:21], -v[14:15]
	v_add_f64_e64 v[22:23], v[22:23], -v[42:43]
	;; [unrolled: 1-line block ×8, first 2 shown]
	s_cbranch_scc0 .LBB228_17
.LBB228_18:                             ;   in Loop: Header=BB228_16 Depth=2
	s_lshl_b32 s26, s25, 4
	s_mul_i32 s27, s25, 0x180
	s_delay_alu instid0(SALU_CYCLE_1) | instskip(NEXT) | instid1(SALU_CYCLE_1)
	s_add_co_i32 s27, s26, s27
	v_mov_b32_e32 v12, s27
	ds_load_b128 v[24:27], v12
                                        ; implicit-def: $vgpr14_vgpr15
	s_wait_dscnt 0x0
	v_cmp_ngt_f64_e64 s36, |v[24:25]|, |v[26:27]|
	s_and_b32 vcc_lo, exec_lo, s36
	s_mov_b32 s36, -1
	s_cbranch_vccz .LBB228_20
; %bb.19:                               ;   in Loop: Header=BB228_16 Depth=2
	v_div_scale_f64 v[12:13], null, v[26:27], v[26:27], v[24:25]
	v_div_scale_f64 v[42:43], vcc_lo, v[24:25], v[26:27], v[24:25]
	s_mov_b32 s36, 0
	v_rcp_f64_e32 v[14:15], v[12:13]
	v_nop
	s_delay_alu instid0(TRANS32_DEP_1) | instskip(NEXT) | instid1(VALU_DEP_1)
	v_fma_f64 v[40:41], -v[12:13], v[14:15], 1.0
	v_fmac_f64_e32 v[14:15], v[14:15], v[40:41]
	s_delay_alu instid0(VALU_DEP_1) | instskip(NEXT) | instid1(VALU_DEP_1)
	v_fma_f64 v[40:41], -v[12:13], v[14:15], 1.0
	v_fmac_f64_e32 v[14:15], v[14:15], v[40:41]
	s_delay_alu instid0(VALU_DEP_1) | instskip(NEXT) | instid1(VALU_DEP_1)
	v_mul_f64_e32 v[40:41], v[42:43], v[14:15]
	v_fma_f64 v[12:13], -v[12:13], v[40:41], v[42:43]
	s_delay_alu instid0(VALU_DEP_1) | instskip(NEXT) | instid1(VALU_DEP_1)
	v_div_fmas_f64 v[12:13], v[12:13], v[14:15], v[40:41]
	v_div_fixup_f64 v[12:13], v[12:13], v[26:27], v[24:25]
	s_delay_alu instid0(VALU_DEP_1) | instskip(NEXT) | instid1(VALU_DEP_1)
	v_fma_f64 v[14:15], v[24:25], v[12:13], v[26:27]
	v_div_scale_f64 v[40:41], null, v[14:15], v[14:15], 1.0
	v_div_scale_f64 v[46:47], vcc_lo, 1.0, v[14:15], 1.0
	s_delay_alu instid0(VALU_DEP_2) | instskip(SKIP_1) | instid1(TRANS32_DEP_1)
	v_rcp_f64_e32 v[42:43], v[40:41]
	v_nop
	v_fma_f64 v[44:45], -v[40:41], v[42:43], 1.0
	s_delay_alu instid0(VALU_DEP_1) | instskip(NEXT) | instid1(VALU_DEP_1)
	v_fmac_f64_e32 v[42:43], v[42:43], v[44:45]
	v_fma_f64 v[44:45], -v[40:41], v[42:43], 1.0
	s_delay_alu instid0(VALU_DEP_1) | instskip(NEXT) | instid1(VALU_DEP_1)
	v_fmac_f64_e32 v[42:43], v[42:43], v[44:45]
	v_mul_f64_e32 v[44:45], v[46:47], v[42:43]
	s_delay_alu instid0(VALU_DEP_1) | instskip(NEXT) | instid1(VALU_DEP_1)
	v_fma_f64 v[40:41], -v[40:41], v[44:45], v[46:47]
	v_div_fmas_f64 v[40:41], v[40:41], v[42:43], v[44:45]
	v_fma_f64 v[42:43], v[20:21], v[12:13], v[22:23]
	s_delay_alu instid0(VALU_DEP_2) | instskip(SKIP_1) | instid1(VALU_DEP_2)
	v_div_fixup_f64 v[14:15], v[40:41], v[14:15], 1.0
	v_fma_f64 v[40:41], v[22:23], v[12:13], -v[20:21]
	v_mul_f64_e32 v[12:13], v[42:43], v[14:15]
	s_delay_alu instid0(VALU_DEP_2)
	v_mul_f64_e32 v[14:15], v[40:41], v[14:15]
.LBB228_20:                             ;   in Loop: Header=BB228_16 Depth=2
	s_and_not1_b32 vcc_lo, exec_lo, s36
	s_cbranch_vccnz .LBB228_22
; %bb.21:                               ;   in Loop: Header=BB228_16 Depth=2
	v_div_scale_f64 v[12:13], null, v[24:25], v[24:25], v[26:27]
	v_div_scale_f64 v[42:43], vcc_lo, v[26:27], v[24:25], v[26:27]
	s_delay_alu instid0(VALU_DEP_2) | instskip(SKIP_1) | instid1(TRANS32_DEP_1)
	v_rcp_f64_e32 v[14:15], v[12:13]
	v_nop
	v_fma_f64 v[40:41], -v[12:13], v[14:15], 1.0
	s_delay_alu instid0(VALU_DEP_1) | instskip(NEXT) | instid1(VALU_DEP_1)
	v_fmac_f64_e32 v[14:15], v[14:15], v[40:41]
	v_fma_f64 v[40:41], -v[12:13], v[14:15], 1.0
	s_delay_alu instid0(VALU_DEP_1) | instskip(NEXT) | instid1(VALU_DEP_1)
	v_fmac_f64_e32 v[14:15], v[14:15], v[40:41]
	v_mul_f64_e32 v[40:41], v[42:43], v[14:15]
	s_delay_alu instid0(VALU_DEP_1) | instskip(NEXT) | instid1(VALU_DEP_1)
	v_fma_f64 v[12:13], -v[12:13], v[40:41], v[42:43]
	v_div_fmas_f64 v[12:13], v[12:13], v[14:15], v[40:41]
	s_delay_alu instid0(VALU_DEP_1) | instskip(NEXT) | instid1(VALU_DEP_1)
	v_div_fixup_f64 v[12:13], v[12:13], v[24:25], v[26:27]
	v_fmac_f64_e32 v[24:25], v[26:27], v[12:13]
	s_delay_alu instid0(VALU_DEP_1) | instskip(SKIP_1) | instid1(VALU_DEP_2)
	v_div_scale_f64 v[14:15], null, v[24:25], v[24:25], 1.0
	v_div_scale_f64 v[42:43], vcc_lo, 1.0, v[24:25], 1.0
	v_rcp_f64_e32 v[26:27], v[14:15]
	v_nop
	s_delay_alu instid0(TRANS32_DEP_1) | instskip(NEXT) | instid1(VALU_DEP_1)
	v_fma_f64 v[40:41], -v[14:15], v[26:27], 1.0
	v_fmac_f64_e32 v[26:27], v[26:27], v[40:41]
	s_delay_alu instid0(VALU_DEP_1) | instskip(NEXT) | instid1(VALU_DEP_1)
	v_fma_f64 v[40:41], -v[14:15], v[26:27], 1.0
	v_fmac_f64_e32 v[26:27], v[26:27], v[40:41]
	s_delay_alu instid0(VALU_DEP_1) | instskip(NEXT) | instid1(VALU_DEP_1)
	v_mul_f64_e32 v[40:41], v[42:43], v[26:27]
	v_fma_f64 v[14:15], -v[14:15], v[40:41], v[42:43]
	s_delay_alu instid0(VALU_DEP_1) | instskip(SKIP_2) | instid1(VALU_DEP_3)
	v_div_fmas_f64 v[14:15], v[14:15], v[26:27], v[40:41]
	v_fma_f64 v[26:27], v[22:23], v[12:13], v[20:21]
	v_fma_f64 v[20:21], -v[20:21], v[12:13], v[22:23]
	v_div_fixup_f64 v[14:15], v[14:15], v[24:25], 1.0
	s_delay_alu instid0(VALU_DEP_1) | instskip(NEXT) | instid1(VALU_DEP_3)
	v_mul_f64_e32 v[12:13], v[26:27], v[14:15]
	v_mul_f64_e32 v[14:15], v[20:21], v[14:15]
.LBB228_22:                             ;   in Loop: Header=BB228_16 Depth=2
	v_mov_b32_e32 v20, s27
	ds_load_b128 v[24:27], v20 offset:16
	ds_load_b128 v[20:23], v20 offset:400
	ds_store_b128 v38, v[12:15]
	s_wait_dscnt 0x2
	v_mul_f64_e32 v[40:41], v[14:15], v[26:27]
	v_mul_f64_e32 v[26:27], v[12:13], v[26:27]
	s_wait_dscnt 0x1
	v_cmp_ngt_f64_e64 s36, |v[20:21]|, |v[22:23]|
	s_delay_alu instid0(VALU_DEP_3) | instskip(NEXT) | instid1(VALU_DEP_3)
	v_fma_f64 v[40:41], v[12:13], v[24:25], -v[40:41]
	v_fmac_f64_e32 v[26:27], v[14:15], v[24:25]
	s_and_b32 vcc_lo, exec_lo, s36
	s_mov_b32 s36, -1
	s_delay_alu instid0(VALU_DEP_2) | instskip(NEXT) | instid1(VALU_DEP_2)
	v_add_f64_e64 v[24:25], v[16:17], -v[40:41]
	v_add_f64_e64 v[26:27], v[18:19], -v[26:27]
                                        ; implicit-def: $vgpr18_vgpr19
	s_cbranch_vccz .LBB228_24
; %bb.23:                               ;   in Loop: Header=BB228_16 Depth=2
	v_div_scale_f64 v[16:17], null, v[22:23], v[22:23], v[20:21]
	v_div_scale_f64 v[42:43], vcc_lo, v[20:21], v[22:23], v[20:21]
	s_mov_b32 s36, 0
	v_rcp_f64_e32 v[18:19], v[16:17]
	v_nop
	s_delay_alu instid0(TRANS32_DEP_1) | instskip(NEXT) | instid1(VALU_DEP_1)
	v_fma_f64 v[40:41], -v[16:17], v[18:19], 1.0
	v_fmac_f64_e32 v[18:19], v[18:19], v[40:41]
	s_delay_alu instid0(VALU_DEP_1) | instskip(NEXT) | instid1(VALU_DEP_1)
	v_fma_f64 v[40:41], -v[16:17], v[18:19], 1.0
	v_fmac_f64_e32 v[18:19], v[18:19], v[40:41]
	s_delay_alu instid0(VALU_DEP_1) | instskip(NEXT) | instid1(VALU_DEP_1)
	v_mul_f64_e32 v[40:41], v[42:43], v[18:19]
	v_fma_f64 v[16:17], -v[16:17], v[40:41], v[42:43]
	s_delay_alu instid0(VALU_DEP_1) | instskip(NEXT) | instid1(VALU_DEP_1)
	v_div_fmas_f64 v[16:17], v[16:17], v[18:19], v[40:41]
	v_div_fixup_f64 v[16:17], v[16:17], v[22:23], v[20:21]
	s_delay_alu instid0(VALU_DEP_1) | instskip(NEXT) | instid1(VALU_DEP_1)
	v_fma_f64 v[18:19], v[20:21], v[16:17], v[22:23]
	v_div_scale_f64 v[40:41], null, v[18:19], v[18:19], 1.0
	v_div_scale_f64 v[46:47], vcc_lo, 1.0, v[18:19], 1.0
	s_delay_alu instid0(VALU_DEP_2) | instskip(SKIP_1) | instid1(TRANS32_DEP_1)
	v_rcp_f64_e32 v[42:43], v[40:41]
	v_nop
	v_fma_f64 v[44:45], -v[40:41], v[42:43], 1.0
	s_delay_alu instid0(VALU_DEP_1) | instskip(NEXT) | instid1(VALU_DEP_1)
	v_fmac_f64_e32 v[42:43], v[42:43], v[44:45]
	v_fma_f64 v[44:45], -v[40:41], v[42:43], 1.0
	s_delay_alu instid0(VALU_DEP_1) | instskip(NEXT) | instid1(VALU_DEP_1)
	v_fmac_f64_e32 v[42:43], v[42:43], v[44:45]
	v_mul_f64_e32 v[44:45], v[46:47], v[42:43]
	s_delay_alu instid0(VALU_DEP_1) | instskip(NEXT) | instid1(VALU_DEP_1)
	v_fma_f64 v[40:41], -v[40:41], v[44:45], v[46:47]
	v_div_fmas_f64 v[40:41], v[40:41], v[42:43], v[44:45]
	v_fma_f64 v[42:43], v[16:17], v[24:25], v[26:27]
	s_delay_alu instid0(VALU_DEP_2) | instskip(SKIP_1) | instid1(VALU_DEP_2)
	v_div_fixup_f64 v[18:19], v[40:41], v[18:19], 1.0
	v_fma_f64 v[40:41], v[16:17], v[26:27], -v[24:25]
	v_mul_f64_e32 v[16:17], v[42:43], v[18:19]
	s_delay_alu instid0(VALU_DEP_2)
	v_mul_f64_e32 v[18:19], v[40:41], v[18:19]
.LBB228_24:                             ;   in Loop: Header=BB228_16 Depth=2
	s_and_not1_b32 vcc_lo, exec_lo, s36
	s_cbranch_vccnz .LBB228_26
; %bb.25:                               ;   in Loop: Header=BB228_16 Depth=2
	v_div_scale_f64 v[16:17], null, v[20:21], v[20:21], v[22:23]
	v_div_scale_f64 v[42:43], vcc_lo, v[22:23], v[20:21], v[22:23]
	s_delay_alu instid0(VALU_DEP_2) | instskip(SKIP_1) | instid1(TRANS32_DEP_1)
	v_rcp_f64_e32 v[18:19], v[16:17]
	v_nop
	v_fma_f64 v[40:41], -v[16:17], v[18:19], 1.0
	s_delay_alu instid0(VALU_DEP_1) | instskip(NEXT) | instid1(VALU_DEP_1)
	v_fmac_f64_e32 v[18:19], v[18:19], v[40:41]
	v_fma_f64 v[40:41], -v[16:17], v[18:19], 1.0
	s_delay_alu instid0(VALU_DEP_1) | instskip(NEXT) | instid1(VALU_DEP_1)
	v_fmac_f64_e32 v[18:19], v[18:19], v[40:41]
	v_mul_f64_e32 v[40:41], v[42:43], v[18:19]
	s_delay_alu instid0(VALU_DEP_1) | instskip(NEXT) | instid1(VALU_DEP_1)
	v_fma_f64 v[16:17], -v[16:17], v[40:41], v[42:43]
	v_div_fmas_f64 v[16:17], v[16:17], v[18:19], v[40:41]
	s_delay_alu instid0(VALU_DEP_1) | instskip(NEXT) | instid1(VALU_DEP_1)
	v_div_fixup_f64 v[16:17], v[16:17], v[20:21], v[22:23]
	v_fmac_f64_e32 v[20:21], v[22:23], v[16:17]
	s_delay_alu instid0(VALU_DEP_1) | instskip(SKIP_1) | instid1(VALU_DEP_2)
	v_div_scale_f64 v[18:19], null, v[20:21], v[20:21], 1.0
	v_div_scale_f64 v[42:43], vcc_lo, 1.0, v[20:21], 1.0
	v_rcp_f64_e32 v[22:23], v[18:19]
	v_nop
	s_delay_alu instid0(TRANS32_DEP_1) | instskip(NEXT) | instid1(VALU_DEP_1)
	v_fma_f64 v[40:41], -v[18:19], v[22:23], 1.0
	v_fmac_f64_e32 v[22:23], v[22:23], v[40:41]
	s_delay_alu instid0(VALU_DEP_1) | instskip(NEXT) | instid1(VALU_DEP_1)
	v_fma_f64 v[40:41], -v[18:19], v[22:23], 1.0
	v_fmac_f64_e32 v[22:23], v[22:23], v[40:41]
	s_delay_alu instid0(VALU_DEP_1) | instskip(NEXT) | instid1(VALU_DEP_1)
	v_mul_f64_e32 v[40:41], v[42:43], v[22:23]
	v_fma_f64 v[18:19], -v[18:19], v[40:41], v[42:43]
	s_delay_alu instid0(VALU_DEP_1) | instskip(SKIP_1) | instid1(VALU_DEP_2)
	v_div_fmas_f64 v[18:19], v[18:19], v[22:23], v[40:41]
	v_fma_f64 v[22:23], v[16:17], v[26:27], v[24:25]
	v_div_fixup_f64 v[18:19], v[18:19], v[20:21], 1.0
	v_fma_f64 v[20:21], -v[16:17], v[24:25], v[26:27]
	s_delay_alu instid0(VALU_DEP_2) | instskip(NEXT) | instid1(VALU_DEP_2)
	v_mul_f64_e32 v[16:17], v[22:23], v[18:19]
	v_mul_f64_e32 v[18:19], v[20:21], v[18:19]
.LBB228_26:                             ;   in Loop: Header=BB228_16 Depth=2
	v_mov_b32_e32 v20, s27
	s_add_co_i32 s36, s27, 0x190
	s_or_b32 s37, s26, 16
	ds_store_b128 v38, v[16:19] offset:384
	s_sub_co_i32 s37, s36, s37
	ds_load_b128 v[24:27], v20 offset:32
	s_add_co_i32 s37, s37, s26
	s_delay_alu instid0(SALU_CYCLE_1)
	v_mov_b32_e32 v39, s37
	ds_load_b128 v[40:43], v39 offset:32
	s_wait_dscnt 0x1
	v_mul_f64_e32 v[44:45], v[14:15], v[26:27]
	v_mul_f64_e32 v[26:27], v[12:13], v[26:27]
	ds_load_b128 v[20:23], v20 offset:800
	s_wait_dscnt 0x1
	v_mul_f64_e32 v[46:47], v[18:19], v[42:43]
	v_mul_f64_e32 v[42:43], v[16:17], v[42:43]
	s_wait_dscnt 0x0
	v_cmp_ngt_f64_e64 s38, |v[20:21]|, |v[22:23]|
	v_fma_f64 v[44:45], v[12:13], v[24:25], -v[44:45]
	v_fmac_f64_e32 v[26:27], v[14:15], v[24:25]
	v_fma_f64 v[24:25], v[16:17], v[40:41], -v[46:47]
	v_fmac_f64_e32 v[42:43], v[18:19], v[40:41]
	s_and_b32 vcc_lo, exec_lo, s38
	s_mov_b32 s38, -1
	s_delay_alu instid0(VALU_DEP_4) | instskip(NEXT) | instid1(VALU_DEP_4)
	v_add_f64_e64 v[8:9], v[8:9], -v[44:45]
	v_add_f64_e64 v[10:11], v[10:11], -v[26:27]
	s_delay_alu instid0(VALU_DEP_2) | instskip(NEXT) | instid1(VALU_DEP_2)
	v_add_f64_e64 v[8:9], v[8:9], -v[24:25]
	v_add_f64_e64 v[10:11], v[10:11], -v[42:43]
                                        ; implicit-def: $vgpr26_vgpr27
	s_cbranch_vccz .LBB228_28
; %bb.27:                               ;   in Loop: Header=BB228_16 Depth=2
	v_div_scale_f64 v[24:25], null, v[22:23], v[22:23], v[20:21]
	v_div_scale_f64 v[42:43], vcc_lo, v[20:21], v[22:23], v[20:21]
	s_mov_b32 s38, 0
	v_rcp_f64_e32 v[26:27], v[24:25]
	v_nop
	s_delay_alu instid0(TRANS32_DEP_1) | instskip(NEXT) | instid1(VALU_DEP_1)
	v_fma_f64 v[40:41], -v[24:25], v[26:27], 1.0
	v_fmac_f64_e32 v[26:27], v[26:27], v[40:41]
	s_delay_alu instid0(VALU_DEP_1) | instskip(NEXT) | instid1(VALU_DEP_1)
	v_fma_f64 v[40:41], -v[24:25], v[26:27], 1.0
	v_fmac_f64_e32 v[26:27], v[26:27], v[40:41]
	s_delay_alu instid0(VALU_DEP_1) | instskip(NEXT) | instid1(VALU_DEP_1)
	v_mul_f64_e32 v[40:41], v[42:43], v[26:27]
	v_fma_f64 v[24:25], -v[24:25], v[40:41], v[42:43]
	s_delay_alu instid0(VALU_DEP_1) | instskip(NEXT) | instid1(VALU_DEP_1)
	v_div_fmas_f64 v[24:25], v[24:25], v[26:27], v[40:41]
	v_div_fixup_f64 v[24:25], v[24:25], v[22:23], v[20:21]
	s_delay_alu instid0(VALU_DEP_1) | instskip(NEXT) | instid1(VALU_DEP_1)
	v_fma_f64 v[26:27], v[20:21], v[24:25], v[22:23]
	v_div_scale_f64 v[40:41], null, v[26:27], v[26:27], 1.0
	v_div_scale_f64 v[46:47], vcc_lo, 1.0, v[26:27], 1.0
	s_delay_alu instid0(VALU_DEP_2) | instskip(SKIP_1) | instid1(TRANS32_DEP_1)
	v_rcp_f64_e32 v[42:43], v[40:41]
	v_nop
	v_fma_f64 v[44:45], -v[40:41], v[42:43], 1.0
	s_delay_alu instid0(VALU_DEP_1) | instskip(NEXT) | instid1(VALU_DEP_1)
	v_fmac_f64_e32 v[42:43], v[42:43], v[44:45]
	v_fma_f64 v[44:45], -v[40:41], v[42:43], 1.0
	s_delay_alu instid0(VALU_DEP_1) | instskip(NEXT) | instid1(VALU_DEP_1)
	v_fmac_f64_e32 v[42:43], v[42:43], v[44:45]
	v_mul_f64_e32 v[44:45], v[46:47], v[42:43]
	s_delay_alu instid0(VALU_DEP_1) | instskip(NEXT) | instid1(VALU_DEP_1)
	v_fma_f64 v[40:41], -v[40:41], v[44:45], v[46:47]
	v_div_fmas_f64 v[40:41], v[40:41], v[42:43], v[44:45]
	v_fma_f64 v[42:43], v[24:25], v[8:9], v[10:11]
	s_delay_alu instid0(VALU_DEP_2) | instskip(SKIP_1) | instid1(VALU_DEP_2)
	v_div_fixup_f64 v[26:27], v[40:41], v[26:27], 1.0
	v_fma_f64 v[40:41], v[24:25], v[10:11], -v[8:9]
	v_mul_f64_e32 v[24:25], v[42:43], v[26:27]
	s_delay_alu instid0(VALU_DEP_2)
	v_mul_f64_e32 v[26:27], v[40:41], v[26:27]
.LBB228_28:                             ;   in Loop: Header=BB228_16 Depth=2
	s_and_not1_b32 vcc_lo, exec_lo, s38
	s_cbranch_vccnz .LBB228_30
; %bb.29:                               ;   in Loop: Header=BB228_16 Depth=2
	v_div_scale_f64 v[24:25], null, v[20:21], v[20:21], v[22:23]
	v_div_scale_f64 v[42:43], vcc_lo, v[22:23], v[20:21], v[22:23]
	s_delay_alu instid0(VALU_DEP_2) | instskip(SKIP_1) | instid1(TRANS32_DEP_1)
	v_rcp_f64_e32 v[26:27], v[24:25]
	v_nop
	v_fma_f64 v[40:41], -v[24:25], v[26:27], 1.0
	s_delay_alu instid0(VALU_DEP_1) | instskip(NEXT) | instid1(VALU_DEP_1)
	v_fmac_f64_e32 v[26:27], v[26:27], v[40:41]
	v_fma_f64 v[40:41], -v[24:25], v[26:27], 1.0
	s_delay_alu instid0(VALU_DEP_1) | instskip(NEXT) | instid1(VALU_DEP_1)
	v_fmac_f64_e32 v[26:27], v[26:27], v[40:41]
	v_mul_f64_e32 v[40:41], v[42:43], v[26:27]
	s_delay_alu instid0(VALU_DEP_1) | instskip(NEXT) | instid1(VALU_DEP_1)
	v_fma_f64 v[24:25], -v[24:25], v[40:41], v[42:43]
	v_div_fmas_f64 v[24:25], v[24:25], v[26:27], v[40:41]
	s_delay_alu instid0(VALU_DEP_1) | instskip(NEXT) | instid1(VALU_DEP_1)
	v_div_fixup_f64 v[24:25], v[24:25], v[20:21], v[22:23]
	v_fmac_f64_e32 v[20:21], v[22:23], v[24:25]
	s_delay_alu instid0(VALU_DEP_1) | instskip(SKIP_1) | instid1(VALU_DEP_2)
	v_div_scale_f64 v[22:23], null, v[20:21], v[20:21], 1.0
	v_div_scale_f64 v[42:43], vcc_lo, 1.0, v[20:21], 1.0
	v_rcp_f64_e32 v[26:27], v[22:23]
	v_nop
	s_delay_alu instid0(TRANS32_DEP_1) | instskip(NEXT) | instid1(VALU_DEP_1)
	v_fma_f64 v[40:41], -v[22:23], v[26:27], 1.0
	v_fmac_f64_e32 v[26:27], v[26:27], v[40:41]
	s_delay_alu instid0(VALU_DEP_1) | instskip(NEXT) | instid1(VALU_DEP_1)
	v_fma_f64 v[40:41], -v[22:23], v[26:27], 1.0
	v_fmac_f64_e32 v[26:27], v[26:27], v[40:41]
	s_delay_alu instid0(VALU_DEP_1) | instskip(NEXT) | instid1(VALU_DEP_1)
	v_mul_f64_e32 v[40:41], v[42:43], v[26:27]
	v_fma_f64 v[22:23], -v[22:23], v[40:41], v[42:43]
	s_delay_alu instid0(VALU_DEP_1) | instskip(SKIP_2) | instid1(VALU_DEP_3)
	v_div_fmas_f64 v[22:23], v[22:23], v[26:27], v[40:41]
	v_fma_f64 v[26:27], v[24:25], v[10:11], v[8:9]
	v_fma_f64 v[8:9], -v[24:25], v[8:9], v[10:11]
	v_div_fixup_f64 v[20:21], v[22:23], v[20:21], 1.0
	s_delay_alu instid0(VALU_DEP_1) | instskip(NEXT) | instid1(VALU_DEP_3)
	v_mul_f64_e32 v[24:25], v[26:27], v[20:21]
	v_mul_f64_e32 v[26:27], v[8:9], v[20:21]
.LBB228_30:                             ;   in Loop: Header=BB228_16 Depth=2
	v_mov_b32_e32 v8, s27
	s_or_b32 s27, s26, 32
	ds_load_b128 v[20:23], v8 offset:48
	ds_load_b128 v[8:11], v8 offset:1200
	s_sub_co_i32 s27, s36, s27
	ds_store_b128 v38, v[24:27] offset:768
	s_add_co_i32 s26, s27, s26
	v_mov_b32_e32 v39, s37
	ds_load_b128 v[40:43], v39 offset:48
	s_wait_dscnt 0x3
	v_dual_mul_f64 v[48:49], v[14:15], v[22:23] :: v_dual_mov_b32 v39, s26
	v_mul_f64_e32 v[22:23], v[12:13], v[22:23]
	s_wait_dscnt 0x2
	v_cmp_ngt_f64_e64 s26, |v[8:9]|, |v[10:11]|
	s_wait_dscnt 0x0
	v_mul_f64_e32 v[50:51], v[18:19], v[42:43]
	v_mul_f64_e32 v[42:43], v[16:17], v[42:43]
	ds_load_b128 v[44:47], v39 offset:448
	v_fma_f64 v[12:13], v[12:13], v[20:21], -v[48:49]
	v_fmac_f64_e32 v[22:23], v[14:15], v[20:21]
	s_and_b32 vcc_lo, exec_lo, s26
	s_mov_b32 s26, -1
	s_wait_dscnt 0x0
	v_mul_f64_e32 v[14:15], v[26:27], v[46:47]
	v_mul_f64_e32 v[20:21], v[24:25], v[46:47]
	v_fma_f64 v[16:17], v[16:17], v[40:41], -v[50:51]
	v_fmac_f64_e32 v[42:43], v[18:19], v[40:41]
	v_add_f64_e64 v[4:5], v[4:5], -v[12:13]
	v_add_f64_e64 v[6:7], v[6:7], -v[22:23]
	v_fma_f64 v[12:13], v[24:25], v[44:45], -v[14:15]
	v_fmac_f64_e32 v[20:21], v[26:27], v[44:45]
	s_delay_alu instid0(VALU_DEP_4) | instskip(NEXT) | instid1(VALU_DEP_4)
	v_add_f64_e64 v[4:5], v[4:5], -v[16:17]
	v_add_f64_e64 v[6:7], v[6:7], -v[42:43]
	s_delay_alu instid0(VALU_DEP_2) | instskip(NEXT) | instid1(VALU_DEP_2)
	v_add_f64_e64 v[12:13], v[4:5], -v[12:13]
	v_add_f64_e64 v[14:15], v[6:7], -v[20:21]
                                        ; implicit-def: $vgpr6_vgpr7
	s_cbranch_vccz .LBB228_32
; %bb.31:                               ;   in Loop: Header=BB228_16 Depth=2
	v_div_scale_f64 v[4:5], null, v[10:11], v[10:11], v[8:9]
	v_div_scale_f64 v[18:19], vcc_lo, v[8:9], v[10:11], v[8:9]
	s_mov_b32 s26, 0
	v_rcp_f64_e32 v[6:7], v[4:5]
	v_nop
	s_delay_alu instid0(TRANS32_DEP_1) | instskip(NEXT) | instid1(VALU_DEP_1)
	v_fma_f64 v[16:17], -v[4:5], v[6:7], 1.0
	v_fmac_f64_e32 v[6:7], v[6:7], v[16:17]
	s_delay_alu instid0(VALU_DEP_1) | instskip(NEXT) | instid1(VALU_DEP_1)
	v_fma_f64 v[16:17], -v[4:5], v[6:7], 1.0
	v_fmac_f64_e32 v[6:7], v[6:7], v[16:17]
	s_delay_alu instid0(VALU_DEP_1) | instskip(NEXT) | instid1(VALU_DEP_1)
	v_mul_f64_e32 v[16:17], v[18:19], v[6:7]
	v_fma_f64 v[4:5], -v[4:5], v[16:17], v[18:19]
	s_delay_alu instid0(VALU_DEP_1) | instskip(NEXT) | instid1(VALU_DEP_1)
	v_div_fmas_f64 v[4:5], v[4:5], v[6:7], v[16:17]
	v_div_fixup_f64 v[4:5], v[4:5], v[10:11], v[8:9]
	s_delay_alu instid0(VALU_DEP_1) | instskip(NEXT) | instid1(VALU_DEP_1)
	v_fma_f64 v[6:7], v[8:9], v[4:5], v[10:11]
	v_div_scale_f64 v[16:17], null, v[6:7], v[6:7], 1.0
	v_div_scale_f64 v[22:23], vcc_lo, 1.0, v[6:7], 1.0
	s_delay_alu instid0(VALU_DEP_2) | instskip(SKIP_1) | instid1(TRANS32_DEP_1)
	v_rcp_f64_e32 v[18:19], v[16:17]
	v_nop
	v_fma_f64 v[20:21], -v[16:17], v[18:19], 1.0
	s_delay_alu instid0(VALU_DEP_1) | instskip(NEXT) | instid1(VALU_DEP_1)
	v_fmac_f64_e32 v[18:19], v[18:19], v[20:21]
	v_fma_f64 v[20:21], -v[16:17], v[18:19], 1.0
	s_delay_alu instid0(VALU_DEP_1) | instskip(NEXT) | instid1(VALU_DEP_1)
	v_fmac_f64_e32 v[18:19], v[18:19], v[20:21]
	v_mul_f64_e32 v[20:21], v[22:23], v[18:19]
	s_delay_alu instid0(VALU_DEP_1) | instskip(NEXT) | instid1(VALU_DEP_1)
	v_fma_f64 v[16:17], -v[16:17], v[20:21], v[22:23]
	v_div_fmas_f64 v[16:17], v[16:17], v[18:19], v[20:21]
	v_fma_f64 v[18:19], v[4:5], v[12:13], v[14:15]
	s_delay_alu instid0(VALU_DEP_2) | instskip(SKIP_1) | instid1(VALU_DEP_2)
	v_div_fixup_f64 v[6:7], v[16:17], v[6:7], 1.0
	v_fma_f64 v[16:17], v[4:5], v[14:15], -v[12:13]
	v_mul_f64_e32 v[4:5], v[18:19], v[6:7]
	s_delay_alu instid0(VALU_DEP_2)
	v_mul_f64_e32 v[6:7], v[16:17], v[6:7]
.LBB228_32:                             ;   in Loop: Header=BB228_16 Depth=2
	s_and_not1_b32 vcc_lo, exec_lo, s26
	s_cbranch_vccnz .LBB228_34
; %bb.33:                               ;   in Loop: Header=BB228_16 Depth=2
	v_div_scale_f64 v[4:5], null, v[8:9], v[8:9], v[10:11]
	v_div_scale_f64 v[18:19], vcc_lo, v[10:11], v[8:9], v[10:11]
	s_delay_alu instid0(VALU_DEP_2) | instskip(SKIP_1) | instid1(TRANS32_DEP_1)
	v_rcp_f64_e32 v[6:7], v[4:5]
	v_nop
	v_fma_f64 v[16:17], -v[4:5], v[6:7], 1.0
	s_delay_alu instid0(VALU_DEP_1) | instskip(NEXT) | instid1(VALU_DEP_1)
	v_fmac_f64_e32 v[6:7], v[6:7], v[16:17]
	v_fma_f64 v[16:17], -v[4:5], v[6:7], 1.0
	s_delay_alu instid0(VALU_DEP_1) | instskip(NEXT) | instid1(VALU_DEP_1)
	v_fmac_f64_e32 v[6:7], v[6:7], v[16:17]
	v_mul_f64_e32 v[16:17], v[18:19], v[6:7]
	s_delay_alu instid0(VALU_DEP_1) | instskip(NEXT) | instid1(VALU_DEP_1)
	v_fma_f64 v[4:5], -v[4:5], v[16:17], v[18:19]
	v_div_fmas_f64 v[4:5], v[4:5], v[6:7], v[16:17]
	s_delay_alu instid0(VALU_DEP_1) | instskip(NEXT) | instid1(VALU_DEP_1)
	v_div_fixup_f64 v[4:5], v[4:5], v[8:9], v[10:11]
	v_fmac_f64_e32 v[8:9], v[10:11], v[4:5]
	s_delay_alu instid0(VALU_DEP_1) | instskip(SKIP_1) | instid1(VALU_DEP_2)
	v_div_scale_f64 v[6:7], null, v[8:9], v[8:9], 1.0
	v_div_scale_f64 v[18:19], vcc_lo, 1.0, v[8:9], 1.0
	v_rcp_f64_e32 v[10:11], v[6:7]
	v_nop
	s_delay_alu instid0(TRANS32_DEP_1) | instskip(NEXT) | instid1(VALU_DEP_1)
	v_fma_f64 v[16:17], -v[6:7], v[10:11], 1.0
	v_fmac_f64_e32 v[10:11], v[10:11], v[16:17]
	s_delay_alu instid0(VALU_DEP_1) | instskip(NEXT) | instid1(VALU_DEP_1)
	v_fma_f64 v[16:17], -v[6:7], v[10:11], 1.0
	v_fmac_f64_e32 v[10:11], v[10:11], v[16:17]
	s_delay_alu instid0(VALU_DEP_1) | instskip(NEXT) | instid1(VALU_DEP_1)
	v_mul_f64_e32 v[16:17], v[18:19], v[10:11]
	v_fma_f64 v[6:7], -v[6:7], v[16:17], v[18:19]
	s_delay_alu instid0(VALU_DEP_1) | instskip(SKIP_1) | instid1(VALU_DEP_2)
	v_div_fmas_f64 v[6:7], v[6:7], v[10:11], v[16:17]
	v_fma_f64 v[10:11], v[4:5], v[14:15], v[12:13]
	v_div_fixup_f64 v[6:7], v[6:7], v[8:9], 1.0
	v_fma_f64 v[8:9], -v[4:5], v[12:13], v[14:15]
	s_delay_alu instid0(VALU_DEP_2) | instskip(NEXT) | instid1(VALU_DEP_2)
	v_mul_f64_e32 v[4:5], v[10:11], v[6:7]
	v_mul_f64_e32 v[6:7], v[8:9], v[6:7]
.LBB228_34:                             ;   in Loop: Header=BB228_16 Depth=2
	s_add_co_i32 s26, s25, 4
	s_add_co_i32 s25, s25, 7
	;; [unrolled: 1-line block ×3, first 2 shown]
	s_cmp_ge_i32 s25, s29
	ds_store_b128 v37, v[4:7]
	s_cbranch_scc1 .LBB228_36
; %bb.35:                               ;   in Loop: Header=BB228_16 Depth=2
	s_mov_b32 s25, s26
	s_branch .LBB228_16
.LBB228_36:                             ;   in Loop: Header=BB228_3 Depth=1
	s_cmp_ge_i32 s26, s29
	s_cbranch_scc1 .LBB228_45
; %bb.37:                               ;   in Loop: Header=BB228_3 Depth=1
	s_lshl_b32 s24, s26, 4
	s_branch .LBB228_39
.LBB228_38:                             ;   in Loop: Header=BB228_39 Depth=2
	s_add_co_i32 s26, s26, 1
	s_add_co_i32 s24, s24, 16
	s_cmp_ge_i32 s26, s29
	ds_store_b128 v16, v[12:15]
	s_cbranch_scc1 .LBB228_45
.LBB228_39:                             ;   Parent Loop BB228_3 Depth=1
                                        ; =>  This Loop Header: Depth=2
                                        ;       Child Loop BB228_40 Depth 3
	s_mul_i32 s25, s26, 0x180
	s_cmp_eq_u32 s26, 0
	v_dual_add_nc_u32 v16, s25, v34 :: v_dual_mov_b32 v8, v34
	s_mov_b32 s27, s24
	s_mov_b32 s36, s26
	ds_load_b128 v[4:7], v16
	s_cbranch_scc1 .LBB228_41
.LBB228_40:                             ;   Parent Loop BB228_3 Depth=1
                                        ;     Parent Loop BB228_39 Depth=2
                                        ; =>    This Inner Loop Header: Depth=3
	v_mov_b32_e32 v9, s27
	s_add_co_i32 s36, s36, -1
	s_addk_co_i32 s27, 0x180
	s_cmp_eq_u32 s36, 0
	ds_load_b128 v[10:13], v8
	ds_load_b128 v[18:21], v9
	v_add_nc_u32_e32 v8, 0x180, v8
	s_wait_dscnt 0x0
	v_mul_f64_e32 v[14:15], v[20:21], v[12:13]
	v_mul_f64_e32 v[12:13], v[18:19], v[12:13]
	s_delay_alu instid0(VALU_DEP_2) | instskip(NEXT) | instid1(VALU_DEP_2)
	v_fma_f64 v[14:15], v[18:19], v[10:11], -v[14:15]
	v_fmac_f64_e32 v[12:13], v[20:21], v[10:11]
	s_delay_alu instid0(VALU_DEP_2) | instskip(NEXT) | instid1(VALU_DEP_2)
	v_add_f64_e64 v[4:5], v[4:5], -v[14:15]
	v_add_f64_e64 v[6:7], v[6:7], -v[12:13]
	s_cbranch_scc0 .LBB228_40
.LBB228_41:                             ;   in Loop: Header=BB228_39 Depth=2
	s_lshl_b32 s27, s26, 4
                                        ; implicit-def: $vgpr12_vgpr13
	s_delay_alu instid0(SALU_CYCLE_1) | instskip(NEXT) | instid1(SALU_CYCLE_1)
	s_add_co_i32 s25, s27, s25
	v_mov_b32_e32 v8, s25
	ds_load_b128 v[8:11], v8
	s_wait_dscnt 0x0
	v_cmp_ngt_f64_e64 s25, |v[8:9]|, |v[10:11]|
	s_and_b32 vcc_lo, exec_lo, s25
	s_mov_b32 s25, -1
	s_cbranch_vccz .LBB228_43
; %bb.42:                               ;   in Loop: Header=BB228_39 Depth=2
	v_div_scale_f64 v[12:13], null, v[10:11], v[10:11], v[8:9]
	v_div_scale_f64 v[20:21], vcc_lo, v[8:9], v[10:11], v[8:9]
	s_mov_b32 s25, 0
	v_rcp_f64_e32 v[14:15], v[12:13]
	v_nop
	s_delay_alu instid0(TRANS32_DEP_1) | instskip(NEXT) | instid1(VALU_DEP_1)
	v_fma_f64 v[18:19], -v[12:13], v[14:15], 1.0
	v_fmac_f64_e32 v[14:15], v[14:15], v[18:19]
	s_delay_alu instid0(VALU_DEP_1) | instskip(NEXT) | instid1(VALU_DEP_1)
	v_fma_f64 v[18:19], -v[12:13], v[14:15], 1.0
	v_fmac_f64_e32 v[14:15], v[14:15], v[18:19]
	s_delay_alu instid0(VALU_DEP_1) | instskip(NEXT) | instid1(VALU_DEP_1)
	v_mul_f64_e32 v[18:19], v[20:21], v[14:15]
	v_fma_f64 v[12:13], -v[12:13], v[18:19], v[20:21]
	s_delay_alu instid0(VALU_DEP_1) | instskip(NEXT) | instid1(VALU_DEP_1)
	v_div_fmas_f64 v[12:13], v[12:13], v[14:15], v[18:19]
	v_div_fixup_f64 v[12:13], v[12:13], v[10:11], v[8:9]
	s_delay_alu instid0(VALU_DEP_1) | instskip(NEXT) | instid1(VALU_DEP_1)
	v_fma_f64 v[14:15], v[8:9], v[12:13], v[10:11]
	v_div_scale_f64 v[18:19], null, v[14:15], v[14:15], 1.0
	v_div_scale_f64 v[24:25], vcc_lo, 1.0, v[14:15], 1.0
	s_delay_alu instid0(VALU_DEP_2) | instskip(SKIP_1) | instid1(TRANS32_DEP_1)
	v_rcp_f64_e32 v[20:21], v[18:19]
	v_nop
	v_fma_f64 v[22:23], -v[18:19], v[20:21], 1.0
	s_delay_alu instid0(VALU_DEP_1) | instskip(NEXT) | instid1(VALU_DEP_1)
	v_fmac_f64_e32 v[20:21], v[20:21], v[22:23]
	v_fma_f64 v[22:23], -v[18:19], v[20:21], 1.0
	s_delay_alu instid0(VALU_DEP_1) | instskip(NEXT) | instid1(VALU_DEP_1)
	v_fmac_f64_e32 v[20:21], v[20:21], v[22:23]
	v_mul_f64_e32 v[22:23], v[24:25], v[20:21]
	s_delay_alu instid0(VALU_DEP_1) | instskip(NEXT) | instid1(VALU_DEP_1)
	v_fma_f64 v[18:19], -v[18:19], v[22:23], v[24:25]
	v_div_fmas_f64 v[18:19], v[18:19], v[20:21], v[22:23]
	v_fma_f64 v[20:21], v[4:5], v[12:13], v[6:7]
	s_delay_alu instid0(VALU_DEP_2) | instskip(SKIP_1) | instid1(VALU_DEP_2)
	v_div_fixup_f64 v[14:15], v[18:19], v[14:15], 1.0
	v_fma_f64 v[18:19], v[6:7], v[12:13], -v[4:5]
	v_mul_f64_e32 v[12:13], v[20:21], v[14:15]
	s_delay_alu instid0(VALU_DEP_2)
	v_mul_f64_e32 v[14:15], v[18:19], v[14:15]
.LBB228_43:                             ;   in Loop: Header=BB228_39 Depth=2
	s_and_not1_b32 vcc_lo, exec_lo, s25
	s_cbranch_vccnz .LBB228_38
; %bb.44:                               ;   in Loop: Header=BB228_39 Depth=2
	v_div_scale_f64 v[12:13], null, v[8:9], v[8:9], v[10:11]
	v_div_scale_f64 v[20:21], vcc_lo, v[10:11], v[8:9], v[10:11]
	s_delay_alu instid0(VALU_DEP_2) | instskip(SKIP_1) | instid1(TRANS32_DEP_1)
	v_rcp_f64_e32 v[14:15], v[12:13]
	v_nop
	v_fma_f64 v[18:19], -v[12:13], v[14:15], 1.0
	s_delay_alu instid0(VALU_DEP_1) | instskip(NEXT) | instid1(VALU_DEP_1)
	v_fmac_f64_e32 v[14:15], v[14:15], v[18:19]
	v_fma_f64 v[18:19], -v[12:13], v[14:15], 1.0
	s_delay_alu instid0(VALU_DEP_1) | instskip(NEXT) | instid1(VALU_DEP_1)
	v_fmac_f64_e32 v[14:15], v[14:15], v[18:19]
	v_mul_f64_e32 v[18:19], v[20:21], v[14:15]
	s_delay_alu instid0(VALU_DEP_1) | instskip(NEXT) | instid1(VALU_DEP_1)
	v_fma_f64 v[12:13], -v[12:13], v[18:19], v[20:21]
	v_div_fmas_f64 v[12:13], v[12:13], v[14:15], v[18:19]
	s_delay_alu instid0(VALU_DEP_1) | instskip(NEXT) | instid1(VALU_DEP_1)
	v_div_fixup_f64 v[12:13], v[12:13], v[8:9], v[10:11]
	v_fmac_f64_e32 v[8:9], v[10:11], v[12:13]
	s_delay_alu instid0(VALU_DEP_1) | instskip(SKIP_1) | instid1(VALU_DEP_2)
	v_div_scale_f64 v[10:11], null, v[8:9], v[8:9], 1.0
	v_div_scale_f64 v[20:21], vcc_lo, 1.0, v[8:9], 1.0
	v_rcp_f64_e32 v[14:15], v[10:11]
	v_nop
	s_delay_alu instid0(TRANS32_DEP_1) | instskip(NEXT) | instid1(VALU_DEP_1)
	v_fma_f64 v[18:19], -v[10:11], v[14:15], 1.0
	v_fmac_f64_e32 v[14:15], v[14:15], v[18:19]
	s_delay_alu instid0(VALU_DEP_1) | instskip(NEXT) | instid1(VALU_DEP_1)
	v_fma_f64 v[18:19], -v[10:11], v[14:15], 1.0
	v_fmac_f64_e32 v[14:15], v[14:15], v[18:19]
	s_delay_alu instid0(VALU_DEP_1) | instskip(NEXT) | instid1(VALU_DEP_1)
	v_mul_f64_e32 v[18:19], v[20:21], v[14:15]
	v_fma_f64 v[10:11], -v[10:11], v[18:19], v[20:21]
	s_delay_alu instid0(VALU_DEP_1) | instskip(SKIP_2) | instid1(VALU_DEP_3)
	v_div_fmas_f64 v[10:11], v[10:11], v[14:15], v[18:19]
	v_fma_f64 v[14:15], v[6:7], v[12:13], v[4:5]
	v_fma_f64 v[4:5], -v[4:5], v[12:13], v[6:7]
	v_div_fixup_f64 v[8:9], v[10:11], v[8:9], 1.0
	s_delay_alu instid0(VALU_DEP_1) | instskip(NEXT) | instid1(VALU_DEP_3)
	v_mul_f64_e32 v[12:13], v[14:15], v[8:9]
	v_mul_f64_e32 v[14:15], v[4:5], v[8:9]
	s_branch .LBB228_38
.LBB228_45:                             ;   in Loop: Header=BB228_3 Depth=1
	s_mov_b32 s24, 0
.LBB228_46:                             ;   in Loop: Header=BB228_3 Depth=1
	s_delay_alu instid0(SALU_CYCLE_1)
	s_and_b32 vcc_lo, exec_lo, s24
	s_cbranch_vccz .LBB228_78
; %bb.47:                               ;   in Loop: Header=BB228_3 Depth=1
	s_mov_b32 s26, s30
	s_and_not1_b32 vcc_lo, exec_lo, s34
	s_mov_b32 s24, s18
	s_mov_b32 s25, s30
	s_cbranch_vccnz .LBB228_69
.LBB228_48:                             ;   Parent Loop BB228_3 Depth=1
                                        ; =>  This Loop Header: Depth=2
                                        ;       Child Loop BB228_49 Depth 3
	s_mul_i32 s27, s25, 0x180
	s_mov_b32 s36, s30
	s_add_co_i32 s26, s27, 0xfffffb80
	s_delay_alu instid0(SALU_CYCLE_1) | instskip(SKIP_2) | instid1(VALU_DEP_1)
	v_dual_add_nc_u32 v40, s27, v34 :: v_dual_add_nc_u32 v37, s26, v34
	s_cmp_le_i32 s30, s25
	s_mov_b32 s26, s24
	v_dual_mov_b32 v12, v35 :: v_dual_add_nc_u32 v39, 0xfffffe80, v40
	v_add_nc_u32_e32 v38, 0xfffffd00, v40
	ds_load_b128 v[20:23], v40
	ds_load_b128 v[16:19], v39
	;; [unrolled: 1-line block ×4, first 2 shown]
	s_cbranch_scc1 .LBB228_50
.LBB228_49:                             ;   Parent Loop BB228_3 Depth=1
                                        ;     Parent Loop BB228_48 Depth=2
                                        ; =>    This Inner Loop Header: Depth=3
	v_mov_b32_e32 v13, s26
	s_add_co_i32 s36, s36, -1
	s_addk_co_i32 s26, 0xfe80
	s_cmp_le_i32 s36, s25
	ds_load_b128 v[24:27], v12
	ds_load_b128 v[42:45], v13 offset:48
	ds_load_b128 v[46:49], v13 offset:32
	;; [unrolled: 1-line block ×3, first 2 shown]
	ds_load_b128 v[54:57], v13
	v_add_nc_u32_e32 v12, 0xfffffe80, v12
	s_wait_dscnt 0x3
	v_mul_f64_e32 v[14:15], v[26:27], v[44:45]
	v_mul_f64_e32 v[44:45], v[24:25], v[44:45]
	s_wait_dscnt 0x2
	v_mul_f64_e32 v[58:59], v[26:27], v[48:49]
	v_mul_f64_e32 v[48:49], v[24:25], v[48:49]
	;; [unrolled: 3-line block ×4, first 2 shown]
	v_fma_f64 v[14:15], v[24:25], v[42:43], -v[14:15]
	v_fmac_f64_e32 v[44:45], v[26:27], v[42:43]
	v_fma_f64 v[42:43], v[24:25], v[46:47], -v[58:59]
	v_fmac_f64_e32 v[48:49], v[26:27], v[46:47]
	;; [unrolled: 2-line block ×4, first 2 shown]
	v_add_f64_e64 v[20:21], v[20:21], -v[14:15]
	v_add_f64_e64 v[22:23], v[22:23], -v[44:45]
	v_add_f64_e64 v[16:17], v[16:17], -v[42:43]
	v_add_f64_e64 v[18:19], v[18:19], -v[48:49]
	v_add_f64_e64 v[8:9], v[8:9], -v[46:47]
	v_add_f64_e64 v[10:11], v[10:11], -v[52:53]
	v_add_f64_e64 v[4:5], v[4:5], -v[24:25]
	v_add_f64_e64 v[6:7], v[6:7], -v[56:57]
	s_cbranch_scc0 .LBB228_49
.LBB228_50:                             ;   in Loop: Header=BB228_48 Depth=2
	s_add_co_i32 s26, s25, -3
; %bb.51:                               ;   in Loop: Header=BB228_48 Depth=2
	s_lshl_b32 s36, s25, 4
	s_delay_alu instid0(SALU_CYCLE_1) | instskip(NEXT) | instid1(SALU_CYCLE_1)
	s_add_co_i32 s27, s36, s27
	v_mov_b32_e32 v12, s27
	ds_load_b128 v[24:27], v12
                                        ; implicit-def: $vgpr14_vgpr15
	s_wait_dscnt 0x0
	v_cmp_ngt_f64_e64 s36, |v[24:25]|, |v[26:27]|
	s_and_b32 vcc_lo, exec_lo, s36
	s_mov_b32 s36, -1
	s_cbranch_vccz .LBB228_53
; %bb.52:                               ;   in Loop: Header=BB228_48 Depth=2
	v_div_scale_f64 v[12:13], null, v[26:27], v[26:27], v[24:25]
	v_div_scale_f64 v[44:45], vcc_lo, v[24:25], v[26:27], v[24:25]
	s_mov_b32 s36, 0
	v_rcp_f64_e32 v[14:15], v[12:13]
	v_nop
	s_delay_alu instid0(TRANS32_DEP_1) | instskip(NEXT) | instid1(VALU_DEP_1)
	v_fma_f64 v[42:43], -v[12:13], v[14:15], 1.0
	v_fmac_f64_e32 v[14:15], v[14:15], v[42:43]
	s_delay_alu instid0(VALU_DEP_1) | instskip(NEXT) | instid1(VALU_DEP_1)
	v_fma_f64 v[42:43], -v[12:13], v[14:15], 1.0
	v_fmac_f64_e32 v[14:15], v[14:15], v[42:43]
	s_delay_alu instid0(VALU_DEP_1) | instskip(NEXT) | instid1(VALU_DEP_1)
	v_mul_f64_e32 v[42:43], v[44:45], v[14:15]
	v_fma_f64 v[12:13], -v[12:13], v[42:43], v[44:45]
	s_delay_alu instid0(VALU_DEP_1) | instskip(NEXT) | instid1(VALU_DEP_1)
	v_div_fmas_f64 v[12:13], v[12:13], v[14:15], v[42:43]
	v_div_fixup_f64 v[12:13], v[12:13], v[26:27], v[24:25]
	s_delay_alu instid0(VALU_DEP_1) | instskip(NEXT) | instid1(VALU_DEP_1)
	v_fma_f64 v[14:15], v[24:25], v[12:13], v[26:27]
	v_div_scale_f64 v[42:43], null, v[14:15], v[14:15], 1.0
	v_div_scale_f64 v[48:49], vcc_lo, 1.0, v[14:15], 1.0
	s_delay_alu instid0(VALU_DEP_2) | instskip(SKIP_1) | instid1(TRANS32_DEP_1)
	v_rcp_f64_e32 v[44:45], v[42:43]
	v_nop
	v_fma_f64 v[46:47], -v[42:43], v[44:45], 1.0
	s_delay_alu instid0(VALU_DEP_1) | instskip(NEXT) | instid1(VALU_DEP_1)
	v_fmac_f64_e32 v[44:45], v[44:45], v[46:47]
	v_fma_f64 v[46:47], -v[42:43], v[44:45], 1.0
	s_delay_alu instid0(VALU_DEP_1) | instskip(NEXT) | instid1(VALU_DEP_1)
	v_fmac_f64_e32 v[44:45], v[44:45], v[46:47]
	v_mul_f64_e32 v[46:47], v[48:49], v[44:45]
	s_delay_alu instid0(VALU_DEP_1) | instskip(NEXT) | instid1(VALU_DEP_1)
	v_fma_f64 v[42:43], -v[42:43], v[46:47], v[48:49]
	v_div_fmas_f64 v[42:43], v[42:43], v[44:45], v[46:47]
	v_fma_f64 v[44:45], v[20:21], v[12:13], v[22:23]
	s_delay_alu instid0(VALU_DEP_2) | instskip(SKIP_1) | instid1(VALU_DEP_2)
	v_div_fixup_f64 v[14:15], v[42:43], v[14:15], 1.0
	v_fma_f64 v[42:43], v[22:23], v[12:13], -v[20:21]
	v_mul_f64_e32 v[12:13], v[44:45], v[14:15]
	s_delay_alu instid0(VALU_DEP_2)
	v_mul_f64_e32 v[14:15], v[42:43], v[14:15]
.LBB228_53:                             ;   in Loop: Header=BB228_48 Depth=2
	s_and_not1_b32 vcc_lo, exec_lo, s36
	s_cbranch_vccnz .LBB228_55
; %bb.54:                               ;   in Loop: Header=BB228_48 Depth=2
	v_div_scale_f64 v[12:13], null, v[24:25], v[24:25], v[26:27]
	v_div_scale_f64 v[44:45], vcc_lo, v[26:27], v[24:25], v[26:27]
	s_delay_alu instid0(VALU_DEP_2) | instskip(SKIP_1) | instid1(TRANS32_DEP_1)
	v_rcp_f64_e32 v[14:15], v[12:13]
	v_nop
	v_fma_f64 v[42:43], -v[12:13], v[14:15], 1.0
	s_delay_alu instid0(VALU_DEP_1) | instskip(NEXT) | instid1(VALU_DEP_1)
	v_fmac_f64_e32 v[14:15], v[14:15], v[42:43]
	v_fma_f64 v[42:43], -v[12:13], v[14:15], 1.0
	s_delay_alu instid0(VALU_DEP_1) | instskip(NEXT) | instid1(VALU_DEP_1)
	v_fmac_f64_e32 v[14:15], v[14:15], v[42:43]
	v_mul_f64_e32 v[42:43], v[44:45], v[14:15]
	s_delay_alu instid0(VALU_DEP_1) | instskip(NEXT) | instid1(VALU_DEP_1)
	v_fma_f64 v[12:13], -v[12:13], v[42:43], v[44:45]
	v_div_fmas_f64 v[12:13], v[12:13], v[14:15], v[42:43]
	s_delay_alu instid0(VALU_DEP_1) | instskip(NEXT) | instid1(VALU_DEP_1)
	v_div_fixup_f64 v[12:13], v[12:13], v[24:25], v[26:27]
	v_fmac_f64_e32 v[24:25], v[26:27], v[12:13]
	s_delay_alu instid0(VALU_DEP_1) | instskip(SKIP_1) | instid1(VALU_DEP_2)
	v_div_scale_f64 v[14:15], null, v[24:25], v[24:25], 1.0
	v_div_scale_f64 v[44:45], vcc_lo, 1.0, v[24:25], 1.0
	v_rcp_f64_e32 v[26:27], v[14:15]
	v_nop
	s_delay_alu instid0(TRANS32_DEP_1) | instskip(NEXT) | instid1(VALU_DEP_1)
	v_fma_f64 v[42:43], -v[14:15], v[26:27], 1.0
	v_fmac_f64_e32 v[26:27], v[26:27], v[42:43]
	s_delay_alu instid0(VALU_DEP_1) | instskip(NEXT) | instid1(VALU_DEP_1)
	v_fma_f64 v[42:43], -v[14:15], v[26:27], 1.0
	v_fmac_f64_e32 v[26:27], v[26:27], v[42:43]
	s_delay_alu instid0(VALU_DEP_1) | instskip(NEXT) | instid1(VALU_DEP_1)
	v_mul_f64_e32 v[42:43], v[44:45], v[26:27]
	v_fma_f64 v[14:15], -v[14:15], v[42:43], v[44:45]
	s_delay_alu instid0(VALU_DEP_1) | instskip(SKIP_2) | instid1(VALU_DEP_3)
	v_div_fmas_f64 v[14:15], v[14:15], v[26:27], v[42:43]
	v_fma_f64 v[26:27], v[22:23], v[12:13], v[20:21]
	v_fma_f64 v[20:21], -v[20:21], v[12:13], v[22:23]
	v_div_fixup_f64 v[14:15], v[14:15], v[24:25], 1.0
	s_delay_alu instid0(VALU_DEP_1) | instskip(NEXT) | instid1(VALU_DEP_3)
	v_mul_f64_e32 v[12:13], v[26:27], v[14:15]
	v_mul_f64_e32 v[14:15], v[20:21], v[14:15]
.LBB228_55:                             ;   in Loop: Header=BB228_48 Depth=2
	s_add_co_i32 s36, s27, -16
	s_add_co_i32 s37, s27, 0xfffffe70
	v_mov_b32_e32 v20, s36
	ds_store_b128 v40, v[12:15]
	ds_load_b128 v[24:27], v20
	s_wait_dscnt 0x0
	v_dual_mul_f64 v[42:43], v[14:15], v[26:27] :: v_dual_mov_b32 v20, s37
	v_mul_f64_e32 v[26:27], v[12:13], v[26:27]
	ds_load_b128 v[20:23], v20
	s_wait_dscnt 0x0
	v_cmp_ngt_f64_e64 s36, |v[20:21]|, |v[22:23]|
	v_fma_f64 v[42:43], v[12:13], v[24:25], -v[42:43]
	v_fmac_f64_e32 v[26:27], v[14:15], v[24:25]
	s_and_b32 vcc_lo, exec_lo, s36
	s_mov_b32 s36, -1
	s_delay_alu instid0(VALU_DEP_2) | instskip(NEXT) | instid1(VALU_DEP_2)
	v_add_f64_e64 v[24:25], v[16:17], -v[42:43]
	v_add_f64_e64 v[26:27], v[18:19], -v[26:27]
                                        ; implicit-def: $vgpr18_vgpr19
	s_cbranch_vccz .LBB228_57
; %bb.56:                               ;   in Loop: Header=BB228_48 Depth=2
	v_div_scale_f64 v[16:17], null, v[22:23], v[22:23], v[20:21]
	v_div_scale_f64 v[42:43], vcc_lo, v[20:21], v[22:23], v[20:21]
	s_mov_b32 s36, 0
	v_rcp_f64_e32 v[18:19], v[16:17]
	v_nop
	s_delay_alu instid0(TRANS32_DEP_1) | instskip(NEXT) | instid1(VALU_DEP_1)
	v_fma_f64 v[40:41], -v[16:17], v[18:19], 1.0
	v_fmac_f64_e32 v[18:19], v[18:19], v[40:41]
	s_delay_alu instid0(VALU_DEP_1) | instskip(NEXT) | instid1(VALU_DEP_1)
	v_fma_f64 v[40:41], -v[16:17], v[18:19], 1.0
	v_fmac_f64_e32 v[18:19], v[18:19], v[40:41]
	s_delay_alu instid0(VALU_DEP_1) | instskip(NEXT) | instid1(VALU_DEP_1)
	v_mul_f64_e32 v[40:41], v[42:43], v[18:19]
	v_fma_f64 v[16:17], -v[16:17], v[40:41], v[42:43]
	s_delay_alu instid0(VALU_DEP_1) | instskip(NEXT) | instid1(VALU_DEP_1)
	v_div_fmas_f64 v[16:17], v[16:17], v[18:19], v[40:41]
	v_div_fixup_f64 v[16:17], v[16:17], v[22:23], v[20:21]
	s_delay_alu instid0(VALU_DEP_1) | instskip(NEXT) | instid1(VALU_DEP_1)
	v_fma_f64 v[18:19], v[20:21], v[16:17], v[22:23]
	v_div_scale_f64 v[40:41], null, v[18:19], v[18:19], 1.0
	v_div_scale_f64 v[46:47], vcc_lo, 1.0, v[18:19], 1.0
	s_delay_alu instid0(VALU_DEP_2) | instskip(SKIP_1) | instid1(TRANS32_DEP_1)
	v_rcp_f64_e32 v[42:43], v[40:41]
	v_nop
	v_fma_f64 v[44:45], -v[40:41], v[42:43], 1.0
	s_delay_alu instid0(VALU_DEP_1) | instskip(NEXT) | instid1(VALU_DEP_1)
	v_fmac_f64_e32 v[42:43], v[42:43], v[44:45]
	v_fma_f64 v[44:45], -v[40:41], v[42:43], 1.0
	s_delay_alu instid0(VALU_DEP_1) | instskip(NEXT) | instid1(VALU_DEP_1)
	v_fmac_f64_e32 v[42:43], v[42:43], v[44:45]
	v_mul_f64_e32 v[44:45], v[46:47], v[42:43]
	s_delay_alu instid0(VALU_DEP_1) | instskip(NEXT) | instid1(VALU_DEP_1)
	v_fma_f64 v[40:41], -v[40:41], v[44:45], v[46:47]
	v_div_fmas_f64 v[40:41], v[40:41], v[42:43], v[44:45]
	v_fma_f64 v[42:43], v[16:17], v[24:25], v[26:27]
	s_delay_alu instid0(VALU_DEP_2) | instskip(SKIP_1) | instid1(VALU_DEP_2)
	v_div_fixup_f64 v[18:19], v[40:41], v[18:19], 1.0
	v_fma_f64 v[40:41], v[16:17], v[26:27], -v[24:25]
	v_mul_f64_e32 v[16:17], v[42:43], v[18:19]
	s_delay_alu instid0(VALU_DEP_2)
	v_mul_f64_e32 v[18:19], v[40:41], v[18:19]
.LBB228_57:                             ;   in Loop: Header=BB228_48 Depth=2
	s_and_not1_b32 vcc_lo, exec_lo, s36
	s_cbranch_vccnz .LBB228_59
; %bb.58:                               ;   in Loop: Header=BB228_48 Depth=2
	v_div_scale_f64 v[16:17], null, v[20:21], v[20:21], v[22:23]
	v_div_scale_f64 v[42:43], vcc_lo, v[22:23], v[20:21], v[22:23]
	s_delay_alu instid0(VALU_DEP_2) | instskip(SKIP_1) | instid1(TRANS32_DEP_1)
	v_rcp_f64_e32 v[18:19], v[16:17]
	v_nop
	v_fma_f64 v[40:41], -v[16:17], v[18:19], 1.0
	s_delay_alu instid0(VALU_DEP_1) | instskip(NEXT) | instid1(VALU_DEP_1)
	v_fmac_f64_e32 v[18:19], v[18:19], v[40:41]
	v_fma_f64 v[40:41], -v[16:17], v[18:19], 1.0
	s_delay_alu instid0(VALU_DEP_1) | instskip(NEXT) | instid1(VALU_DEP_1)
	v_fmac_f64_e32 v[18:19], v[18:19], v[40:41]
	v_mul_f64_e32 v[40:41], v[42:43], v[18:19]
	s_delay_alu instid0(VALU_DEP_1) | instskip(NEXT) | instid1(VALU_DEP_1)
	v_fma_f64 v[16:17], -v[16:17], v[40:41], v[42:43]
	v_div_fmas_f64 v[16:17], v[16:17], v[18:19], v[40:41]
	s_delay_alu instid0(VALU_DEP_1) | instskip(NEXT) | instid1(VALU_DEP_1)
	v_div_fixup_f64 v[16:17], v[16:17], v[20:21], v[22:23]
	v_fmac_f64_e32 v[20:21], v[22:23], v[16:17]
	s_delay_alu instid0(VALU_DEP_1) | instskip(SKIP_1) | instid1(VALU_DEP_2)
	v_div_scale_f64 v[18:19], null, v[20:21], v[20:21], 1.0
	v_div_scale_f64 v[42:43], vcc_lo, 1.0, v[20:21], 1.0
	v_rcp_f64_e32 v[22:23], v[18:19]
	v_nop
	s_delay_alu instid0(TRANS32_DEP_1) | instskip(NEXT) | instid1(VALU_DEP_1)
	v_fma_f64 v[40:41], -v[18:19], v[22:23], 1.0
	v_fmac_f64_e32 v[22:23], v[22:23], v[40:41]
	s_delay_alu instid0(VALU_DEP_1) | instskip(NEXT) | instid1(VALU_DEP_1)
	v_fma_f64 v[40:41], -v[18:19], v[22:23], 1.0
	v_fmac_f64_e32 v[22:23], v[22:23], v[40:41]
	s_delay_alu instid0(VALU_DEP_1) | instskip(NEXT) | instid1(VALU_DEP_1)
	v_mul_f64_e32 v[40:41], v[42:43], v[22:23]
	v_fma_f64 v[18:19], -v[18:19], v[40:41], v[42:43]
	s_delay_alu instid0(VALU_DEP_1) | instskip(SKIP_1) | instid1(VALU_DEP_2)
	v_div_fmas_f64 v[18:19], v[18:19], v[22:23], v[40:41]
	v_fma_f64 v[22:23], v[16:17], v[26:27], v[24:25]
	v_div_fixup_f64 v[18:19], v[18:19], v[20:21], 1.0
	v_fma_f64 v[20:21], -v[16:17], v[24:25], v[26:27]
	s_delay_alu instid0(VALU_DEP_2) | instskip(NEXT) | instid1(VALU_DEP_2)
	v_mul_f64_e32 v[16:17], v[22:23], v[18:19]
	v_mul_f64_e32 v[18:19], v[20:21], v[18:19]
.LBB228_59:                             ;   in Loop: Header=BB228_48 Depth=2
	s_sub_co_i32 s36, s27, 32
	s_add_co_i32 s38, s25, -2
	v_mov_b32_e32 v20, s36
	s_add_co_i32 s36, s25, -1
	ds_store_b128 v39, v[16:19]
	s_lshl_b32 s39, s36, 4
	s_lshl_b32 s36, s38, 4
	s_sub_co_i32 s38, s37, s39
	s_delay_alu instid0(SALU_CYCLE_1) | instskip(NEXT) | instid1(SALU_CYCLE_1)
	s_add_co_i32 s37, s38, s36
	v_mov_b32_e32 v24, s37
	ds_load_b128 v[20:23], v20
	s_add_co_i32 s37, s27, 0xfffffce0
	ds_load_b128 v[24:27], v24
	s_wait_dscnt 0x1
	v_mul_f64_e32 v[40:41], v[14:15], v[22:23]
	v_mul_f64_e32 v[22:23], v[12:13], v[22:23]
	s_wait_dscnt 0x0
	v_mul_f64_e32 v[42:43], v[18:19], v[26:27]
	v_mul_f64_e32 v[26:27], v[16:17], v[26:27]
	s_delay_alu instid0(VALU_DEP_4) | instskip(NEXT) | instid1(VALU_DEP_4)
	v_fma_f64 v[40:41], v[12:13], v[20:21], -v[40:41]
	v_fmac_f64_e32 v[22:23], v[14:15], v[20:21]
	s_delay_alu instid0(VALU_DEP_4) | instskip(NEXT) | instid1(VALU_DEP_4)
	v_fma_f64 v[20:21], v[16:17], v[24:25], -v[42:43]
	v_fmac_f64_e32 v[26:27], v[18:19], v[24:25]
	s_delay_alu instid0(VALU_DEP_4) | instskip(NEXT) | instid1(VALU_DEP_4)
	v_add_f64_e64 v[24:25], v[8:9], -v[40:41]
	v_dual_add_f64 v[22:23], v[10:11], -v[22:23] :: v_dual_mov_b32 v8, s37
	ds_load_b128 v[8:11], v8
	s_wait_dscnt 0x0
	v_cmp_ngt_f64_e64 s39, |v[8:9]|, |v[10:11]|
	v_add_f64_e64 v[24:25], v[24:25], -v[20:21]
	v_add_f64_e64 v[26:27], v[22:23], -v[26:27]
                                        ; implicit-def: $vgpr22_vgpr23
	s_and_b32 vcc_lo, exec_lo, s39
	s_mov_b32 s39, -1
	s_cbranch_vccz .LBB228_61
; %bb.60:                               ;   in Loop: Header=BB228_48 Depth=2
	v_div_scale_f64 v[20:21], null, v[10:11], v[10:11], v[8:9]
	v_div_scale_f64 v[42:43], vcc_lo, v[8:9], v[10:11], v[8:9]
	s_mov_b32 s39, 0
	v_rcp_f64_e32 v[22:23], v[20:21]
	v_nop
	s_delay_alu instid0(TRANS32_DEP_1) | instskip(NEXT) | instid1(VALU_DEP_1)
	v_fma_f64 v[40:41], -v[20:21], v[22:23], 1.0
	v_fmac_f64_e32 v[22:23], v[22:23], v[40:41]
	s_delay_alu instid0(VALU_DEP_1) | instskip(NEXT) | instid1(VALU_DEP_1)
	v_fma_f64 v[40:41], -v[20:21], v[22:23], 1.0
	v_fmac_f64_e32 v[22:23], v[22:23], v[40:41]
	s_delay_alu instid0(VALU_DEP_1) | instskip(NEXT) | instid1(VALU_DEP_1)
	v_mul_f64_e32 v[40:41], v[42:43], v[22:23]
	v_fma_f64 v[20:21], -v[20:21], v[40:41], v[42:43]
	s_delay_alu instid0(VALU_DEP_1) | instskip(NEXT) | instid1(VALU_DEP_1)
	v_div_fmas_f64 v[20:21], v[20:21], v[22:23], v[40:41]
	v_div_fixup_f64 v[20:21], v[20:21], v[10:11], v[8:9]
	s_delay_alu instid0(VALU_DEP_1) | instskip(NEXT) | instid1(VALU_DEP_1)
	v_fma_f64 v[22:23], v[8:9], v[20:21], v[10:11]
	v_div_scale_f64 v[40:41], null, v[22:23], v[22:23], 1.0
	v_div_scale_f64 v[46:47], vcc_lo, 1.0, v[22:23], 1.0
	s_delay_alu instid0(VALU_DEP_2) | instskip(SKIP_1) | instid1(TRANS32_DEP_1)
	v_rcp_f64_e32 v[42:43], v[40:41]
	v_nop
	v_fma_f64 v[44:45], -v[40:41], v[42:43], 1.0
	s_delay_alu instid0(VALU_DEP_1) | instskip(NEXT) | instid1(VALU_DEP_1)
	v_fmac_f64_e32 v[42:43], v[42:43], v[44:45]
	v_fma_f64 v[44:45], -v[40:41], v[42:43], 1.0
	s_delay_alu instid0(VALU_DEP_1) | instskip(NEXT) | instid1(VALU_DEP_1)
	v_fmac_f64_e32 v[42:43], v[42:43], v[44:45]
	v_mul_f64_e32 v[44:45], v[46:47], v[42:43]
	s_delay_alu instid0(VALU_DEP_1) | instskip(NEXT) | instid1(VALU_DEP_1)
	v_fma_f64 v[40:41], -v[40:41], v[44:45], v[46:47]
	v_div_fmas_f64 v[40:41], v[40:41], v[42:43], v[44:45]
	v_fma_f64 v[42:43], v[20:21], v[24:25], v[26:27]
	s_delay_alu instid0(VALU_DEP_2) | instskip(SKIP_1) | instid1(VALU_DEP_2)
	v_div_fixup_f64 v[22:23], v[40:41], v[22:23], 1.0
	v_fma_f64 v[40:41], v[20:21], v[26:27], -v[24:25]
	v_mul_f64_e32 v[20:21], v[42:43], v[22:23]
	s_delay_alu instid0(VALU_DEP_2)
	v_mul_f64_e32 v[22:23], v[40:41], v[22:23]
.LBB228_61:                             ;   in Loop: Header=BB228_48 Depth=2
	s_and_not1_b32 vcc_lo, exec_lo, s39
	s_cbranch_vccnz .LBB228_63
; %bb.62:                               ;   in Loop: Header=BB228_48 Depth=2
	v_div_scale_f64 v[20:21], null, v[8:9], v[8:9], v[10:11]
	v_div_scale_f64 v[42:43], vcc_lo, v[10:11], v[8:9], v[10:11]
	s_delay_alu instid0(VALU_DEP_2) | instskip(SKIP_1) | instid1(TRANS32_DEP_1)
	v_rcp_f64_e32 v[22:23], v[20:21]
	v_nop
	v_fma_f64 v[40:41], -v[20:21], v[22:23], 1.0
	s_delay_alu instid0(VALU_DEP_1) | instskip(NEXT) | instid1(VALU_DEP_1)
	v_fmac_f64_e32 v[22:23], v[22:23], v[40:41]
	v_fma_f64 v[40:41], -v[20:21], v[22:23], 1.0
	s_delay_alu instid0(VALU_DEP_1) | instskip(NEXT) | instid1(VALU_DEP_1)
	v_fmac_f64_e32 v[22:23], v[22:23], v[40:41]
	v_mul_f64_e32 v[40:41], v[42:43], v[22:23]
	s_delay_alu instid0(VALU_DEP_1) | instskip(NEXT) | instid1(VALU_DEP_1)
	v_fma_f64 v[20:21], -v[20:21], v[40:41], v[42:43]
	v_div_fmas_f64 v[20:21], v[20:21], v[22:23], v[40:41]
	s_delay_alu instid0(VALU_DEP_1) | instskip(NEXT) | instid1(VALU_DEP_1)
	v_div_fixup_f64 v[20:21], v[20:21], v[8:9], v[10:11]
	v_fmac_f64_e32 v[8:9], v[10:11], v[20:21]
	s_delay_alu instid0(VALU_DEP_1) | instskip(SKIP_1) | instid1(VALU_DEP_2)
	v_div_scale_f64 v[10:11], null, v[8:9], v[8:9], 1.0
	v_div_scale_f64 v[42:43], vcc_lo, 1.0, v[8:9], 1.0
	v_rcp_f64_e32 v[22:23], v[10:11]
	v_nop
	s_delay_alu instid0(TRANS32_DEP_1) | instskip(NEXT) | instid1(VALU_DEP_1)
	v_fma_f64 v[40:41], -v[10:11], v[22:23], 1.0
	v_fmac_f64_e32 v[22:23], v[22:23], v[40:41]
	s_delay_alu instid0(VALU_DEP_1) | instskip(NEXT) | instid1(VALU_DEP_1)
	v_fma_f64 v[40:41], -v[10:11], v[22:23], 1.0
	v_fmac_f64_e32 v[22:23], v[22:23], v[40:41]
	s_delay_alu instid0(VALU_DEP_1) | instskip(NEXT) | instid1(VALU_DEP_1)
	v_mul_f64_e32 v[40:41], v[42:43], v[22:23]
	v_fma_f64 v[10:11], -v[10:11], v[40:41], v[42:43]
	s_delay_alu instid0(VALU_DEP_1) | instskip(SKIP_1) | instid1(VALU_DEP_2)
	v_div_fmas_f64 v[10:11], v[10:11], v[22:23], v[40:41]
	v_fma_f64 v[22:23], v[20:21], v[26:27], v[24:25]
	v_div_fixup_f64 v[8:9], v[10:11], v[8:9], 1.0
	v_fma_f64 v[10:11], -v[20:21], v[24:25], v[26:27]
	s_delay_alu instid0(VALU_DEP_2) | instskip(NEXT) | instid1(VALU_DEP_2)
	v_mul_f64_e32 v[20:21], v[22:23], v[8:9]
	v_mul_f64_e32 v[22:23], v[10:11], v[8:9]
.LBB228_63:                             ;   in Loop: Header=BB228_48 Depth=2
	s_sub_co_i32 s27, s27, 48
	s_lshl_b32 s26, s26, 4
	v_mov_b32_e32 v8, s27
	s_add_co_i32 s27, s38, s26
	ds_store_b128 v38, v[20:23]
	v_mov_b32_e32 v24, s27
	s_sub_co_i32 s27, s37, s36
	ds_load_b128 v[8:11], v8
	s_add_co_i32 s26, s27, s26
	ds_load_b128 v[24:27], v24
	s_wait_dscnt 0x1
	v_mul_f64_e32 v[40:41], v[14:15], v[10:11]
	v_mul_f64_e32 v[42:43], v[12:13], v[10:11]
	s_wait_dscnt 0x0
	v_mul_f64_e32 v[44:45], v[18:19], v[26:27]
	v_mul_f64_e32 v[26:27], v[16:17], v[26:27]
	s_delay_alu instid0(VALU_DEP_4) | instskip(NEXT) | instid1(VALU_DEP_4)
	v_fma_f64 v[40:41], v[12:13], v[8:9], -v[40:41]
	v_fmac_f64_e32 v[42:43], v[14:15], v[8:9]
	s_delay_alu instid0(VALU_DEP_4) | instskip(NEXT) | instid1(VALU_DEP_4)
	v_dual_fma_f64 v[16:17], v[16:17], v[24:25], -v[44:45] :: v_dual_mov_b32 v8, s26
	v_fmac_f64_e32 v[26:27], v[18:19], v[24:25]
	s_add_co_i32 s26, s37, 0xfffffe70
	ds_load_b128 v[12:15], v8
	v_mov_b32_e32 v8, s26
	ds_load_b128 v[8:11], v8
	s_wait_dscnt 0x1
	v_mul_f64_e32 v[46:47], v[22:23], v[14:15]
	v_mul_f64_e32 v[14:15], v[20:21], v[14:15]
	v_add_f64_e64 v[4:5], v[4:5], -v[40:41]
	v_add_f64_e64 v[6:7], v[6:7], -v[42:43]
	s_wait_dscnt 0x0
	v_cmp_ngt_f64_e64 s26, |v[8:9]|, |v[10:11]|
	v_fma_f64 v[18:19], v[20:21], v[12:13], -v[46:47]
	v_fmac_f64_e32 v[14:15], v[22:23], v[12:13]
	v_add_f64_e64 v[4:5], v[4:5], -v[16:17]
	v_add_f64_e64 v[6:7], v[6:7], -v[26:27]
	s_and_b32 vcc_lo, exec_lo, s26
	s_mov_b32 s26, -1
	s_delay_alu instid0(VALU_DEP_2) | instskip(NEXT) | instid1(VALU_DEP_2)
	v_add_f64_e64 v[12:13], v[4:5], -v[18:19]
	v_add_f64_e64 v[14:15], v[6:7], -v[14:15]
                                        ; implicit-def: $vgpr6_vgpr7
	s_cbranch_vccz .LBB228_65
; %bb.64:                               ;   in Loop: Header=BB228_48 Depth=2
	v_div_scale_f64 v[4:5], null, v[10:11], v[10:11], v[8:9]
	v_div_scale_f64 v[18:19], vcc_lo, v[8:9], v[10:11], v[8:9]
	s_mov_b32 s26, 0
	v_rcp_f64_e32 v[6:7], v[4:5]
	v_nop
	s_delay_alu instid0(TRANS32_DEP_1) | instskip(NEXT) | instid1(VALU_DEP_1)
	v_fma_f64 v[16:17], -v[4:5], v[6:7], 1.0
	v_fmac_f64_e32 v[6:7], v[6:7], v[16:17]
	s_delay_alu instid0(VALU_DEP_1) | instskip(NEXT) | instid1(VALU_DEP_1)
	v_fma_f64 v[16:17], -v[4:5], v[6:7], 1.0
	v_fmac_f64_e32 v[6:7], v[6:7], v[16:17]
	s_delay_alu instid0(VALU_DEP_1) | instskip(NEXT) | instid1(VALU_DEP_1)
	v_mul_f64_e32 v[16:17], v[18:19], v[6:7]
	v_fma_f64 v[4:5], -v[4:5], v[16:17], v[18:19]
	s_delay_alu instid0(VALU_DEP_1) | instskip(NEXT) | instid1(VALU_DEP_1)
	v_div_fmas_f64 v[4:5], v[4:5], v[6:7], v[16:17]
	v_div_fixup_f64 v[4:5], v[4:5], v[10:11], v[8:9]
	s_delay_alu instid0(VALU_DEP_1) | instskip(NEXT) | instid1(VALU_DEP_1)
	v_fma_f64 v[6:7], v[8:9], v[4:5], v[10:11]
	v_div_scale_f64 v[16:17], null, v[6:7], v[6:7], 1.0
	v_div_scale_f64 v[22:23], vcc_lo, 1.0, v[6:7], 1.0
	s_delay_alu instid0(VALU_DEP_2) | instskip(SKIP_1) | instid1(TRANS32_DEP_1)
	v_rcp_f64_e32 v[18:19], v[16:17]
	v_nop
	v_fma_f64 v[20:21], -v[16:17], v[18:19], 1.0
	s_delay_alu instid0(VALU_DEP_1) | instskip(NEXT) | instid1(VALU_DEP_1)
	v_fmac_f64_e32 v[18:19], v[18:19], v[20:21]
	v_fma_f64 v[20:21], -v[16:17], v[18:19], 1.0
	s_delay_alu instid0(VALU_DEP_1) | instskip(NEXT) | instid1(VALU_DEP_1)
	v_fmac_f64_e32 v[18:19], v[18:19], v[20:21]
	v_mul_f64_e32 v[20:21], v[22:23], v[18:19]
	s_delay_alu instid0(VALU_DEP_1) | instskip(NEXT) | instid1(VALU_DEP_1)
	v_fma_f64 v[16:17], -v[16:17], v[20:21], v[22:23]
	v_div_fmas_f64 v[16:17], v[16:17], v[18:19], v[20:21]
	v_fma_f64 v[18:19], v[4:5], v[12:13], v[14:15]
	s_delay_alu instid0(VALU_DEP_2) | instskip(SKIP_1) | instid1(VALU_DEP_2)
	v_div_fixup_f64 v[6:7], v[16:17], v[6:7], 1.0
	v_fma_f64 v[16:17], v[4:5], v[14:15], -v[12:13]
	v_mul_f64_e32 v[4:5], v[18:19], v[6:7]
	s_delay_alu instid0(VALU_DEP_2)
	v_mul_f64_e32 v[6:7], v[16:17], v[6:7]
.LBB228_65:                             ;   in Loop: Header=BB228_48 Depth=2
	s_and_not1_b32 vcc_lo, exec_lo, s26
	s_cbranch_vccnz .LBB228_67
; %bb.66:                               ;   in Loop: Header=BB228_48 Depth=2
	v_div_scale_f64 v[4:5], null, v[8:9], v[8:9], v[10:11]
	v_div_scale_f64 v[18:19], vcc_lo, v[10:11], v[8:9], v[10:11]
	s_delay_alu instid0(VALU_DEP_2) | instskip(SKIP_1) | instid1(TRANS32_DEP_1)
	v_rcp_f64_e32 v[6:7], v[4:5]
	v_nop
	v_fma_f64 v[16:17], -v[4:5], v[6:7], 1.0
	s_delay_alu instid0(VALU_DEP_1) | instskip(NEXT) | instid1(VALU_DEP_1)
	v_fmac_f64_e32 v[6:7], v[6:7], v[16:17]
	v_fma_f64 v[16:17], -v[4:5], v[6:7], 1.0
	s_delay_alu instid0(VALU_DEP_1) | instskip(NEXT) | instid1(VALU_DEP_1)
	v_fmac_f64_e32 v[6:7], v[6:7], v[16:17]
	v_mul_f64_e32 v[16:17], v[18:19], v[6:7]
	s_delay_alu instid0(VALU_DEP_1) | instskip(NEXT) | instid1(VALU_DEP_1)
	v_fma_f64 v[4:5], -v[4:5], v[16:17], v[18:19]
	v_div_fmas_f64 v[4:5], v[4:5], v[6:7], v[16:17]
	s_delay_alu instid0(VALU_DEP_1) | instskip(NEXT) | instid1(VALU_DEP_1)
	v_div_fixup_f64 v[4:5], v[4:5], v[8:9], v[10:11]
	v_fmac_f64_e32 v[8:9], v[10:11], v[4:5]
	s_delay_alu instid0(VALU_DEP_1) | instskip(SKIP_1) | instid1(VALU_DEP_2)
	v_div_scale_f64 v[6:7], null, v[8:9], v[8:9], 1.0
	v_div_scale_f64 v[18:19], vcc_lo, 1.0, v[8:9], 1.0
	v_rcp_f64_e32 v[10:11], v[6:7]
	v_nop
	s_delay_alu instid0(TRANS32_DEP_1) | instskip(NEXT) | instid1(VALU_DEP_1)
	v_fma_f64 v[16:17], -v[6:7], v[10:11], 1.0
	v_fmac_f64_e32 v[10:11], v[10:11], v[16:17]
	s_delay_alu instid0(VALU_DEP_1) | instskip(NEXT) | instid1(VALU_DEP_1)
	v_fma_f64 v[16:17], -v[6:7], v[10:11], 1.0
	v_fmac_f64_e32 v[10:11], v[10:11], v[16:17]
	s_delay_alu instid0(VALU_DEP_1) | instskip(NEXT) | instid1(VALU_DEP_1)
	v_mul_f64_e32 v[16:17], v[18:19], v[10:11]
	v_fma_f64 v[6:7], -v[6:7], v[16:17], v[18:19]
	s_delay_alu instid0(VALU_DEP_1) | instskip(SKIP_1) | instid1(VALU_DEP_2)
	v_div_fmas_f64 v[6:7], v[6:7], v[10:11], v[16:17]
	v_fma_f64 v[10:11], v[4:5], v[14:15], v[12:13]
	v_div_fixup_f64 v[6:7], v[6:7], v[8:9], 1.0
	v_fma_f64 v[8:9], -v[4:5], v[12:13], v[14:15]
	s_delay_alu instid0(VALU_DEP_2) | instskip(NEXT) | instid1(VALU_DEP_2)
	v_mul_f64_e32 v[4:5], v[10:11], v[6:7]
	v_mul_f64_e32 v[6:7], v[8:9], v[6:7]
.LBB228_67:                             ;   in Loop: Header=BB228_48 Depth=2
	s_add_co_i32 s26, s25, -4
	s_sub_co_i32 s24, s24, 64
	s_cmp_lt_i32 s25, 7
	ds_store_b128 v37, v[4:7]
	s_cbranch_scc1 .LBB228_69
; %bb.68:                               ;   in Loop: Header=BB228_48 Depth=2
	s_mov_b32 s25, s26
	s_branch .LBB228_48
.LBB228_69:                             ;   in Loop: Header=BB228_3 Depth=1
	s_cmp_lt_i32 s26, 0
	s_cbranch_scc1 .LBB228_78
; %bb.70:                               ;   in Loop: Header=BB228_3 Depth=1
	s_lshl_b32 s24, s26, 4
	s_delay_alu instid0(SALU_CYCLE_1)
	s_add_co_i32 s24, s19, s24
	s_branch .LBB228_72
.LBB228_71:                             ;   in Loop: Header=BB228_72 Depth=2
	s_add_co_i32 s25, s26, -1
	s_add_co_i32 s24, s24, -16
	s_cmp_lt_i32 s26, 1
	s_mov_b32 s26, s25
	ds_store_b128 v16, v[12:15]
	s_cbranch_scc1 .LBB228_78
.LBB228_72:                             ;   Parent Loop BB228_3 Depth=1
                                        ; =>  This Loop Header: Depth=2
                                        ;       Child Loop BB228_73 Depth 3
	s_mul_i32 s25, s26, 0x180
	s_cmp_le_i32 s30, s26
	v_dual_add_nc_u32 v16, s25, v34 :: v_dual_mov_b32 v8, v35
	s_mov_b32 s27, s24
	s_mov_b32 s36, s30
	ds_load_b128 v[4:7], v16
	s_cbranch_scc1 .LBB228_74
.LBB228_73:                             ;   Parent Loop BB228_3 Depth=1
                                        ;     Parent Loop BB228_72 Depth=2
                                        ; =>    This Inner Loop Header: Depth=3
	v_mov_b32_e32 v9, s27
	s_add_co_i32 s36, s36, -1
	s_addk_co_i32 s27, 0xfe80
	s_cmp_le_i32 s36, s26
	ds_load_b128 v[10:13], v8
	ds_load_b128 v[18:21], v9
	v_add_nc_u32_e32 v8, 0xfffffe80, v8
	s_wait_dscnt 0x0
	v_mul_f64_e32 v[14:15], v[20:21], v[12:13]
	v_mul_f64_e32 v[12:13], v[18:19], v[12:13]
	s_delay_alu instid0(VALU_DEP_2) | instskip(NEXT) | instid1(VALU_DEP_2)
	v_fma_f64 v[14:15], v[18:19], v[10:11], -v[14:15]
	v_fmac_f64_e32 v[12:13], v[20:21], v[10:11]
	s_delay_alu instid0(VALU_DEP_2) | instskip(NEXT) | instid1(VALU_DEP_2)
	v_add_f64_e64 v[4:5], v[4:5], -v[14:15]
	v_add_f64_e64 v[6:7], v[6:7], -v[12:13]
	s_cbranch_scc0 .LBB228_73
.LBB228_74:                             ;   in Loop: Header=BB228_72 Depth=2
	s_lshl_b32 s27, s26, 4
                                        ; implicit-def: $vgpr12_vgpr13
	s_delay_alu instid0(SALU_CYCLE_1) | instskip(NEXT) | instid1(SALU_CYCLE_1)
	s_add_co_i32 s25, s27, s25
	v_mov_b32_e32 v8, s25
	ds_load_b128 v[8:11], v8
	s_wait_dscnt 0x0
	v_cmp_ngt_f64_e64 s25, |v[8:9]|, |v[10:11]|
	s_and_b32 vcc_lo, exec_lo, s25
	s_mov_b32 s25, -1
	s_cbranch_vccz .LBB228_76
; %bb.75:                               ;   in Loop: Header=BB228_72 Depth=2
	v_div_scale_f64 v[12:13], null, v[10:11], v[10:11], v[8:9]
	v_div_scale_f64 v[20:21], vcc_lo, v[8:9], v[10:11], v[8:9]
	s_mov_b32 s25, 0
	v_rcp_f64_e32 v[14:15], v[12:13]
	v_nop
	s_delay_alu instid0(TRANS32_DEP_1) | instskip(NEXT) | instid1(VALU_DEP_1)
	v_fma_f64 v[18:19], -v[12:13], v[14:15], 1.0
	v_fmac_f64_e32 v[14:15], v[14:15], v[18:19]
	s_delay_alu instid0(VALU_DEP_1) | instskip(NEXT) | instid1(VALU_DEP_1)
	v_fma_f64 v[18:19], -v[12:13], v[14:15], 1.0
	v_fmac_f64_e32 v[14:15], v[14:15], v[18:19]
	s_delay_alu instid0(VALU_DEP_1) | instskip(NEXT) | instid1(VALU_DEP_1)
	v_mul_f64_e32 v[18:19], v[20:21], v[14:15]
	v_fma_f64 v[12:13], -v[12:13], v[18:19], v[20:21]
	s_delay_alu instid0(VALU_DEP_1) | instskip(NEXT) | instid1(VALU_DEP_1)
	v_div_fmas_f64 v[12:13], v[12:13], v[14:15], v[18:19]
	v_div_fixup_f64 v[12:13], v[12:13], v[10:11], v[8:9]
	s_delay_alu instid0(VALU_DEP_1) | instskip(NEXT) | instid1(VALU_DEP_1)
	v_fma_f64 v[14:15], v[8:9], v[12:13], v[10:11]
	v_div_scale_f64 v[18:19], null, v[14:15], v[14:15], 1.0
	v_div_scale_f64 v[24:25], vcc_lo, 1.0, v[14:15], 1.0
	s_delay_alu instid0(VALU_DEP_2) | instskip(SKIP_1) | instid1(TRANS32_DEP_1)
	v_rcp_f64_e32 v[20:21], v[18:19]
	v_nop
	v_fma_f64 v[22:23], -v[18:19], v[20:21], 1.0
	s_delay_alu instid0(VALU_DEP_1) | instskip(NEXT) | instid1(VALU_DEP_1)
	v_fmac_f64_e32 v[20:21], v[20:21], v[22:23]
	v_fma_f64 v[22:23], -v[18:19], v[20:21], 1.0
	s_delay_alu instid0(VALU_DEP_1) | instskip(NEXT) | instid1(VALU_DEP_1)
	v_fmac_f64_e32 v[20:21], v[20:21], v[22:23]
	v_mul_f64_e32 v[22:23], v[24:25], v[20:21]
	s_delay_alu instid0(VALU_DEP_1) | instskip(NEXT) | instid1(VALU_DEP_1)
	v_fma_f64 v[18:19], -v[18:19], v[22:23], v[24:25]
	v_div_fmas_f64 v[18:19], v[18:19], v[20:21], v[22:23]
	v_fma_f64 v[20:21], v[4:5], v[12:13], v[6:7]
	s_delay_alu instid0(VALU_DEP_2) | instskip(SKIP_1) | instid1(VALU_DEP_2)
	v_div_fixup_f64 v[14:15], v[18:19], v[14:15], 1.0
	v_fma_f64 v[18:19], v[6:7], v[12:13], -v[4:5]
	v_mul_f64_e32 v[12:13], v[20:21], v[14:15]
	s_delay_alu instid0(VALU_DEP_2)
	v_mul_f64_e32 v[14:15], v[18:19], v[14:15]
.LBB228_76:                             ;   in Loop: Header=BB228_72 Depth=2
	s_and_not1_b32 vcc_lo, exec_lo, s25
	s_cbranch_vccnz .LBB228_71
; %bb.77:                               ;   in Loop: Header=BB228_72 Depth=2
	v_div_scale_f64 v[12:13], null, v[8:9], v[8:9], v[10:11]
	v_div_scale_f64 v[20:21], vcc_lo, v[10:11], v[8:9], v[10:11]
	s_delay_alu instid0(VALU_DEP_2) | instskip(SKIP_1) | instid1(TRANS32_DEP_1)
	v_rcp_f64_e32 v[14:15], v[12:13]
	v_nop
	v_fma_f64 v[18:19], -v[12:13], v[14:15], 1.0
	s_delay_alu instid0(VALU_DEP_1) | instskip(NEXT) | instid1(VALU_DEP_1)
	v_fmac_f64_e32 v[14:15], v[14:15], v[18:19]
	v_fma_f64 v[18:19], -v[12:13], v[14:15], 1.0
	s_delay_alu instid0(VALU_DEP_1) | instskip(NEXT) | instid1(VALU_DEP_1)
	v_fmac_f64_e32 v[14:15], v[14:15], v[18:19]
	v_mul_f64_e32 v[18:19], v[20:21], v[14:15]
	s_delay_alu instid0(VALU_DEP_1) | instskip(NEXT) | instid1(VALU_DEP_1)
	v_fma_f64 v[12:13], -v[12:13], v[18:19], v[20:21]
	v_div_fmas_f64 v[12:13], v[12:13], v[14:15], v[18:19]
	s_delay_alu instid0(VALU_DEP_1) | instskip(NEXT) | instid1(VALU_DEP_1)
	v_div_fixup_f64 v[12:13], v[12:13], v[8:9], v[10:11]
	v_fmac_f64_e32 v[8:9], v[10:11], v[12:13]
	s_delay_alu instid0(VALU_DEP_1) | instskip(SKIP_1) | instid1(VALU_DEP_2)
	v_div_scale_f64 v[10:11], null, v[8:9], v[8:9], 1.0
	v_div_scale_f64 v[20:21], vcc_lo, 1.0, v[8:9], 1.0
	v_rcp_f64_e32 v[14:15], v[10:11]
	v_nop
	s_delay_alu instid0(TRANS32_DEP_1) | instskip(NEXT) | instid1(VALU_DEP_1)
	v_fma_f64 v[18:19], -v[10:11], v[14:15], 1.0
	v_fmac_f64_e32 v[14:15], v[14:15], v[18:19]
	s_delay_alu instid0(VALU_DEP_1) | instskip(NEXT) | instid1(VALU_DEP_1)
	v_fma_f64 v[18:19], -v[10:11], v[14:15], 1.0
	v_fmac_f64_e32 v[14:15], v[14:15], v[18:19]
	s_delay_alu instid0(VALU_DEP_1) | instskip(NEXT) | instid1(VALU_DEP_1)
	v_mul_f64_e32 v[18:19], v[20:21], v[14:15]
	v_fma_f64 v[10:11], -v[10:11], v[18:19], v[20:21]
	s_delay_alu instid0(VALU_DEP_1) | instskip(SKIP_2) | instid1(VALU_DEP_3)
	v_div_fmas_f64 v[10:11], v[10:11], v[14:15], v[18:19]
	v_fma_f64 v[14:15], v[6:7], v[12:13], v[4:5]
	v_fma_f64 v[4:5], -v[4:5], v[12:13], v[6:7]
	v_div_fixup_f64 v[8:9], v[10:11], v[8:9], 1.0
	s_delay_alu instid0(VALU_DEP_1) | instskip(NEXT) | instid1(VALU_DEP_3)
	v_mul_f64_e32 v[12:13], v[14:15], v[8:9]
	v_mul_f64_e32 v[14:15], v[4:5], v[8:9]
	s_branch .LBB228_71
.LBB228_78:                             ;   in Loop: Header=BB228_3 Depth=1
	s_mov_b32 s24, 0
.LBB228_79:                             ;   in Loop: Header=BB228_3 Depth=1
	s_delay_alu instid0(SALU_CYCLE_1)
	s_and_not1_b32 vcc_lo, exec_lo, s24
	s_cbranch_vccnz .LBB228_110
; %bb.80:                               ;   in Loop: Header=BB228_3 Depth=1
	s_mov_b32 s26, s30
	s_and_not1_b32 vcc_lo, exec_lo, s34
	s_mov_b32 s24, s20
	s_mov_b32 s25, s30
	s_cbranch_vccnz .LBB228_101
.LBB228_81:                             ;   Parent Loop BB228_3 Depth=1
                                        ; =>  This Loop Header: Depth=2
                                        ;       Child Loop BB228_82 Depth 3
	s_mul_i32 s26, s25, 24
	s_cmp_le_i32 s30, s25
	v_lshl_add_u32 v40, s26, 4, v34
	s_mov_b32 s27, s24
	s_mov_b32 s36, s30
	s_delay_alu instid0(VALU_DEP_1)
	v_dual_mov_b32 v12, v35 :: v_dual_add_nc_u32 v39, 0xfffffe80, v40
	v_add_nc_u32_e32 v38, 0xfffffd00, v40
	v_add_nc_u32_e32 v37, 0xfffffb80, v40
	ds_load_b128 v[20:23], v40
	ds_load_b128 v[16:19], v39
	ds_load_b128 v[8:11], v38
	ds_load_b128 v[4:7], v37
	s_cbranch_scc1 .LBB228_83
.LBB228_82:                             ;   Parent Loop BB228_3 Depth=1
                                        ;     Parent Loop BB228_81 Depth=2
                                        ; =>    This Inner Loop Header: Depth=3
	v_mov_b32_e32 v13, s27
	s_add_co_i32 s36, s36, -1
	s_add_co_i32 s27, s27, -16
	s_cmp_le_i32 s36, s25
	ds_load_b128 v[24:27], v12
	ds_load_b128 v[42:45], v13 offset:1152
	ds_load_b128 v[46:49], v13 offset:768
	;; [unrolled: 1-line block ×3, first 2 shown]
	ds_load_b128 v[54:57], v13
	v_add_nc_u32_e32 v12, 0xfffffe80, v12
	s_wait_dscnt 0x3
	v_mul_f64_e32 v[14:15], v[26:27], v[44:45]
	v_mul_f64_e32 v[44:45], v[24:25], v[44:45]
	s_wait_dscnt 0x2
	v_mul_f64_e32 v[58:59], v[26:27], v[48:49]
	v_mul_f64_e32 v[48:49], v[24:25], v[48:49]
	;; [unrolled: 3-line block ×4, first 2 shown]
	v_fma_f64 v[14:15], v[24:25], v[42:43], -v[14:15]
	v_fmac_f64_e32 v[44:45], v[26:27], v[42:43]
	v_fma_f64 v[42:43], v[24:25], v[46:47], -v[58:59]
	v_fmac_f64_e32 v[48:49], v[26:27], v[46:47]
	;; [unrolled: 2-line block ×4, first 2 shown]
	v_add_f64_e64 v[20:21], v[20:21], -v[14:15]
	v_add_f64_e64 v[22:23], v[22:23], -v[44:45]
	v_add_f64_e64 v[16:17], v[16:17], -v[42:43]
	v_add_f64_e64 v[18:19], v[18:19], -v[48:49]
	v_add_f64_e64 v[8:9], v[8:9], -v[46:47]
	v_add_f64_e64 v[10:11], v[10:11], -v[52:53]
	v_add_f64_e64 v[4:5], v[4:5], -v[24:25]
	v_add_f64_e64 v[6:7], v[6:7], -v[56:57]
	s_cbranch_scc0 .LBB228_82
.LBB228_83:                             ;   in Loop: Header=BB228_81 Depth=2
	s_mul_i32 s27, s25, 0x190
	s_delay_alu instid0(SALU_CYCLE_1)
	v_mov_b32_e32 v12, s27
	ds_load_b128 v[24:27], v12
                                        ; implicit-def: $vgpr14_vgpr15
	s_wait_dscnt 0x0
	v_cmp_ngt_f64_e64 s27, |v[24:25]|, |v[26:27]|
	s_and_b32 vcc_lo, exec_lo, s27
	s_mov_b32 s27, -1
	s_cbranch_vccz .LBB228_85
; %bb.84:                               ;   in Loop: Header=BB228_81 Depth=2
	v_div_scale_f64 v[12:13], null, v[26:27], v[26:27], v[24:25]
	v_div_scale_f64 v[44:45], vcc_lo, v[24:25], v[26:27], v[24:25]
	s_mov_b32 s27, 0
	v_rcp_f64_e32 v[14:15], v[12:13]
	v_nop
	s_delay_alu instid0(TRANS32_DEP_1) | instskip(NEXT) | instid1(VALU_DEP_1)
	v_fma_f64 v[42:43], -v[12:13], v[14:15], 1.0
	v_fmac_f64_e32 v[14:15], v[14:15], v[42:43]
	s_delay_alu instid0(VALU_DEP_1) | instskip(NEXT) | instid1(VALU_DEP_1)
	v_fma_f64 v[42:43], -v[12:13], v[14:15], 1.0
	v_fmac_f64_e32 v[14:15], v[14:15], v[42:43]
	s_delay_alu instid0(VALU_DEP_1) | instskip(NEXT) | instid1(VALU_DEP_1)
	v_mul_f64_e32 v[42:43], v[44:45], v[14:15]
	v_fma_f64 v[12:13], -v[12:13], v[42:43], v[44:45]
	s_delay_alu instid0(VALU_DEP_1) | instskip(NEXT) | instid1(VALU_DEP_1)
	v_div_fmas_f64 v[12:13], v[12:13], v[14:15], v[42:43]
	v_div_fixup_f64 v[12:13], v[12:13], v[26:27], v[24:25]
	s_delay_alu instid0(VALU_DEP_1) | instskip(NEXT) | instid1(VALU_DEP_1)
	v_fma_f64 v[14:15], v[24:25], v[12:13], v[26:27]
	v_div_scale_f64 v[42:43], null, v[14:15], v[14:15], 1.0
	v_div_scale_f64 v[48:49], vcc_lo, 1.0, v[14:15], 1.0
	s_delay_alu instid0(VALU_DEP_2) | instskip(SKIP_1) | instid1(TRANS32_DEP_1)
	v_rcp_f64_e32 v[44:45], v[42:43]
	v_nop
	v_fma_f64 v[46:47], -v[42:43], v[44:45], 1.0
	s_delay_alu instid0(VALU_DEP_1) | instskip(NEXT) | instid1(VALU_DEP_1)
	v_fmac_f64_e32 v[44:45], v[44:45], v[46:47]
	v_fma_f64 v[46:47], -v[42:43], v[44:45], 1.0
	s_delay_alu instid0(VALU_DEP_1) | instskip(NEXT) | instid1(VALU_DEP_1)
	v_fmac_f64_e32 v[44:45], v[44:45], v[46:47]
	v_mul_f64_e32 v[46:47], v[48:49], v[44:45]
	s_delay_alu instid0(VALU_DEP_1) | instskip(NEXT) | instid1(VALU_DEP_1)
	v_fma_f64 v[42:43], -v[42:43], v[46:47], v[48:49]
	v_div_fmas_f64 v[42:43], v[42:43], v[44:45], v[46:47]
	v_fma_f64 v[44:45], v[20:21], v[12:13], v[22:23]
	s_delay_alu instid0(VALU_DEP_2) | instskip(SKIP_1) | instid1(VALU_DEP_2)
	v_div_fixup_f64 v[14:15], v[42:43], v[14:15], 1.0
	v_fma_f64 v[42:43], v[22:23], v[12:13], -v[20:21]
	v_mul_f64_e32 v[12:13], v[44:45], v[14:15]
	s_delay_alu instid0(VALU_DEP_2)
	v_mul_f64_e32 v[14:15], v[42:43], v[14:15]
.LBB228_85:                             ;   in Loop: Header=BB228_81 Depth=2
	s_and_not1_b32 vcc_lo, exec_lo, s27
	s_cbranch_vccnz .LBB228_87
; %bb.86:                               ;   in Loop: Header=BB228_81 Depth=2
	v_div_scale_f64 v[12:13], null, v[24:25], v[24:25], v[26:27]
	v_div_scale_f64 v[44:45], vcc_lo, v[26:27], v[24:25], v[26:27]
	s_delay_alu instid0(VALU_DEP_2) | instskip(SKIP_1) | instid1(TRANS32_DEP_1)
	v_rcp_f64_e32 v[14:15], v[12:13]
	v_nop
	v_fma_f64 v[42:43], -v[12:13], v[14:15], 1.0
	s_delay_alu instid0(VALU_DEP_1) | instskip(NEXT) | instid1(VALU_DEP_1)
	v_fmac_f64_e32 v[14:15], v[14:15], v[42:43]
	v_fma_f64 v[42:43], -v[12:13], v[14:15], 1.0
	s_delay_alu instid0(VALU_DEP_1) | instskip(NEXT) | instid1(VALU_DEP_1)
	v_fmac_f64_e32 v[14:15], v[14:15], v[42:43]
	v_mul_f64_e32 v[42:43], v[44:45], v[14:15]
	s_delay_alu instid0(VALU_DEP_1) | instskip(NEXT) | instid1(VALU_DEP_1)
	v_fma_f64 v[12:13], -v[12:13], v[42:43], v[44:45]
	v_div_fmas_f64 v[12:13], v[12:13], v[14:15], v[42:43]
	s_delay_alu instid0(VALU_DEP_1) | instskip(NEXT) | instid1(VALU_DEP_1)
	v_div_fixup_f64 v[12:13], v[12:13], v[24:25], v[26:27]
	v_fmac_f64_e32 v[24:25], v[26:27], v[12:13]
	s_delay_alu instid0(VALU_DEP_1) | instskip(SKIP_1) | instid1(VALU_DEP_2)
	v_div_scale_f64 v[14:15], null, v[24:25], v[24:25], 1.0
	v_div_scale_f64 v[44:45], vcc_lo, 1.0, v[24:25], 1.0
	v_rcp_f64_e32 v[26:27], v[14:15]
	v_nop
	s_delay_alu instid0(TRANS32_DEP_1) | instskip(NEXT) | instid1(VALU_DEP_1)
	v_fma_f64 v[42:43], -v[14:15], v[26:27], 1.0
	v_fmac_f64_e32 v[26:27], v[26:27], v[42:43]
	s_delay_alu instid0(VALU_DEP_1) | instskip(NEXT) | instid1(VALU_DEP_1)
	v_fma_f64 v[42:43], -v[14:15], v[26:27], 1.0
	v_fmac_f64_e32 v[26:27], v[26:27], v[42:43]
	s_delay_alu instid0(VALU_DEP_1) | instskip(NEXT) | instid1(VALU_DEP_1)
	v_mul_f64_e32 v[42:43], v[44:45], v[26:27]
	v_fma_f64 v[14:15], -v[14:15], v[42:43], v[44:45]
	s_delay_alu instid0(VALU_DEP_1) | instskip(SKIP_2) | instid1(VALU_DEP_3)
	v_div_fmas_f64 v[14:15], v[14:15], v[26:27], v[42:43]
	v_fma_f64 v[26:27], v[22:23], v[12:13], v[20:21]
	v_fma_f64 v[20:21], -v[20:21], v[12:13], v[22:23]
	v_div_fixup_f64 v[14:15], v[14:15], v[24:25], 1.0
	s_delay_alu instid0(VALU_DEP_1) | instskip(NEXT) | instid1(VALU_DEP_3)
	v_mul_f64_e32 v[12:13], v[26:27], v[14:15]
	v_mul_f64_e32 v[14:15], v[20:21], v[14:15]
.LBB228_87:                             ;   in Loop: Header=BB228_81 Depth=2
	s_lshl_b32 s27, s26, 4
	s_lshl_b32 s26, s25, 4
	s_addk_co_i32 s27, 0xfe80
	ds_store_b128 v40, v[12:15]
	s_add_co_i32 s36, s27, s26
	s_delay_alu instid0(SALU_CYCLE_1)
	v_mov_b32_e32 v20, s36
	s_add_co_i32 s36, s36, -16
	ds_load_b128 v[24:27], v20
	s_wait_dscnt 0x0
	v_dual_mul_f64 v[42:43], v[14:15], v[26:27] :: v_dual_mov_b32 v20, s36
	v_mul_f64_e32 v[26:27], v[12:13], v[26:27]
	ds_load_b128 v[20:23], v20
	s_wait_dscnt 0x0
	v_cmp_ngt_f64_e64 s36, |v[20:21]|, |v[22:23]|
	v_fma_f64 v[42:43], v[12:13], v[24:25], -v[42:43]
	v_fmac_f64_e32 v[26:27], v[14:15], v[24:25]
	s_and_b32 vcc_lo, exec_lo, s36
	s_mov_b32 s36, -1
	s_delay_alu instid0(VALU_DEP_2) | instskip(NEXT) | instid1(VALU_DEP_2)
	v_add_f64_e64 v[24:25], v[16:17], -v[42:43]
	v_add_f64_e64 v[26:27], v[18:19], -v[26:27]
                                        ; implicit-def: $vgpr18_vgpr19
	s_cbranch_vccz .LBB228_89
; %bb.88:                               ;   in Loop: Header=BB228_81 Depth=2
	v_div_scale_f64 v[16:17], null, v[22:23], v[22:23], v[20:21]
	v_div_scale_f64 v[42:43], vcc_lo, v[20:21], v[22:23], v[20:21]
	s_mov_b32 s36, 0
	v_rcp_f64_e32 v[18:19], v[16:17]
	v_nop
	s_delay_alu instid0(TRANS32_DEP_1) | instskip(NEXT) | instid1(VALU_DEP_1)
	v_fma_f64 v[40:41], -v[16:17], v[18:19], 1.0
	v_fmac_f64_e32 v[18:19], v[18:19], v[40:41]
	s_delay_alu instid0(VALU_DEP_1) | instskip(NEXT) | instid1(VALU_DEP_1)
	v_fma_f64 v[40:41], -v[16:17], v[18:19], 1.0
	v_fmac_f64_e32 v[18:19], v[18:19], v[40:41]
	s_delay_alu instid0(VALU_DEP_1) | instskip(NEXT) | instid1(VALU_DEP_1)
	v_mul_f64_e32 v[40:41], v[42:43], v[18:19]
	v_fma_f64 v[16:17], -v[16:17], v[40:41], v[42:43]
	s_delay_alu instid0(VALU_DEP_1) | instskip(NEXT) | instid1(VALU_DEP_1)
	v_div_fmas_f64 v[16:17], v[16:17], v[18:19], v[40:41]
	v_div_fixup_f64 v[16:17], v[16:17], v[22:23], v[20:21]
	s_delay_alu instid0(VALU_DEP_1) | instskip(NEXT) | instid1(VALU_DEP_1)
	v_fma_f64 v[18:19], v[20:21], v[16:17], v[22:23]
	v_div_scale_f64 v[40:41], null, v[18:19], v[18:19], 1.0
	v_div_scale_f64 v[46:47], vcc_lo, 1.0, v[18:19], 1.0
	s_delay_alu instid0(VALU_DEP_2) | instskip(SKIP_1) | instid1(TRANS32_DEP_1)
	v_rcp_f64_e32 v[42:43], v[40:41]
	v_nop
	v_fma_f64 v[44:45], -v[40:41], v[42:43], 1.0
	s_delay_alu instid0(VALU_DEP_1) | instskip(NEXT) | instid1(VALU_DEP_1)
	v_fmac_f64_e32 v[42:43], v[42:43], v[44:45]
	v_fma_f64 v[44:45], -v[40:41], v[42:43], 1.0
	s_delay_alu instid0(VALU_DEP_1) | instskip(NEXT) | instid1(VALU_DEP_1)
	v_fmac_f64_e32 v[42:43], v[42:43], v[44:45]
	v_mul_f64_e32 v[44:45], v[46:47], v[42:43]
	s_delay_alu instid0(VALU_DEP_1) | instskip(NEXT) | instid1(VALU_DEP_1)
	v_fma_f64 v[40:41], -v[40:41], v[44:45], v[46:47]
	v_div_fmas_f64 v[40:41], v[40:41], v[42:43], v[44:45]
	v_fma_f64 v[42:43], v[16:17], v[24:25], v[26:27]
	s_delay_alu instid0(VALU_DEP_2) | instskip(SKIP_1) | instid1(VALU_DEP_2)
	v_div_fixup_f64 v[18:19], v[40:41], v[18:19], 1.0
	v_fma_f64 v[40:41], v[16:17], v[26:27], -v[24:25]
	v_mul_f64_e32 v[16:17], v[42:43], v[18:19]
	s_delay_alu instid0(VALU_DEP_2)
	v_mul_f64_e32 v[18:19], v[40:41], v[18:19]
.LBB228_89:                             ;   in Loop: Header=BB228_81 Depth=2
	s_and_not1_b32 vcc_lo, exec_lo, s36
	s_cbranch_vccnz .LBB228_91
; %bb.90:                               ;   in Loop: Header=BB228_81 Depth=2
	v_div_scale_f64 v[16:17], null, v[20:21], v[20:21], v[22:23]
	v_div_scale_f64 v[42:43], vcc_lo, v[22:23], v[20:21], v[22:23]
	s_delay_alu instid0(VALU_DEP_2) | instskip(SKIP_1) | instid1(TRANS32_DEP_1)
	v_rcp_f64_e32 v[18:19], v[16:17]
	v_nop
	v_fma_f64 v[40:41], -v[16:17], v[18:19], 1.0
	s_delay_alu instid0(VALU_DEP_1) | instskip(NEXT) | instid1(VALU_DEP_1)
	v_fmac_f64_e32 v[18:19], v[18:19], v[40:41]
	v_fma_f64 v[40:41], -v[16:17], v[18:19], 1.0
	s_delay_alu instid0(VALU_DEP_1) | instskip(NEXT) | instid1(VALU_DEP_1)
	v_fmac_f64_e32 v[18:19], v[18:19], v[40:41]
	v_mul_f64_e32 v[40:41], v[42:43], v[18:19]
	s_delay_alu instid0(VALU_DEP_1) | instskip(NEXT) | instid1(VALU_DEP_1)
	v_fma_f64 v[16:17], -v[16:17], v[40:41], v[42:43]
	v_div_fmas_f64 v[16:17], v[16:17], v[18:19], v[40:41]
	s_delay_alu instid0(VALU_DEP_1) | instskip(NEXT) | instid1(VALU_DEP_1)
	v_div_fixup_f64 v[16:17], v[16:17], v[20:21], v[22:23]
	v_fmac_f64_e32 v[20:21], v[22:23], v[16:17]
	s_delay_alu instid0(VALU_DEP_1) | instskip(SKIP_1) | instid1(VALU_DEP_2)
	v_div_scale_f64 v[18:19], null, v[20:21], v[20:21], 1.0
	v_div_scale_f64 v[42:43], vcc_lo, 1.0, v[20:21], 1.0
	v_rcp_f64_e32 v[22:23], v[18:19]
	v_nop
	s_delay_alu instid0(TRANS32_DEP_1) | instskip(NEXT) | instid1(VALU_DEP_1)
	v_fma_f64 v[40:41], -v[18:19], v[22:23], 1.0
	v_fmac_f64_e32 v[22:23], v[22:23], v[40:41]
	s_delay_alu instid0(VALU_DEP_1) | instskip(NEXT) | instid1(VALU_DEP_1)
	v_fma_f64 v[40:41], -v[18:19], v[22:23], 1.0
	v_fmac_f64_e32 v[22:23], v[22:23], v[40:41]
	s_delay_alu instid0(VALU_DEP_1) | instskip(NEXT) | instid1(VALU_DEP_1)
	v_mul_f64_e32 v[40:41], v[42:43], v[22:23]
	v_fma_f64 v[18:19], -v[18:19], v[40:41], v[42:43]
	s_delay_alu instid0(VALU_DEP_1) | instskip(SKIP_1) | instid1(VALU_DEP_2)
	v_div_fmas_f64 v[18:19], v[18:19], v[22:23], v[40:41]
	v_fma_f64 v[22:23], v[16:17], v[26:27], v[24:25]
	v_div_fixup_f64 v[18:19], v[18:19], v[20:21], 1.0
	v_fma_f64 v[20:21], -v[16:17], v[24:25], v[26:27]
	s_delay_alu instid0(VALU_DEP_2) | instskip(NEXT) | instid1(VALU_DEP_2)
	v_mul_f64_e32 v[16:17], v[22:23], v[18:19]
	v_mul_f64_e32 v[18:19], v[20:21], v[18:19]
.LBB228_91:                             ;   in Loop: Header=BB228_81 Depth=2
	s_addk_co_i32 s27, 0xfe80
	ds_store_b128 v39, v[16:19]
	s_add_co_i32 s26, s27, s26
	s_delay_alu instid0(SALU_CYCLE_1) | instskip(NEXT) | instid1(SALU_CYCLE_1)
	s_add_co_i32 s27, s26, -16
	v_dual_mov_b32 v20, s26 :: v_dual_mov_b32 v24, s27
	s_sub_co_i32 s27, s26, 32
	ds_load_b128 v[20:23], v20
	ds_load_b128 v[24:27], v24
	s_wait_dscnt 0x1
	v_mul_f64_e32 v[40:41], v[14:15], v[22:23]
	v_mul_f64_e32 v[22:23], v[12:13], v[22:23]
	s_wait_dscnt 0x0
	v_mul_f64_e32 v[42:43], v[18:19], v[26:27]
	v_mul_f64_e32 v[26:27], v[16:17], v[26:27]
	s_delay_alu instid0(VALU_DEP_4) | instskip(NEXT) | instid1(VALU_DEP_4)
	v_fma_f64 v[40:41], v[12:13], v[20:21], -v[40:41]
	v_fmac_f64_e32 v[22:23], v[14:15], v[20:21]
	s_delay_alu instid0(VALU_DEP_4) | instskip(NEXT) | instid1(VALU_DEP_4)
	v_fma_f64 v[20:21], v[16:17], v[24:25], -v[42:43]
	v_fmac_f64_e32 v[26:27], v[18:19], v[24:25]
	s_delay_alu instid0(VALU_DEP_4) | instskip(NEXT) | instid1(VALU_DEP_4)
	v_add_f64_e64 v[24:25], v[8:9], -v[40:41]
	v_dual_add_f64 v[22:23], v[10:11], -v[22:23] :: v_dual_mov_b32 v8, s27
	ds_load_b128 v[8:11], v8
	s_wait_dscnt 0x0
	v_cmp_ngt_f64_e64 s27, |v[8:9]|, |v[10:11]|
	v_add_f64_e64 v[24:25], v[24:25], -v[20:21]
	v_add_f64_e64 v[26:27], v[22:23], -v[26:27]
                                        ; implicit-def: $vgpr22_vgpr23
	s_and_b32 vcc_lo, exec_lo, s27
	s_mov_b32 s27, -1
	s_cbranch_vccz .LBB228_93
; %bb.92:                               ;   in Loop: Header=BB228_81 Depth=2
	v_div_scale_f64 v[20:21], null, v[10:11], v[10:11], v[8:9]
	v_div_scale_f64 v[42:43], vcc_lo, v[8:9], v[10:11], v[8:9]
	s_mov_b32 s27, 0
	v_rcp_f64_e32 v[22:23], v[20:21]
	v_nop
	s_delay_alu instid0(TRANS32_DEP_1) | instskip(NEXT) | instid1(VALU_DEP_1)
	v_fma_f64 v[40:41], -v[20:21], v[22:23], 1.0
	v_fmac_f64_e32 v[22:23], v[22:23], v[40:41]
	s_delay_alu instid0(VALU_DEP_1) | instskip(NEXT) | instid1(VALU_DEP_1)
	v_fma_f64 v[40:41], -v[20:21], v[22:23], 1.0
	v_fmac_f64_e32 v[22:23], v[22:23], v[40:41]
	s_delay_alu instid0(VALU_DEP_1) | instskip(NEXT) | instid1(VALU_DEP_1)
	v_mul_f64_e32 v[40:41], v[42:43], v[22:23]
	v_fma_f64 v[20:21], -v[20:21], v[40:41], v[42:43]
	s_delay_alu instid0(VALU_DEP_1) | instskip(NEXT) | instid1(VALU_DEP_1)
	v_div_fmas_f64 v[20:21], v[20:21], v[22:23], v[40:41]
	v_div_fixup_f64 v[20:21], v[20:21], v[10:11], v[8:9]
	s_delay_alu instid0(VALU_DEP_1) | instskip(NEXT) | instid1(VALU_DEP_1)
	v_fma_f64 v[22:23], v[8:9], v[20:21], v[10:11]
	v_div_scale_f64 v[40:41], null, v[22:23], v[22:23], 1.0
	v_div_scale_f64 v[46:47], vcc_lo, 1.0, v[22:23], 1.0
	s_delay_alu instid0(VALU_DEP_2) | instskip(SKIP_1) | instid1(TRANS32_DEP_1)
	v_rcp_f64_e32 v[42:43], v[40:41]
	v_nop
	v_fma_f64 v[44:45], -v[40:41], v[42:43], 1.0
	s_delay_alu instid0(VALU_DEP_1) | instskip(NEXT) | instid1(VALU_DEP_1)
	v_fmac_f64_e32 v[42:43], v[42:43], v[44:45]
	v_fma_f64 v[44:45], -v[40:41], v[42:43], 1.0
	s_delay_alu instid0(VALU_DEP_1) | instskip(NEXT) | instid1(VALU_DEP_1)
	v_fmac_f64_e32 v[42:43], v[42:43], v[44:45]
	v_mul_f64_e32 v[44:45], v[46:47], v[42:43]
	s_delay_alu instid0(VALU_DEP_1) | instskip(NEXT) | instid1(VALU_DEP_1)
	v_fma_f64 v[40:41], -v[40:41], v[44:45], v[46:47]
	v_div_fmas_f64 v[40:41], v[40:41], v[42:43], v[44:45]
	v_fma_f64 v[42:43], v[20:21], v[24:25], v[26:27]
	s_delay_alu instid0(VALU_DEP_2) | instskip(SKIP_1) | instid1(VALU_DEP_2)
	v_div_fixup_f64 v[22:23], v[40:41], v[22:23], 1.0
	v_fma_f64 v[40:41], v[20:21], v[26:27], -v[24:25]
	v_mul_f64_e32 v[20:21], v[42:43], v[22:23]
	s_delay_alu instid0(VALU_DEP_2)
	v_mul_f64_e32 v[22:23], v[40:41], v[22:23]
.LBB228_93:                             ;   in Loop: Header=BB228_81 Depth=2
	s_and_not1_b32 vcc_lo, exec_lo, s27
	s_cbranch_vccnz .LBB228_95
; %bb.94:                               ;   in Loop: Header=BB228_81 Depth=2
	v_div_scale_f64 v[20:21], null, v[8:9], v[8:9], v[10:11]
	v_div_scale_f64 v[42:43], vcc_lo, v[10:11], v[8:9], v[10:11]
	s_delay_alu instid0(VALU_DEP_2) | instskip(SKIP_1) | instid1(TRANS32_DEP_1)
	v_rcp_f64_e32 v[22:23], v[20:21]
	v_nop
	v_fma_f64 v[40:41], -v[20:21], v[22:23], 1.0
	s_delay_alu instid0(VALU_DEP_1) | instskip(NEXT) | instid1(VALU_DEP_1)
	v_fmac_f64_e32 v[22:23], v[22:23], v[40:41]
	v_fma_f64 v[40:41], -v[20:21], v[22:23], 1.0
	s_delay_alu instid0(VALU_DEP_1) | instskip(NEXT) | instid1(VALU_DEP_1)
	v_fmac_f64_e32 v[22:23], v[22:23], v[40:41]
	v_mul_f64_e32 v[40:41], v[42:43], v[22:23]
	s_delay_alu instid0(VALU_DEP_1) | instskip(NEXT) | instid1(VALU_DEP_1)
	v_fma_f64 v[20:21], -v[20:21], v[40:41], v[42:43]
	v_div_fmas_f64 v[20:21], v[20:21], v[22:23], v[40:41]
	s_delay_alu instid0(VALU_DEP_1) | instskip(NEXT) | instid1(VALU_DEP_1)
	v_div_fixup_f64 v[20:21], v[20:21], v[8:9], v[10:11]
	v_fmac_f64_e32 v[8:9], v[10:11], v[20:21]
	s_delay_alu instid0(VALU_DEP_1) | instskip(SKIP_1) | instid1(VALU_DEP_2)
	v_div_scale_f64 v[10:11], null, v[8:9], v[8:9], 1.0
	v_div_scale_f64 v[42:43], vcc_lo, 1.0, v[8:9], 1.0
	v_rcp_f64_e32 v[22:23], v[10:11]
	v_nop
	s_delay_alu instid0(TRANS32_DEP_1) | instskip(NEXT) | instid1(VALU_DEP_1)
	v_fma_f64 v[40:41], -v[10:11], v[22:23], 1.0
	v_fmac_f64_e32 v[22:23], v[22:23], v[40:41]
	s_delay_alu instid0(VALU_DEP_1) | instskip(NEXT) | instid1(VALU_DEP_1)
	v_fma_f64 v[40:41], -v[10:11], v[22:23], 1.0
	v_fmac_f64_e32 v[22:23], v[22:23], v[40:41]
	s_delay_alu instid0(VALU_DEP_1) | instskip(NEXT) | instid1(VALU_DEP_1)
	v_mul_f64_e32 v[40:41], v[42:43], v[22:23]
	v_fma_f64 v[10:11], -v[10:11], v[40:41], v[42:43]
	s_delay_alu instid0(VALU_DEP_1) | instskip(SKIP_1) | instid1(VALU_DEP_2)
	v_div_fmas_f64 v[10:11], v[10:11], v[22:23], v[40:41]
	v_fma_f64 v[22:23], v[20:21], v[26:27], v[24:25]
	v_div_fixup_f64 v[8:9], v[10:11], v[8:9], 1.0
	v_fma_f64 v[10:11], -v[20:21], v[24:25], v[26:27]
	s_delay_alu instid0(VALU_DEP_2) | instskip(NEXT) | instid1(VALU_DEP_2)
	v_mul_f64_e32 v[20:21], v[22:23], v[8:9]
	v_mul_f64_e32 v[22:23], v[10:11], v[8:9]
.LBB228_95:                             ;   in Loop: Header=BB228_81 Depth=2
	s_add_co_i32 s27, s26, 0xfffffe80
	ds_store_b128 v38, v[20:23]
	v_mov_b32_e32 v8, s27
	s_add_co_i32 s27, s26, 0xfffffe70
	s_delay_alu instid0(SALU_CYCLE_1)
	v_mov_b32_e32 v24, s27
	s_add_co_i32 s27, s26, 0xfffffe60
	ds_load_b128 v[8:11], v8
	s_addk_co_i32 s26, 0xfe50
	ds_load_b128 v[24:27], v24
	s_wait_dscnt 0x1
	v_mul_f64_e32 v[40:41], v[14:15], v[10:11]
	v_mul_f64_e32 v[42:43], v[12:13], v[10:11]
	s_wait_dscnt 0x0
	v_mul_f64_e32 v[44:45], v[18:19], v[26:27]
	v_mul_f64_e32 v[26:27], v[16:17], v[26:27]
	s_delay_alu instid0(VALU_DEP_4) | instskip(NEXT) | instid1(VALU_DEP_4)
	v_fma_f64 v[40:41], v[12:13], v[8:9], -v[40:41]
	v_fmac_f64_e32 v[42:43], v[14:15], v[8:9]
	s_delay_alu instid0(VALU_DEP_4) | instskip(NEXT) | instid1(VALU_DEP_4)
	v_dual_fma_f64 v[16:17], v[16:17], v[24:25], -v[44:45] :: v_dual_mov_b32 v8, s27
	v_fmac_f64_e32 v[26:27], v[18:19], v[24:25]
	ds_load_b128 v[12:15], v8
	v_mov_b32_e32 v8, s26
	ds_load_b128 v[8:11], v8
	s_wait_dscnt 0x1
	v_mul_f64_e32 v[46:47], v[22:23], v[14:15]
	v_mul_f64_e32 v[14:15], v[20:21], v[14:15]
	v_add_f64_e64 v[4:5], v[4:5], -v[40:41]
	v_add_f64_e64 v[6:7], v[6:7], -v[42:43]
	s_wait_dscnt 0x0
	v_cmp_ngt_f64_e64 s26, |v[8:9]|, |v[10:11]|
	v_fma_f64 v[18:19], v[20:21], v[12:13], -v[46:47]
	v_fmac_f64_e32 v[14:15], v[22:23], v[12:13]
	v_add_f64_e64 v[4:5], v[4:5], -v[16:17]
	v_add_f64_e64 v[6:7], v[6:7], -v[26:27]
	s_and_b32 vcc_lo, exec_lo, s26
	s_mov_b32 s26, -1
	s_delay_alu instid0(VALU_DEP_2) | instskip(NEXT) | instid1(VALU_DEP_2)
	v_add_f64_e64 v[12:13], v[4:5], -v[18:19]
	v_add_f64_e64 v[14:15], v[6:7], -v[14:15]
                                        ; implicit-def: $vgpr6_vgpr7
	s_cbranch_vccz .LBB228_97
; %bb.96:                               ;   in Loop: Header=BB228_81 Depth=2
	v_div_scale_f64 v[4:5], null, v[10:11], v[10:11], v[8:9]
	v_div_scale_f64 v[18:19], vcc_lo, v[8:9], v[10:11], v[8:9]
	s_mov_b32 s26, 0
	v_rcp_f64_e32 v[6:7], v[4:5]
	v_nop
	s_delay_alu instid0(TRANS32_DEP_1) | instskip(NEXT) | instid1(VALU_DEP_1)
	v_fma_f64 v[16:17], -v[4:5], v[6:7], 1.0
	v_fmac_f64_e32 v[6:7], v[6:7], v[16:17]
	s_delay_alu instid0(VALU_DEP_1) | instskip(NEXT) | instid1(VALU_DEP_1)
	v_fma_f64 v[16:17], -v[4:5], v[6:7], 1.0
	v_fmac_f64_e32 v[6:7], v[6:7], v[16:17]
	s_delay_alu instid0(VALU_DEP_1) | instskip(NEXT) | instid1(VALU_DEP_1)
	v_mul_f64_e32 v[16:17], v[18:19], v[6:7]
	v_fma_f64 v[4:5], -v[4:5], v[16:17], v[18:19]
	s_delay_alu instid0(VALU_DEP_1) | instskip(NEXT) | instid1(VALU_DEP_1)
	v_div_fmas_f64 v[4:5], v[4:5], v[6:7], v[16:17]
	v_div_fixup_f64 v[4:5], v[4:5], v[10:11], v[8:9]
	s_delay_alu instid0(VALU_DEP_1) | instskip(NEXT) | instid1(VALU_DEP_1)
	v_fma_f64 v[6:7], v[8:9], v[4:5], v[10:11]
	v_div_scale_f64 v[16:17], null, v[6:7], v[6:7], 1.0
	v_div_scale_f64 v[22:23], vcc_lo, 1.0, v[6:7], 1.0
	s_delay_alu instid0(VALU_DEP_2) | instskip(SKIP_1) | instid1(TRANS32_DEP_1)
	v_rcp_f64_e32 v[18:19], v[16:17]
	v_nop
	v_fma_f64 v[20:21], -v[16:17], v[18:19], 1.0
	s_delay_alu instid0(VALU_DEP_1) | instskip(NEXT) | instid1(VALU_DEP_1)
	v_fmac_f64_e32 v[18:19], v[18:19], v[20:21]
	v_fma_f64 v[20:21], -v[16:17], v[18:19], 1.0
	s_delay_alu instid0(VALU_DEP_1) | instskip(NEXT) | instid1(VALU_DEP_1)
	v_fmac_f64_e32 v[18:19], v[18:19], v[20:21]
	v_mul_f64_e32 v[20:21], v[22:23], v[18:19]
	s_delay_alu instid0(VALU_DEP_1) | instskip(NEXT) | instid1(VALU_DEP_1)
	v_fma_f64 v[16:17], -v[16:17], v[20:21], v[22:23]
	v_div_fmas_f64 v[16:17], v[16:17], v[18:19], v[20:21]
	v_fma_f64 v[18:19], v[4:5], v[12:13], v[14:15]
	s_delay_alu instid0(VALU_DEP_2) | instskip(SKIP_1) | instid1(VALU_DEP_2)
	v_div_fixup_f64 v[6:7], v[16:17], v[6:7], 1.0
	v_fma_f64 v[16:17], v[4:5], v[14:15], -v[12:13]
	v_mul_f64_e32 v[4:5], v[18:19], v[6:7]
	s_delay_alu instid0(VALU_DEP_2)
	v_mul_f64_e32 v[6:7], v[16:17], v[6:7]
.LBB228_97:                             ;   in Loop: Header=BB228_81 Depth=2
	s_and_not1_b32 vcc_lo, exec_lo, s26
	s_cbranch_vccnz .LBB228_99
; %bb.98:                               ;   in Loop: Header=BB228_81 Depth=2
	v_div_scale_f64 v[4:5], null, v[8:9], v[8:9], v[10:11]
	v_div_scale_f64 v[18:19], vcc_lo, v[10:11], v[8:9], v[10:11]
	s_delay_alu instid0(VALU_DEP_2) | instskip(SKIP_1) | instid1(TRANS32_DEP_1)
	v_rcp_f64_e32 v[6:7], v[4:5]
	v_nop
	v_fma_f64 v[16:17], -v[4:5], v[6:7], 1.0
	s_delay_alu instid0(VALU_DEP_1) | instskip(NEXT) | instid1(VALU_DEP_1)
	v_fmac_f64_e32 v[6:7], v[6:7], v[16:17]
	v_fma_f64 v[16:17], -v[4:5], v[6:7], 1.0
	s_delay_alu instid0(VALU_DEP_1) | instskip(NEXT) | instid1(VALU_DEP_1)
	v_fmac_f64_e32 v[6:7], v[6:7], v[16:17]
	v_mul_f64_e32 v[16:17], v[18:19], v[6:7]
	s_delay_alu instid0(VALU_DEP_1) | instskip(NEXT) | instid1(VALU_DEP_1)
	v_fma_f64 v[4:5], -v[4:5], v[16:17], v[18:19]
	v_div_fmas_f64 v[4:5], v[4:5], v[6:7], v[16:17]
	s_delay_alu instid0(VALU_DEP_1) | instskip(NEXT) | instid1(VALU_DEP_1)
	v_div_fixup_f64 v[4:5], v[4:5], v[8:9], v[10:11]
	v_fmac_f64_e32 v[8:9], v[10:11], v[4:5]
	s_delay_alu instid0(VALU_DEP_1) | instskip(SKIP_1) | instid1(VALU_DEP_2)
	v_div_scale_f64 v[6:7], null, v[8:9], v[8:9], 1.0
	v_div_scale_f64 v[18:19], vcc_lo, 1.0, v[8:9], 1.0
	v_rcp_f64_e32 v[10:11], v[6:7]
	v_nop
	s_delay_alu instid0(TRANS32_DEP_1) | instskip(NEXT) | instid1(VALU_DEP_1)
	v_fma_f64 v[16:17], -v[6:7], v[10:11], 1.0
	v_fmac_f64_e32 v[10:11], v[10:11], v[16:17]
	s_delay_alu instid0(VALU_DEP_1) | instskip(NEXT) | instid1(VALU_DEP_1)
	v_fma_f64 v[16:17], -v[6:7], v[10:11], 1.0
	v_fmac_f64_e32 v[10:11], v[10:11], v[16:17]
	s_delay_alu instid0(VALU_DEP_1) | instskip(NEXT) | instid1(VALU_DEP_1)
	v_mul_f64_e32 v[16:17], v[18:19], v[10:11]
	v_fma_f64 v[6:7], -v[6:7], v[16:17], v[18:19]
	s_delay_alu instid0(VALU_DEP_1) | instskip(SKIP_1) | instid1(VALU_DEP_2)
	v_div_fmas_f64 v[6:7], v[6:7], v[10:11], v[16:17]
	v_fma_f64 v[10:11], v[4:5], v[14:15], v[12:13]
	v_div_fixup_f64 v[6:7], v[6:7], v[8:9], 1.0
	v_fma_f64 v[8:9], -v[4:5], v[12:13], v[14:15]
	s_delay_alu instid0(VALU_DEP_2) | instskip(NEXT) | instid1(VALU_DEP_2)
	v_mul_f64_e32 v[4:5], v[10:11], v[6:7]
	v_mul_f64_e32 v[6:7], v[8:9], v[6:7]
.LBB228_99:                             ;   in Loop: Header=BB228_81 Depth=2
	s_add_co_i32 s26, s25, -4
	s_addk_co_i32 s24, 0xfa00
	s_cmp_lt_i32 s25, 7
	ds_store_b128 v37, v[4:7]
	s_cbranch_scc1 .LBB228_101
; %bb.100:                              ;   in Loop: Header=BB228_81 Depth=2
	s_mov_b32 s25, s26
	s_branch .LBB228_81
.LBB228_101:                            ;   in Loop: Header=BB228_3 Depth=1
	s_cmp_lt_i32 s26, 0
	s_cbranch_scc1 .LBB228_110
; %bb.102:                              ;   in Loop: Header=BB228_3 Depth=1
	s_mul_i32 s24, s26, 0x180
	s_delay_alu instid0(SALU_CYCLE_1)
	s_add_co_i32 s24, s21, s24
	s_branch .LBB228_104
.LBB228_103:                            ;   in Loop: Header=BB228_104 Depth=2
	v_sub_co_u32 v4, s25, s26, 1
	s_and_b32 vcc_lo, exec_lo, s25
	s_addk_co_i32 s24, 0xfe80
	ds_store_b128 v16, v[12:15]
	v_readfirstlane_b32 s26, v4
	s_cbranch_vccnz .LBB228_110
.LBB228_104:                            ;   Parent Loop BB228_3 Depth=1
                                        ; =>  This Loop Header: Depth=2
                                        ;       Child Loop BB228_105 Depth 3
	v_mad_u32 v16, 0x180, s26, v34
	v_mov_b32_e32 v8, v35
	s_cmp_le_i32 s30, s26
	s_mov_b32 s25, s24
	s_mov_b32 s27, s30
	ds_load_b128 v[4:7], v16
	s_cbranch_scc1 .LBB228_106
.LBB228_105:                            ;   Parent Loop BB228_3 Depth=1
                                        ;     Parent Loop BB228_104 Depth=2
                                        ; =>    This Inner Loop Header: Depth=3
	v_mov_b32_e32 v9, s25
	s_add_co_i32 s27, s27, -1
	s_add_co_i32 s25, s25, -16
	s_cmp_le_u32 s27, s26
	ds_load_b128 v[10:13], v8
	ds_load_b128 v[18:21], v9
	v_add_nc_u32_e32 v8, 0xfffffe80, v8
	s_wait_dscnt 0x0
	v_mul_f64_e32 v[14:15], v[20:21], v[12:13]
	v_mul_f64_e32 v[12:13], v[18:19], v[12:13]
	s_delay_alu instid0(VALU_DEP_2) | instskip(NEXT) | instid1(VALU_DEP_2)
	v_fma_f64 v[14:15], v[18:19], v[10:11], -v[14:15]
	v_fmac_f64_e32 v[12:13], v[20:21], v[10:11]
	s_delay_alu instid0(VALU_DEP_2) | instskip(NEXT) | instid1(VALU_DEP_2)
	v_add_f64_e64 v[4:5], v[4:5], -v[14:15]
	v_add_f64_e64 v[6:7], v[6:7], -v[12:13]
	s_cbranch_scc0 .LBB228_105
.LBB228_106:                            ;   in Loop: Header=BB228_104 Depth=2
	s_mul_i32 s25, s26, 0x190
                                        ; implicit-def: $vgpr12_vgpr13
	s_delay_alu instid0(SALU_CYCLE_1)
	v_mov_b32_e32 v8, s25
	ds_load_b128 v[8:11], v8
	s_wait_dscnt 0x0
	v_cmp_ngt_f64_e64 s25, |v[8:9]|, |v[10:11]|
	s_and_b32 vcc_lo, exec_lo, s25
	s_mov_b32 s25, -1
	s_cbranch_vccz .LBB228_108
; %bb.107:                              ;   in Loop: Header=BB228_104 Depth=2
	v_div_scale_f64 v[12:13], null, v[10:11], v[10:11], v[8:9]
	v_div_scale_f64 v[20:21], vcc_lo, v[8:9], v[10:11], v[8:9]
	s_mov_b32 s25, 0
	v_rcp_f64_e32 v[14:15], v[12:13]
	v_nop
	s_delay_alu instid0(TRANS32_DEP_1) | instskip(NEXT) | instid1(VALU_DEP_1)
	v_fma_f64 v[18:19], -v[12:13], v[14:15], 1.0
	v_fmac_f64_e32 v[14:15], v[14:15], v[18:19]
	s_delay_alu instid0(VALU_DEP_1) | instskip(NEXT) | instid1(VALU_DEP_1)
	v_fma_f64 v[18:19], -v[12:13], v[14:15], 1.0
	v_fmac_f64_e32 v[14:15], v[14:15], v[18:19]
	s_delay_alu instid0(VALU_DEP_1) | instskip(NEXT) | instid1(VALU_DEP_1)
	v_mul_f64_e32 v[18:19], v[20:21], v[14:15]
	v_fma_f64 v[12:13], -v[12:13], v[18:19], v[20:21]
	s_delay_alu instid0(VALU_DEP_1) | instskip(NEXT) | instid1(VALU_DEP_1)
	v_div_fmas_f64 v[12:13], v[12:13], v[14:15], v[18:19]
	v_div_fixup_f64 v[12:13], v[12:13], v[10:11], v[8:9]
	s_delay_alu instid0(VALU_DEP_1) | instskip(NEXT) | instid1(VALU_DEP_1)
	v_fma_f64 v[14:15], v[8:9], v[12:13], v[10:11]
	v_div_scale_f64 v[18:19], null, v[14:15], v[14:15], 1.0
	v_div_scale_f64 v[24:25], vcc_lo, 1.0, v[14:15], 1.0
	s_delay_alu instid0(VALU_DEP_2) | instskip(SKIP_1) | instid1(TRANS32_DEP_1)
	v_rcp_f64_e32 v[20:21], v[18:19]
	v_nop
	v_fma_f64 v[22:23], -v[18:19], v[20:21], 1.0
	s_delay_alu instid0(VALU_DEP_1) | instskip(NEXT) | instid1(VALU_DEP_1)
	v_fmac_f64_e32 v[20:21], v[20:21], v[22:23]
	v_fma_f64 v[22:23], -v[18:19], v[20:21], 1.0
	s_delay_alu instid0(VALU_DEP_1) | instskip(NEXT) | instid1(VALU_DEP_1)
	v_fmac_f64_e32 v[20:21], v[20:21], v[22:23]
	v_mul_f64_e32 v[22:23], v[24:25], v[20:21]
	s_delay_alu instid0(VALU_DEP_1) | instskip(NEXT) | instid1(VALU_DEP_1)
	v_fma_f64 v[18:19], -v[18:19], v[22:23], v[24:25]
	v_div_fmas_f64 v[18:19], v[18:19], v[20:21], v[22:23]
	v_fma_f64 v[20:21], v[4:5], v[12:13], v[6:7]
	s_delay_alu instid0(VALU_DEP_2) | instskip(SKIP_1) | instid1(VALU_DEP_2)
	v_div_fixup_f64 v[14:15], v[18:19], v[14:15], 1.0
	v_fma_f64 v[18:19], v[6:7], v[12:13], -v[4:5]
	v_mul_f64_e32 v[12:13], v[20:21], v[14:15]
	s_delay_alu instid0(VALU_DEP_2)
	v_mul_f64_e32 v[14:15], v[18:19], v[14:15]
.LBB228_108:                            ;   in Loop: Header=BB228_104 Depth=2
	s_and_not1_b32 vcc_lo, exec_lo, s25
	s_cbranch_vccnz .LBB228_103
; %bb.109:                              ;   in Loop: Header=BB228_104 Depth=2
	v_div_scale_f64 v[12:13], null, v[8:9], v[8:9], v[10:11]
	v_div_scale_f64 v[20:21], vcc_lo, v[10:11], v[8:9], v[10:11]
	s_delay_alu instid0(VALU_DEP_2) | instskip(SKIP_1) | instid1(TRANS32_DEP_1)
	v_rcp_f64_e32 v[14:15], v[12:13]
	v_nop
	v_fma_f64 v[18:19], -v[12:13], v[14:15], 1.0
	s_delay_alu instid0(VALU_DEP_1) | instskip(NEXT) | instid1(VALU_DEP_1)
	v_fmac_f64_e32 v[14:15], v[14:15], v[18:19]
	v_fma_f64 v[18:19], -v[12:13], v[14:15], 1.0
	s_delay_alu instid0(VALU_DEP_1) | instskip(NEXT) | instid1(VALU_DEP_1)
	v_fmac_f64_e32 v[14:15], v[14:15], v[18:19]
	v_mul_f64_e32 v[18:19], v[20:21], v[14:15]
	s_delay_alu instid0(VALU_DEP_1) | instskip(NEXT) | instid1(VALU_DEP_1)
	v_fma_f64 v[12:13], -v[12:13], v[18:19], v[20:21]
	v_div_fmas_f64 v[12:13], v[12:13], v[14:15], v[18:19]
	s_delay_alu instid0(VALU_DEP_1) | instskip(NEXT) | instid1(VALU_DEP_1)
	v_div_fixup_f64 v[12:13], v[12:13], v[8:9], v[10:11]
	v_fmac_f64_e32 v[8:9], v[10:11], v[12:13]
	s_delay_alu instid0(VALU_DEP_1) | instskip(SKIP_1) | instid1(VALU_DEP_2)
	v_div_scale_f64 v[10:11], null, v[8:9], v[8:9], 1.0
	v_div_scale_f64 v[20:21], vcc_lo, 1.0, v[8:9], 1.0
	v_rcp_f64_e32 v[14:15], v[10:11]
	v_nop
	s_delay_alu instid0(TRANS32_DEP_1) | instskip(NEXT) | instid1(VALU_DEP_1)
	v_fma_f64 v[18:19], -v[10:11], v[14:15], 1.0
	v_fmac_f64_e32 v[14:15], v[14:15], v[18:19]
	s_delay_alu instid0(VALU_DEP_1) | instskip(NEXT) | instid1(VALU_DEP_1)
	v_fma_f64 v[18:19], -v[10:11], v[14:15], 1.0
	v_fmac_f64_e32 v[14:15], v[14:15], v[18:19]
	s_delay_alu instid0(VALU_DEP_1) | instskip(NEXT) | instid1(VALU_DEP_1)
	v_mul_f64_e32 v[18:19], v[20:21], v[14:15]
	v_fma_f64 v[10:11], -v[10:11], v[18:19], v[20:21]
	s_delay_alu instid0(VALU_DEP_1) | instskip(SKIP_2) | instid1(VALU_DEP_3)
	v_div_fmas_f64 v[10:11], v[10:11], v[14:15], v[18:19]
	v_fma_f64 v[14:15], v[6:7], v[12:13], v[4:5]
	v_fma_f64 v[4:5], -v[4:5], v[12:13], v[6:7]
	v_div_fixup_f64 v[8:9], v[10:11], v[8:9], 1.0
	s_delay_alu instid0(VALU_DEP_1) | instskip(NEXT) | instid1(VALU_DEP_3)
	v_mul_f64_e32 v[12:13], v[14:15], v[8:9]
	v_mul_f64_e32 v[14:15], v[4:5], v[8:9]
	s_branch .LBB228_103
.LBB228_110:                            ;   in Loop: Header=BB228_3 Depth=1
	s_mov_b32 s24, 0
.LBB228_111:                            ;   in Loop: Header=BB228_3 Depth=1
	s_delay_alu instid0(SALU_CYCLE_1)
	s_and_not1_b32 vcc_lo, exec_lo, s24
	s_cbranch_vccnz .LBB228_143
; %bb.112:                              ;   in Loop: Header=BB228_3 Depth=1
	s_and_not1_b32 vcc_lo, exec_lo, s34
	s_mov_b32 s26, 0
	s_cbranch_vccnz .LBB228_134
; %bb.113:                              ;   in Loop: Header=BB228_3 Depth=1
	s_mov_b32 s24, 0
	s_mov_b32 s25, 0
.LBB228_114:                            ;   Parent Loop BB228_3 Depth=1
                                        ; =>  This Loop Header: Depth=2
                                        ;       Child Loop BB228_115 Depth 3
	s_delay_alu instid0(SALU_CYCLE_1)
	s_mul_i32 s26, s25, 24
	v_mov_b32_e32 v12, v34
	v_lshl_add_u32 v37, s26, 4, v34
	s_cmp_eq_u32 s25, 0
	s_mov_b32 s27, s24
	s_mov_b32 s36, s25
	ds_load_b128 v[20:23], v37
	ds_load_b128 v[16:19], v37 offset:384
	ds_load_b128 v[8:11], v37 offset:768
	;; [unrolled: 1-line block ×3, first 2 shown]
	s_cbranch_scc1 .LBB228_116
.LBB228_115:                            ;   Parent Loop BB228_3 Depth=1
                                        ;     Parent Loop BB228_114 Depth=2
                                        ; =>    This Inner Loop Header: Depth=3
	v_mov_b32_e32 v13, s27
	s_add_co_i32 s36, s36, -1
	s_add_co_i32 s27, s27, 16
	s_cmp_eq_u32 s36, 0
	ds_load_b128 v[24:27], v12
	ds_load_b128 v[38:41], v13
	ds_load_b128 v[42:45], v13 offset:384
	ds_load_b128 v[46:49], v13 offset:768
	ds_load_b128 v[50:53], v13 offset:1152
	v_add_nc_u32_e32 v12, 0x180, v12
	s_wait_dscnt 0x3
	v_mul_f64_e32 v[14:15], v[26:27], v[40:41]
	v_mul_f64_e32 v[40:41], v[24:25], v[40:41]
	s_wait_dscnt 0x2
	v_mul_f64_e32 v[54:55], v[26:27], v[44:45]
	v_mul_f64_e32 v[44:45], v[24:25], v[44:45]
	;; [unrolled: 3-line block ×4, first 2 shown]
	v_fma_f64 v[14:15], v[24:25], v[38:39], -v[14:15]
	v_fmac_f64_e32 v[40:41], v[26:27], v[38:39]
	v_fma_f64 v[38:39], v[24:25], v[42:43], -v[54:55]
	v_fmac_f64_e32 v[44:45], v[26:27], v[42:43]
	;; [unrolled: 2-line block ×4, first 2 shown]
	v_add_f64_e64 v[20:21], v[20:21], -v[14:15]
	v_add_f64_e64 v[22:23], v[22:23], -v[40:41]
	;; [unrolled: 1-line block ×8, first 2 shown]
	s_cbranch_scc0 .LBB228_115
.LBB228_116:                            ;   in Loop: Header=BB228_114 Depth=2
	s_mul_i32 s27, s25, 0x190
	s_delay_alu instid0(SALU_CYCLE_1)
	v_mov_b32_e32 v12, s27
	ds_load_b128 v[24:27], v12
                                        ; implicit-def: $vgpr14_vgpr15
	s_wait_dscnt 0x0
	v_cmp_ngt_f64_e64 s27, |v[24:25]|, |v[26:27]|
	s_and_b32 vcc_lo, exec_lo, s27
	s_mov_b32 s27, -1
	s_cbranch_vccz .LBB228_118
; %bb.117:                              ;   in Loop: Header=BB228_114 Depth=2
	v_div_scale_f64 v[12:13], null, v[26:27], v[26:27], v[24:25]
	v_div_scale_f64 v[40:41], vcc_lo, v[24:25], v[26:27], v[24:25]
	s_mov_b32 s27, 0
	v_rcp_f64_e32 v[14:15], v[12:13]
	v_nop
	s_delay_alu instid0(TRANS32_DEP_1) | instskip(NEXT) | instid1(VALU_DEP_1)
	v_fma_f64 v[38:39], -v[12:13], v[14:15], 1.0
	v_fmac_f64_e32 v[14:15], v[14:15], v[38:39]
	s_delay_alu instid0(VALU_DEP_1) | instskip(NEXT) | instid1(VALU_DEP_1)
	v_fma_f64 v[38:39], -v[12:13], v[14:15], 1.0
	v_fmac_f64_e32 v[14:15], v[14:15], v[38:39]
	s_delay_alu instid0(VALU_DEP_1) | instskip(NEXT) | instid1(VALU_DEP_1)
	v_mul_f64_e32 v[38:39], v[40:41], v[14:15]
	v_fma_f64 v[12:13], -v[12:13], v[38:39], v[40:41]
	s_delay_alu instid0(VALU_DEP_1) | instskip(NEXT) | instid1(VALU_DEP_1)
	v_div_fmas_f64 v[12:13], v[12:13], v[14:15], v[38:39]
	v_div_fixup_f64 v[12:13], v[12:13], v[26:27], v[24:25]
	s_delay_alu instid0(VALU_DEP_1) | instskip(NEXT) | instid1(VALU_DEP_1)
	v_fma_f64 v[14:15], v[24:25], v[12:13], v[26:27]
	v_div_scale_f64 v[38:39], null, v[14:15], v[14:15], 1.0
	v_div_scale_f64 v[44:45], vcc_lo, 1.0, v[14:15], 1.0
	s_delay_alu instid0(VALU_DEP_2) | instskip(SKIP_1) | instid1(TRANS32_DEP_1)
	v_rcp_f64_e32 v[40:41], v[38:39]
	v_nop
	v_fma_f64 v[42:43], -v[38:39], v[40:41], 1.0
	s_delay_alu instid0(VALU_DEP_1) | instskip(NEXT) | instid1(VALU_DEP_1)
	v_fmac_f64_e32 v[40:41], v[40:41], v[42:43]
	v_fma_f64 v[42:43], -v[38:39], v[40:41], 1.0
	s_delay_alu instid0(VALU_DEP_1) | instskip(NEXT) | instid1(VALU_DEP_1)
	v_fmac_f64_e32 v[40:41], v[40:41], v[42:43]
	v_mul_f64_e32 v[42:43], v[44:45], v[40:41]
	s_delay_alu instid0(VALU_DEP_1) | instskip(NEXT) | instid1(VALU_DEP_1)
	v_fma_f64 v[38:39], -v[38:39], v[42:43], v[44:45]
	v_div_fmas_f64 v[38:39], v[38:39], v[40:41], v[42:43]
	v_fma_f64 v[40:41], v[20:21], v[12:13], v[22:23]
	s_delay_alu instid0(VALU_DEP_2) | instskip(SKIP_1) | instid1(VALU_DEP_2)
	v_div_fixup_f64 v[14:15], v[38:39], v[14:15], 1.0
	v_fma_f64 v[38:39], v[22:23], v[12:13], -v[20:21]
	v_mul_f64_e32 v[12:13], v[40:41], v[14:15]
	s_delay_alu instid0(VALU_DEP_2)
	v_mul_f64_e32 v[14:15], v[38:39], v[14:15]
.LBB228_118:                            ;   in Loop: Header=BB228_114 Depth=2
	s_and_not1_b32 vcc_lo, exec_lo, s27
	s_cbranch_vccnz .LBB228_120
; %bb.119:                              ;   in Loop: Header=BB228_114 Depth=2
	v_div_scale_f64 v[12:13], null, v[24:25], v[24:25], v[26:27]
	v_div_scale_f64 v[40:41], vcc_lo, v[26:27], v[24:25], v[26:27]
	s_delay_alu instid0(VALU_DEP_2) | instskip(SKIP_1) | instid1(TRANS32_DEP_1)
	v_rcp_f64_e32 v[14:15], v[12:13]
	v_nop
	v_fma_f64 v[38:39], -v[12:13], v[14:15], 1.0
	s_delay_alu instid0(VALU_DEP_1) | instskip(NEXT) | instid1(VALU_DEP_1)
	v_fmac_f64_e32 v[14:15], v[14:15], v[38:39]
	v_fma_f64 v[38:39], -v[12:13], v[14:15], 1.0
	s_delay_alu instid0(VALU_DEP_1) | instskip(NEXT) | instid1(VALU_DEP_1)
	v_fmac_f64_e32 v[14:15], v[14:15], v[38:39]
	v_mul_f64_e32 v[38:39], v[40:41], v[14:15]
	s_delay_alu instid0(VALU_DEP_1) | instskip(NEXT) | instid1(VALU_DEP_1)
	v_fma_f64 v[12:13], -v[12:13], v[38:39], v[40:41]
	v_div_fmas_f64 v[12:13], v[12:13], v[14:15], v[38:39]
	s_delay_alu instid0(VALU_DEP_1) | instskip(NEXT) | instid1(VALU_DEP_1)
	v_div_fixup_f64 v[12:13], v[12:13], v[24:25], v[26:27]
	v_fmac_f64_e32 v[24:25], v[26:27], v[12:13]
	s_delay_alu instid0(VALU_DEP_1) | instskip(SKIP_1) | instid1(VALU_DEP_2)
	v_div_scale_f64 v[14:15], null, v[24:25], v[24:25], 1.0
	v_div_scale_f64 v[40:41], vcc_lo, 1.0, v[24:25], 1.0
	v_rcp_f64_e32 v[26:27], v[14:15]
	v_nop
	s_delay_alu instid0(TRANS32_DEP_1) | instskip(NEXT) | instid1(VALU_DEP_1)
	v_fma_f64 v[38:39], -v[14:15], v[26:27], 1.0
	v_fmac_f64_e32 v[26:27], v[26:27], v[38:39]
	s_delay_alu instid0(VALU_DEP_1) | instskip(NEXT) | instid1(VALU_DEP_1)
	v_fma_f64 v[38:39], -v[14:15], v[26:27], 1.0
	v_fmac_f64_e32 v[26:27], v[26:27], v[38:39]
	s_delay_alu instid0(VALU_DEP_1) | instskip(NEXT) | instid1(VALU_DEP_1)
	v_mul_f64_e32 v[38:39], v[40:41], v[26:27]
	v_fma_f64 v[14:15], -v[14:15], v[38:39], v[40:41]
	s_delay_alu instid0(VALU_DEP_1) | instskip(SKIP_2) | instid1(VALU_DEP_3)
	v_div_fmas_f64 v[14:15], v[14:15], v[26:27], v[38:39]
	v_fma_f64 v[26:27], v[22:23], v[12:13], v[20:21]
	v_fma_f64 v[20:21], -v[20:21], v[12:13], v[22:23]
	v_div_fixup_f64 v[14:15], v[14:15], v[24:25], 1.0
	s_delay_alu instid0(VALU_DEP_1) | instskip(NEXT) | instid1(VALU_DEP_3)
	v_mul_f64_e32 v[12:13], v[26:27], v[14:15]
	v_mul_f64_e32 v[14:15], v[20:21], v[14:15]
.LBB228_120:                            ;   in Loop: Header=BB228_114 Depth=2
	s_lshl_b32 s27, s26, 4
	s_lshl_b32 s26, s25, 4
	s_addk_co_i32 s27, 0x180
	s_delay_alu instid0(SALU_CYCLE_1) | instskip(NEXT) | instid1(SALU_CYCLE_1)
	s_add_co_i32 s36, s27, s26
	v_mov_b32_e32 v20, s36
	ds_load_b128 v[24:27], v20
	ds_load_b128 v[20:23], v20 offset:16
	ds_store_b128 v37, v[12:15]
	s_wait_dscnt 0x2
	v_mul_f64_e32 v[38:39], v[14:15], v[26:27]
	v_mul_f64_e32 v[26:27], v[12:13], v[26:27]
	s_wait_dscnt 0x1
	v_cmp_ngt_f64_e64 s36, |v[20:21]|, |v[22:23]|
	s_delay_alu instid0(VALU_DEP_3) | instskip(NEXT) | instid1(VALU_DEP_3)
	v_fma_f64 v[38:39], v[12:13], v[24:25], -v[38:39]
	v_fmac_f64_e32 v[26:27], v[14:15], v[24:25]
	s_and_b32 vcc_lo, exec_lo, s36
	s_mov_b32 s36, -1
	s_delay_alu instid0(VALU_DEP_2) | instskip(NEXT) | instid1(VALU_DEP_2)
	v_add_f64_e64 v[24:25], v[16:17], -v[38:39]
	v_add_f64_e64 v[26:27], v[18:19], -v[26:27]
                                        ; implicit-def: $vgpr18_vgpr19
	s_cbranch_vccz .LBB228_122
; %bb.121:                              ;   in Loop: Header=BB228_114 Depth=2
	v_div_scale_f64 v[16:17], null, v[22:23], v[22:23], v[20:21]
	v_div_scale_f64 v[40:41], vcc_lo, v[20:21], v[22:23], v[20:21]
	s_mov_b32 s36, 0
	v_rcp_f64_e32 v[18:19], v[16:17]
	v_nop
	s_delay_alu instid0(TRANS32_DEP_1) | instskip(NEXT) | instid1(VALU_DEP_1)
	v_fma_f64 v[38:39], -v[16:17], v[18:19], 1.0
	v_fmac_f64_e32 v[18:19], v[18:19], v[38:39]
	s_delay_alu instid0(VALU_DEP_1) | instskip(NEXT) | instid1(VALU_DEP_1)
	v_fma_f64 v[38:39], -v[16:17], v[18:19], 1.0
	v_fmac_f64_e32 v[18:19], v[18:19], v[38:39]
	s_delay_alu instid0(VALU_DEP_1) | instskip(NEXT) | instid1(VALU_DEP_1)
	v_mul_f64_e32 v[38:39], v[40:41], v[18:19]
	v_fma_f64 v[16:17], -v[16:17], v[38:39], v[40:41]
	s_delay_alu instid0(VALU_DEP_1) | instskip(NEXT) | instid1(VALU_DEP_1)
	v_div_fmas_f64 v[16:17], v[16:17], v[18:19], v[38:39]
	v_div_fixup_f64 v[16:17], v[16:17], v[22:23], v[20:21]
	s_delay_alu instid0(VALU_DEP_1) | instskip(NEXT) | instid1(VALU_DEP_1)
	v_fma_f64 v[18:19], v[20:21], v[16:17], v[22:23]
	v_div_scale_f64 v[38:39], null, v[18:19], v[18:19], 1.0
	v_div_scale_f64 v[44:45], vcc_lo, 1.0, v[18:19], 1.0
	s_delay_alu instid0(VALU_DEP_2) | instskip(SKIP_1) | instid1(TRANS32_DEP_1)
	v_rcp_f64_e32 v[40:41], v[38:39]
	v_nop
	v_fma_f64 v[42:43], -v[38:39], v[40:41], 1.0
	s_delay_alu instid0(VALU_DEP_1) | instskip(NEXT) | instid1(VALU_DEP_1)
	v_fmac_f64_e32 v[40:41], v[40:41], v[42:43]
	v_fma_f64 v[42:43], -v[38:39], v[40:41], 1.0
	s_delay_alu instid0(VALU_DEP_1) | instskip(NEXT) | instid1(VALU_DEP_1)
	v_fmac_f64_e32 v[40:41], v[40:41], v[42:43]
	v_mul_f64_e32 v[42:43], v[44:45], v[40:41]
	s_delay_alu instid0(VALU_DEP_1) | instskip(NEXT) | instid1(VALU_DEP_1)
	v_fma_f64 v[38:39], -v[38:39], v[42:43], v[44:45]
	v_div_fmas_f64 v[38:39], v[38:39], v[40:41], v[42:43]
	v_fma_f64 v[40:41], v[16:17], v[24:25], v[26:27]
	s_delay_alu instid0(VALU_DEP_2) | instskip(SKIP_1) | instid1(VALU_DEP_2)
	v_div_fixup_f64 v[18:19], v[38:39], v[18:19], 1.0
	v_fma_f64 v[38:39], v[16:17], v[26:27], -v[24:25]
	v_mul_f64_e32 v[16:17], v[40:41], v[18:19]
	s_delay_alu instid0(VALU_DEP_2)
	v_mul_f64_e32 v[18:19], v[38:39], v[18:19]
.LBB228_122:                            ;   in Loop: Header=BB228_114 Depth=2
	s_and_not1_b32 vcc_lo, exec_lo, s36
	s_cbranch_vccnz .LBB228_124
; %bb.123:                              ;   in Loop: Header=BB228_114 Depth=2
	v_div_scale_f64 v[16:17], null, v[20:21], v[20:21], v[22:23]
	v_div_scale_f64 v[40:41], vcc_lo, v[22:23], v[20:21], v[22:23]
	s_delay_alu instid0(VALU_DEP_2) | instskip(SKIP_1) | instid1(TRANS32_DEP_1)
	v_rcp_f64_e32 v[18:19], v[16:17]
	v_nop
	v_fma_f64 v[38:39], -v[16:17], v[18:19], 1.0
	s_delay_alu instid0(VALU_DEP_1) | instskip(NEXT) | instid1(VALU_DEP_1)
	v_fmac_f64_e32 v[18:19], v[18:19], v[38:39]
	v_fma_f64 v[38:39], -v[16:17], v[18:19], 1.0
	s_delay_alu instid0(VALU_DEP_1) | instskip(NEXT) | instid1(VALU_DEP_1)
	v_fmac_f64_e32 v[18:19], v[18:19], v[38:39]
	v_mul_f64_e32 v[38:39], v[40:41], v[18:19]
	s_delay_alu instid0(VALU_DEP_1) | instskip(NEXT) | instid1(VALU_DEP_1)
	v_fma_f64 v[16:17], -v[16:17], v[38:39], v[40:41]
	v_div_fmas_f64 v[16:17], v[16:17], v[18:19], v[38:39]
	s_delay_alu instid0(VALU_DEP_1) | instskip(NEXT) | instid1(VALU_DEP_1)
	v_div_fixup_f64 v[16:17], v[16:17], v[20:21], v[22:23]
	v_fmac_f64_e32 v[20:21], v[22:23], v[16:17]
	s_delay_alu instid0(VALU_DEP_1) | instskip(SKIP_1) | instid1(VALU_DEP_2)
	v_div_scale_f64 v[18:19], null, v[20:21], v[20:21], 1.0
	v_div_scale_f64 v[40:41], vcc_lo, 1.0, v[20:21], 1.0
	v_rcp_f64_e32 v[22:23], v[18:19]
	v_nop
	s_delay_alu instid0(TRANS32_DEP_1) | instskip(NEXT) | instid1(VALU_DEP_1)
	v_fma_f64 v[38:39], -v[18:19], v[22:23], 1.0
	v_fmac_f64_e32 v[22:23], v[22:23], v[38:39]
	s_delay_alu instid0(VALU_DEP_1) | instskip(NEXT) | instid1(VALU_DEP_1)
	v_fma_f64 v[38:39], -v[18:19], v[22:23], 1.0
	v_fmac_f64_e32 v[22:23], v[22:23], v[38:39]
	s_delay_alu instid0(VALU_DEP_1) | instskip(NEXT) | instid1(VALU_DEP_1)
	v_mul_f64_e32 v[38:39], v[40:41], v[22:23]
	v_fma_f64 v[18:19], -v[18:19], v[38:39], v[40:41]
	s_delay_alu instid0(VALU_DEP_1) | instskip(SKIP_1) | instid1(VALU_DEP_2)
	v_div_fmas_f64 v[18:19], v[18:19], v[22:23], v[38:39]
	v_fma_f64 v[22:23], v[16:17], v[26:27], v[24:25]
	v_div_fixup_f64 v[18:19], v[18:19], v[20:21], 1.0
	v_fma_f64 v[20:21], -v[16:17], v[24:25], v[26:27]
	s_delay_alu instid0(VALU_DEP_2) | instskip(NEXT) | instid1(VALU_DEP_2)
	v_mul_f64_e32 v[16:17], v[22:23], v[18:19]
	v_mul_f64_e32 v[18:19], v[20:21], v[18:19]
.LBB228_124:                            ;   in Loop: Header=BB228_114 Depth=2
	s_addk_co_i32 s27, 0x180
	s_delay_alu instid0(SALU_CYCLE_1) | instskip(NEXT) | instid1(SALU_CYCLE_1)
	s_add_co_i32 s26, s27, s26
	v_mov_b32_e32 v42, s26
	ds_load_b128 v[20:23], v42
	ds_load_b128 v[24:27], v42 offset:16
	ds_store_b128 v37, v[16:19] offset:384
	s_wait_dscnt 0x2
	v_mul_f64_e32 v[38:39], v[14:15], v[22:23]
	v_mul_f64_e32 v[22:23], v[12:13], v[22:23]
	s_wait_dscnt 0x1
	v_mul_f64_e32 v[40:41], v[18:19], v[26:27]
	v_mul_f64_e32 v[26:27], v[16:17], v[26:27]
	s_delay_alu instid0(VALU_DEP_4) | instskip(NEXT) | instid1(VALU_DEP_4)
	v_fma_f64 v[38:39], v[12:13], v[20:21], -v[38:39]
	v_fmac_f64_e32 v[22:23], v[14:15], v[20:21]
	s_delay_alu instid0(VALU_DEP_4) | instskip(NEXT) | instid1(VALU_DEP_4)
	v_fma_f64 v[20:21], v[16:17], v[24:25], -v[40:41]
	v_fmac_f64_e32 v[26:27], v[18:19], v[24:25]
	s_delay_alu instid0(VALU_DEP_4) | instskip(NEXT) | instid1(VALU_DEP_4)
	v_add_f64_e64 v[24:25], v[8:9], -v[38:39]
	v_add_f64_e64 v[22:23], v[10:11], -v[22:23]
	ds_load_b128 v[8:11], v42 offset:32
	s_wait_dscnt 0x0
	v_cmp_ngt_f64_e64 s27, |v[8:9]|, |v[10:11]|
	v_add_f64_e64 v[24:25], v[24:25], -v[20:21]
	v_add_f64_e64 v[26:27], v[22:23], -v[26:27]
                                        ; implicit-def: $vgpr22_vgpr23
	s_and_b32 vcc_lo, exec_lo, s27
	s_mov_b32 s27, -1
	s_cbranch_vccz .LBB228_126
; %bb.125:                              ;   in Loop: Header=BB228_114 Depth=2
	v_div_scale_f64 v[20:21], null, v[10:11], v[10:11], v[8:9]
	v_div_scale_f64 v[40:41], vcc_lo, v[8:9], v[10:11], v[8:9]
	s_mov_b32 s27, 0
	v_rcp_f64_e32 v[22:23], v[20:21]
	v_nop
	s_delay_alu instid0(TRANS32_DEP_1) | instskip(NEXT) | instid1(VALU_DEP_1)
	v_fma_f64 v[38:39], -v[20:21], v[22:23], 1.0
	v_fmac_f64_e32 v[22:23], v[22:23], v[38:39]
	s_delay_alu instid0(VALU_DEP_1) | instskip(NEXT) | instid1(VALU_DEP_1)
	v_fma_f64 v[38:39], -v[20:21], v[22:23], 1.0
	v_fmac_f64_e32 v[22:23], v[22:23], v[38:39]
	s_delay_alu instid0(VALU_DEP_1) | instskip(NEXT) | instid1(VALU_DEP_1)
	v_mul_f64_e32 v[38:39], v[40:41], v[22:23]
	v_fma_f64 v[20:21], -v[20:21], v[38:39], v[40:41]
	s_delay_alu instid0(VALU_DEP_1) | instskip(NEXT) | instid1(VALU_DEP_1)
	v_div_fmas_f64 v[20:21], v[20:21], v[22:23], v[38:39]
	v_div_fixup_f64 v[20:21], v[20:21], v[10:11], v[8:9]
	s_delay_alu instid0(VALU_DEP_1) | instskip(NEXT) | instid1(VALU_DEP_1)
	v_fma_f64 v[22:23], v[8:9], v[20:21], v[10:11]
	v_div_scale_f64 v[38:39], null, v[22:23], v[22:23], 1.0
	v_div_scale_f64 v[44:45], vcc_lo, 1.0, v[22:23], 1.0
	s_delay_alu instid0(VALU_DEP_2) | instskip(SKIP_1) | instid1(TRANS32_DEP_1)
	v_rcp_f64_e32 v[40:41], v[38:39]
	v_nop
	v_fma_f64 v[42:43], -v[38:39], v[40:41], 1.0
	s_delay_alu instid0(VALU_DEP_1) | instskip(NEXT) | instid1(VALU_DEP_1)
	v_fmac_f64_e32 v[40:41], v[40:41], v[42:43]
	v_fma_f64 v[42:43], -v[38:39], v[40:41], 1.0
	s_delay_alu instid0(VALU_DEP_1) | instskip(NEXT) | instid1(VALU_DEP_1)
	v_fmac_f64_e32 v[40:41], v[40:41], v[42:43]
	v_mul_f64_e32 v[42:43], v[44:45], v[40:41]
	s_delay_alu instid0(VALU_DEP_1) | instskip(NEXT) | instid1(VALU_DEP_1)
	v_fma_f64 v[38:39], -v[38:39], v[42:43], v[44:45]
	v_div_fmas_f64 v[38:39], v[38:39], v[40:41], v[42:43]
	v_fma_f64 v[40:41], v[20:21], v[24:25], v[26:27]
	s_delay_alu instid0(VALU_DEP_2) | instskip(SKIP_1) | instid1(VALU_DEP_2)
	v_div_fixup_f64 v[22:23], v[38:39], v[22:23], 1.0
	v_fma_f64 v[38:39], v[20:21], v[26:27], -v[24:25]
	v_mul_f64_e32 v[20:21], v[40:41], v[22:23]
	s_delay_alu instid0(VALU_DEP_2)
	v_mul_f64_e32 v[22:23], v[38:39], v[22:23]
.LBB228_126:                            ;   in Loop: Header=BB228_114 Depth=2
	s_and_not1_b32 vcc_lo, exec_lo, s27
	s_cbranch_vccnz .LBB228_128
; %bb.127:                              ;   in Loop: Header=BB228_114 Depth=2
	v_div_scale_f64 v[20:21], null, v[8:9], v[8:9], v[10:11]
	v_div_scale_f64 v[40:41], vcc_lo, v[10:11], v[8:9], v[10:11]
	s_delay_alu instid0(VALU_DEP_2) | instskip(SKIP_1) | instid1(TRANS32_DEP_1)
	v_rcp_f64_e32 v[22:23], v[20:21]
	v_nop
	v_fma_f64 v[38:39], -v[20:21], v[22:23], 1.0
	s_delay_alu instid0(VALU_DEP_1) | instskip(NEXT) | instid1(VALU_DEP_1)
	v_fmac_f64_e32 v[22:23], v[22:23], v[38:39]
	v_fma_f64 v[38:39], -v[20:21], v[22:23], 1.0
	s_delay_alu instid0(VALU_DEP_1) | instskip(NEXT) | instid1(VALU_DEP_1)
	v_fmac_f64_e32 v[22:23], v[22:23], v[38:39]
	v_mul_f64_e32 v[38:39], v[40:41], v[22:23]
	s_delay_alu instid0(VALU_DEP_1) | instskip(NEXT) | instid1(VALU_DEP_1)
	v_fma_f64 v[20:21], -v[20:21], v[38:39], v[40:41]
	v_div_fmas_f64 v[20:21], v[20:21], v[22:23], v[38:39]
	s_delay_alu instid0(VALU_DEP_1) | instskip(NEXT) | instid1(VALU_DEP_1)
	v_div_fixup_f64 v[20:21], v[20:21], v[8:9], v[10:11]
	v_fmac_f64_e32 v[8:9], v[10:11], v[20:21]
	s_delay_alu instid0(VALU_DEP_1) | instskip(SKIP_1) | instid1(VALU_DEP_2)
	v_div_scale_f64 v[10:11], null, v[8:9], v[8:9], 1.0
	v_div_scale_f64 v[40:41], vcc_lo, 1.0, v[8:9], 1.0
	v_rcp_f64_e32 v[22:23], v[10:11]
	v_nop
	s_delay_alu instid0(TRANS32_DEP_1) | instskip(NEXT) | instid1(VALU_DEP_1)
	v_fma_f64 v[38:39], -v[10:11], v[22:23], 1.0
	v_fmac_f64_e32 v[22:23], v[22:23], v[38:39]
	s_delay_alu instid0(VALU_DEP_1) | instskip(NEXT) | instid1(VALU_DEP_1)
	v_fma_f64 v[38:39], -v[10:11], v[22:23], 1.0
	v_fmac_f64_e32 v[22:23], v[22:23], v[38:39]
	s_delay_alu instid0(VALU_DEP_1) | instskip(NEXT) | instid1(VALU_DEP_1)
	v_mul_f64_e32 v[38:39], v[40:41], v[22:23]
	v_fma_f64 v[10:11], -v[10:11], v[38:39], v[40:41]
	s_delay_alu instid0(VALU_DEP_1) | instskip(SKIP_1) | instid1(VALU_DEP_2)
	v_div_fmas_f64 v[10:11], v[10:11], v[22:23], v[38:39]
	v_fma_f64 v[22:23], v[20:21], v[26:27], v[24:25]
	v_div_fixup_f64 v[8:9], v[10:11], v[8:9], 1.0
	v_fma_f64 v[10:11], -v[20:21], v[24:25], v[26:27]
	s_delay_alu instid0(VALU_DEP_2) | instskip(NEXT) | instid1(VALU_DEP_2)
	v_mul_f64_e32 v[20:21], v[22:23], v[8:9]
	v_mul_f64_e32 v[22:23], v[10:11], v[8:9]
.LBB228_128:                            ;   in Loop: Header=BB228_114 Depth=2
	v_mov_b32_e32 v44, s26
	ds_load_b128 v[8:11], v44 offset:384
	ds_load_b128 v[24:27], v44 offset:400
	s_wait_dscnt 0x1
	v_mul_f64_e32 v[38:39], v[14:15], v[10:11]
	v_mul_f64_e32 v[40:41], v[12:13], v[10:11]
	s_wait_dscnt 0x0
	v_mul_f64_e32 v[42:43], v[18:19], v[26:27]
	v_mul_f64_e32 v[26:27], v[16:17], v[26:27]
	s_delay_alu instid0(VALU_DEP_4) | instskip(NEXT) | instid1(VALU_DEP_4)
	v_fma_f64 v[38:39], v[12:13], v[8:9], -v[38:39]
	v_fmac_f64_e32 v[40:41], v[14:15], v[8:9]
	ds_load_b128 v[12:15], v44 offset:416
	ds_load_b128 v[8:11], v44 offset:432
	v_fma_f64 v[16:17], v[16:17], v[24:25], -v[42:43]
	v_fmac_f64_e32 v[26:27], v[18:19], v[24:25]
	ds_store_b128 v37, v[20:23] offset:768
	s_wait_dscnt 0x2
	v_mul_f64_e32 v[44:45], v[22:23], v[14:15]
	v_mul_f64_e32 v[14:15], v[20:21], v[14:15]
	s_wait_dscnt 0x1
	v_cmp_ngt_f64_e64 s26, |v[8:9]|, |v[10:11]|
	v_add_f64_e64 v[4:5], v[4:5], -v[38:39]
	v_add_f64_e64 v[6:7], v[6:7], -v[40:41]
	v_fma_f64 v[18:19], v[20:21], v[12:13], -v[44:45]
	v_fmac_f64_e32 v[14:15], v[22:23], v[12:13]
	s_and_b32 vcc_lo, exec_lo, s26
	s_mov_b32 s26, -1
	s_delay_alu instid0(VALU_DEP_4) | instskip(NEXT) | instid1(VALU_DEP_4)
	v_add_f64_e64 v[4:5], v[4:5], -v[16:17]
	v_add_f64_e64 v[6:7], v[6:7], -v[26:27]
	s_delay_alu instid0(VALU_DEP_2) | instskip(NEXT) | instid1(VALU_DEP_2)
	v_add_f64_e64 v[12:13], v[4:5], -v[18:19]
	v_add_f64_e64 v[14:15], v[6:7], -v[14:15]
                                        ; implicit-def: $vgpr6_vgpr7
	s_cbranch_vccz .LBB228_130
; %bb.129:                              ;   in Loop: Header=BB228_114 Depth=2
	v_div_scale_f64 v[4:5], null, v[10:11], v[10:11], v[8:9]
	v_div_scale_f64 v[18:19], vcc_lo, v[8:9], v[10:11], v[8:9]
	s_mov_b32 s26, 0
	v_rcp_f64_e32 v[6:7], v[4:5]
	v_nop
	s_delay_alu instid0(TRANS32_DEP_1) | instskip(NEXT) | instid1(VALU_DEP_1)
	v_fma_f64 v[16:17], -v[4:5], v[6:7], 1.0
	v_fmac_f64_e32 v[6:7], v[6:7], v[16:17]
	s_delay_alu instid0(VALU_DEP_1) | instskip(NEXT) | instid1(VALU_DEP_1)
	v_fma_f64 v[16:17], -v[4:5], v[6:7], 1.0
	v_fmac_f64_e32 v[6:7], v[6:7], v[16:17]
	s_delay_alu instid0(VALU_DEP_1) | instskip(NEXT) | instid1(VALU_DEP_1)
	v_mul_f64_e32 v[16:17], v[18:19], v[6:7]
	v_fma_f64 v[4:5], -v[4:5], v[16:17], v[18:19]
	s_delay_alu instid0(VALU_DEP_1) | instskip(NEXT) | instid1(VALU_DEP_1)
	v_div_fmas_f64 v[4:5], v[4:5], v[6:7], v[16:17]
	v_div_fixup_f64 v[4:5], v[4:5], v[10:11], v[8:9]
	s_delay_alu instid0(VALU_DEP_1) | instskip(NEXT) | instid1(VALU_DEP_1)
	v_fma_f64 v[6:7], v[8:9], v[4:5], v[10:11]
	v_div_scale_f64 v[16:17], null, v[6:7], v[6:7], 1.0
	v_div_scale_f64 v[22:23], vcc_lo, 1.0, v[6:7], 1.0
	s_delay_alu instid0(VALU_DEP_2) | instskip(SKIP_1) | instid1(TRANS32_DEP_1)
	v_rcp_f64_e32 v[18:19], v[16:17]
	v_nop
	v_fma_f64 v[20:21], -v[16:17], v[18:19], 1.0
	s_delay_alu instid0(VALU_DEP_1) | instskip(NEXT) | instid1(VALU_DEP_1)
	v_fmac_f64_e32 v[18:19], v[18:19], v[20:21]
	v_fma_f64 v[20:21], -v[16:17], v[18:19], 1.0
	s_delay_alu instid0(VALU_DEP_1) | instskip(NEXT) | instid1(VALU_DEP_1)
	v_fmac_f64_e32 v[18:19], v[18:19], v[20:21]
	v_mul_f64_e32 v[20:21], v[22:23], v[18:19]
	s_delay_alu instid0(VALU_DEP_1) | instskip(NEXT) | instid1(VALU_DEP_1)
	v_fma_f64 v[16:17], -v[16:17], v[20:21], v[22:23]
	v_div_fmas_f64 v[16:17], v[16:17], v[18:19], v[20:21]
	v_fma_f64 v[18:19], v[4:5], v[12:13], v[14:15]
	s_delay_alu instid0(VALU_DEP_2) | instskip(SKIP_1) | instid1(VALU_DEP_2)
	v_div_fixup_f64 v[6:7], v[16:17], v[6:7], 1.0
	v_fma_f64 v[16:17], v[4:5], v[14:15], -v[12:13]
	v_mul_f64_e32 v[4:5], v[18:19], v[6:7]
	s_delay_alu instid0(VALU_DEP_2)
	v_mul_f64_e32 v[6:7], v[16:17], v[6:7]
.LBB228_130:                            ;   in Loop: Header=BB228_114 Depth=2
	s_and_not1_b32 vcc_lo, exec_lo, s26
	s_cbranch_vccnz .LBB228_132
; %bb.131:                              ;   in Loop: Header=BB228_114 Depth=2
	v_div_scale_f64 v[4:5], null, v[8:9], v[8:9], v[10:11]
	v_div_scale_f64 v[18:19], vcc_lo, v[10:11], v[8:9], v[10:11]
	s_delay_alu instid0(VALU_DEP_2) | instskip(SKIP_1) | instid1(TRANS32_DEP_1)
	v_rcp_f64_e32 v[6:7], v[4:5]
	v_nop
	v_fma_f64 v[16:17], -v[4:5], v[6:7], 1.0
	s_delay_alu instid0(VALU_DEP_1) | instskip(NEXT) | instid1(VALU_DEP_1)
	v_fmac_f64_e32 v[6:7], v[6:7], v[16:17]
	v_fma_f64 v[16:17], -v[4:5], v[6:7], 1.0
	s_delay_alu instid0(VALU_DEP_1) | instskip(NEXT) | instid1(VALU_DEP_1)
	v_fmac_f64_e32 v[6:7], v[6:7], v[16:17]
	v_mul_f64_e32 v[16:17], v[18:19], v[6:7]
	s_delay_alu instid0(VALU_DEP_1) | instskip(NEXT) | instid1(VALU_DEP_1)
	v_fma_f64 v[4:5], -v[4:5], v[16:17], v[18:19]
	v_div_fmas_f64 v[4:5], v[4:5], v[6:7], v[16:17]
	s_delay_alu instid0(VALU_DEP_1) | instskip(NEXT) | instid1(VALU_DEP_1)
	v_div_fixup_f64 v[4:5], v[4:5], v[8:9], v[10:11]
	v_fmac_f64_e32 v[8:9], v[10:11], v[4:5]
	s_delay_alu instid0(VALU_DEP_1) | instskip(SKIP_1) | instid1(VALU_DEP_2)
	v_div_scale_f64 v[6:7], null, v[8:9], v[8:9], 1.0
	v_div_scale_f64 v[18:19], vcc_lo, 1.0, v[8:9], 1.0
	v_rcp_f64_e32 v[10:11], v[6:7]
	v_nop
	s_delay_alu instid0(TRANS32_DEP_1) | instskip(NEXT) | instid1(VALU_DEP_1)
	v_fma_f64 v[16:17], -v[6:7], v[10:11], 1.0
	v_fmac_f64_e32 v[10:11], v[10:11], v[16:17]
	s_delay_alu instid0(VALU_DEP_1) | instskip(NEXT) | instid1(VALU_DEP_1)
	v_fma_f64 v[16:17], -v[6:7], v[10:11], 1.0
	v_fmac_f64_e32 v[10:11], v[10:11], v[16:17]
	s_delay_alu instid0(VALU_DEP_1) | instskip(NEXT) | instid1(VALU_DEP_1)
	v_mul_f64_e32 v[16:17], v[18:19], v[10:11]
	v_fma_f64 v[6:7], -v[6:7], v[16:17], v[18:19]
	s_delay_alu instid0(VALU_DEP_1) | instskip(SKIP_1) | instid1(VALU_DEP_2)
	v_div_fmas_f64 v[6:7], v[6:7], v[10:11], v[16:17]
	v_fma_f64 v[10:11], v[4:5], v[14:15], v[12:13]
	v_div_fixup_f64 v[6:7], v[6:7], v[8:9], 1.0
	v_fma_f64 v[8:9], -v[4:5], v[12:13], v[14:15]
	s_delay_alu instid0(VALU_DEP_2) | instskip(NEXT) | instid1(VALU_DEP_2)
	v_mul_f64_e32 v[4:5], v[10:11], v[6:7]
	v_mul_f64_e32 v[6:7], v[8:9], v[6:7]
.LBB228_132:                            ;   in Loop: Header=BB228_114 Depth=2
	s_add_co_i32 s26, s25, 4
	s_add_co_i32 s25, s25, 7
	s_addk_co_i32 s24, 0x600
	s_cmp_ge_i32 s25, s29
	ds_store_b128 v37, v[4:7] offset:1152
	s_cbranch_scc1 .LBB228_134
; %bb.133:                              ;   in Loop: Header=BB228_114 Depth=2
	s_mov_b32 s25, s26
	s_branch .LBB228_114
.LBB228_134:                            ;   in Loop: Header=BB228_3 Depth=1
	s_cmp_ge_i32 s26, s29
	s_cbranch_scc1 .LBB228_143
; %bb.135:                              ;   in Loop: Header=BB228_3 Depth=1
	s_mul_i32 s24, s26, 0x180
	s_branch .LBB228_137
.LBB228_136:                            ;   in Loop: Header=BB228_137 Depth=2
	s_add_co_i32 s26, s26, 1
	s_addk_co_i32 s24, 0x180
	s_cmp_ge_i32 s26, s29
	ds_store_b128 v16, v[12:15]
	s_cbranch_scc1 .LBB228_143
.LBB228_137:                            ;   Parent Loop BB228_3 Depth=1
                                        ; =>  This Loop Header: Depth=2
                                        ;       Child Loop BB228_138 Depth 3
	v_mad_u32 v16, 0x180, s26, v34
	v_mov_b32_e32 v8, v34
	s_cmp_eq_u32 s26, 0
	s_mov_b32 s25, s24
	s_mov_b32 s27, s26
	ds_load_b128 v[4:7], v16
	s_cbranch_scc1 .LBB228_139
.LBB228_138:                            ;   Parent Loop BB228_3 Depth=1
                                        ;     Parent Loop BB228_137 Depth=2
                                        ; =>    This Inner Loop Header: Depth=3
	v_mov_b32_e32 v9, s25
	s_add_co_i32 s27, s27, -1
	s_add_co_i32 s25, s25, 16
	s_cmp_eq_u32 s27, 0
	ds_load_b128 v[10:13], v8
	ds_load_b128 v[18:21], v9
	v_add_nc_u32_e32 v8, 0x180, v8
	s_wait_dscnt 0x0
	v_mul_f64_e32 v[14:15], v[20:21], v[12:13]
	v_mul_f64_e32 v[12:13], v[18:19], v[12:13]
	s_delay_alu instid0(VALU_DEP_2) | instskip(NEXT) | instid1(VALU_DEP_2)
	v_fma_f64 v[14:15], v[18:19], v[10:11], -v[14:15]
	v_fmac_f64_e32 v[12:13], v[20:21], v[10:11]
	s_delay_alu instid0(VALU_DEP_2) | instskip(NEXT) | instid1(VALU_DEP_2)
	v_add_f64_e64 v[4:5], v[4:5], -v[14:15]
	v_add_f64_e64 v[6:7], v[6:7], -v[12:13]
	s_cbranch_scc0 .LBB228_138
.LBB228_139:                            ;   in Loop: Header=BB228_137 Depth=2
	s_mul_i32 s25, s26, 0x190
                                        ; implicit-def: $vgpr12_vgpr13
	s_delay_alu instid0(SALU_CYCLE_1)
	v_mov_b32_e32 v8, s25
	ds_load_b128 v[8:11], v8
	s_wait_dscnt 0x0
	v_cmp_ngt_f64_e64 s25, |v[8:9]|, |v[10:11]|
	s_and_b32 vcc_lo, exec_lo, s25
	s_mov_b32 s25, -1
	s_cbranch_vccz .LBB228_141
; %bb.140:                              ;   in Loop: Header=BB228_137 Depth=2
	v_div_scale_f64 v[12:13], null, v[10:11], v[10:11], v[8:9]
	v_div_scale_f64 v[20:21], vcc_lo, v[8:9], v[10:11], v[8:9]
	s_mov_b32 s25, 0
	v_rcp_f64_e32 v[14:15], v[12:13]
	v_nop
	s_delay_alu instid0(TRANS32_DEP_1) | instskip(NEXT) | instid1(VALU_DEP_1)
	v_fma_f64 v[18:19], -v[12:13], v[14:15], 1.0
	v_fmac_f64_e32 v[14:15], v[14:15], v[18:19]
	s_delay_alu instid0(VALU_DEP_1) | instskip(NEXT) | instid1(VALU_DEP_1)
	v_fma_f64 v[18:19], -v[12:13], v[14:15], 1.0
	v_fmac_f64_e32 v[14:15], v[14:15], v[18:19]
	s_delay_alu instid0(VALU_DEP_1) | instskip(NEXT) | instid1(VALU_DEP_1)
	v_mul_f64_e32 v[18:19], v[20:21], v[14:15]
	v_fma_f64 v[12:13], -v[12:13], v[18:19], v[20:21]
	s_delay_alu instid0(VALU_DEP_1) | instskip(NEXT) | instid1(VALU_DEP_1)
	v_div_fmas_f64 v[12:13], v[12:13], v[14:15], v[18:19]
	v_div_fixup_f64 v[12:13], v[12:13], v[10:11], v[8:9]
	s_delay_alu instid0(VALU_DEP_1) | instskip(NEXT) | instid1(VALU_DEP_1)
	v_fma_f64 v[14:15], v[8:9], v[12:13], v[10:11]
	v_div_scale_f64 v[18:19], null, v[14:15], v[14:15], 1.0
	v_div_scale_f64 v[24:25], vcc_lo, 1.0, v[14:15], 1.0
	s_delay_alu instid0(VALU_DEP_2) | instskip(SKIP_1) | instid1(TRANS32_DEP_1)
	v_rcp_f64_e32 v[20:21], v[18:19]
	v_nop
	v_fma_f64 v[22:23], -v[18:19], v[20:21], 1.0
	s_delay_alu instid0(VALU_DEP_1) | instskip(NEXT) | instid1(VALU_DEP_1)
	v_fmac_f64_e32 v[20:21], v[20:21], v[22:23]
	v_fma_f64 v[22:23], -v[18:19], v[20:21], 1.0
	s_delay_alu instid0(VALU_DEP_1) | instskip(NEXT) | instid1(VALU_DEP_1)
	v_fmac_f64_e32 v[20:21], v[20:21], v[22:23]
	v_mul_f64_e32 v[22:23], v[24:25], v[20:21]
	s_delay_alu instid0(VALU_DEP_1) | instskip(NEXT) | instid1(VALU_DEP_1)
	v_fma_f64 v[18:19], -v[18:19], v[22:23], v[24:25]
	v_div_fmas_f64 v[18:19], v[18:19], v[20:21], v[22:23]
	v_fma_f64 v[20:21], v[4:5], v[12:13], v[6:7]
	s_delay_alu instid0(VALU_DEP_2) | instskip(SKIP_1) | instid1(VALU_DEP_2)
	v_div_fixup_f64 v[14:15], v[18:19], v[14:15], 1.0
	v_fma_f64 v[18:19], v[6:7], v[12:13], -v[4:5]
	v_mul_f64_e32 v[12:13], v[20:21], v[14:15]
	s_delay_alu instid0(VALU_DEP_2)
	v_mul_f64_e32 v[14:15], v[18:19], v[14:15]
.LBB228_141:                            ;   in Loop: Header=BB228_137 Depth=2
	s_and_not1_b32 vcc_lo, exec_lo, s25
	s_cbranch_vccnz .LBB228_136
; %bb.142:                              ;   in Loop: Header=BB228_137 Depth=2
	v_div_scale_f64 v[12:13], null, v[8:9], v[8:9], v[10:11]
	v_div_scale_f64 v[20:21], vcc_lo, v[10:11], v[8:9], v[10:11]
	s_delay_alu instid0(VALU_DEP_2) | instskip(SKIP_1) | instid1(TRANS32_DEP_1)
	v_rcp_f64_e32 v[14:15], v[12:13]
	v_nop
	v_fma_f64 v[18:19], -v[12:13], v[14:15], 1.0
	s_delay_alu instid0(VALU_DEP_1) | instskip(NEXT) | instid1(VALU_DEP_1)
	v_fmac_f64_e32 v[14:15], v[14:15], v[18:19]
	v_fma_f64 v[18:19], -v[12:13], v[14:15], 1.0
	s_delay_alu instid0(VALU_DEP_1) | instskip(NEXT) | instid1(VALU_DEP_1)
	v_fmac_f64_e32 v[14:15], v[14:15], v[18:19]
	v_mul_f64_e32 v[18:19], v[20:21], v[14:15]
	s_delay_alu instid0(VALU_DEP_1) | instskip(NEXT) | instid1(VALU_DEP_1)
	v_fma_f64 v[12:13], -v[12:13], v[18:19], v[20:21]
	v_div_fmas_f64 v[12:13], v[12:13], v[14:15], v[18:19]
	s_delay_alu instid0(VALU_DEP_1) | instskip(NEXT) | instid1(VALU_DEP_1)
	v_div_fixup_f64 v[12:13], v[12:13], v[8:9], v[10:11]
	v_fmac_f64_e32 v[8:9], v[10:11], v[12:13]
	s_delay_alu instid0(VALU_DEP_1) | instskip(SKIP_1) | instid1(VALU_DEP_2)
	v_div_scale_f64 v[10:11], null, v[8:9], v[8:9], 1.0
	v_div_scale_f64 v[20:21], vcc_lo, 1.0, v[8:9], 1.0
	v_rcp_f64_e32 v[14:15], v[10:11]
	v_nop
	s_delay_alu instid0(TRANS32_DEP_1) | instskip(NEXT) | instid1(VALU_DEP_1)
	v_fma_f64 v[18:19], -v[10:11], v[14:15], 1.0
	v_fmac_f64_e32 v[14:15], v[14:15], v[18:19]
	s_delay_alu instid0(VALU_DEP_1) | instskip(NEXT) | instid1(VALU_DEP_1)
	v_fma_f64 v[18:19], -v[10:11], v[14:15], 1.0
	v_fmac_f64_e32 v[14:15], v[14:15], v[18:19]
	s_delay_alu instid0(VALU_DEP_1) | instskip(NEXT) | instid1(VALU_DEP_1)
	v_mul_f64_e32 v[18:19], v[20:21], v[14:15]
	v_fma_f64 v[10:11], -v[10:11], v[18:19], v[20:21]
	s_delay_alu instid0(VALU_DEP_1) | instskip(SKIP_2) | instid1(VALU_DEP_3)
	v_div_fmas_f64 v[10:11], v[10:11], v[14:15], v[18:19]
	v_fma_f64 v[14:15], v[6:7], v[12:13], v[4:5]
	v_fma_f64 v[4:5], -v[4:5], v[12:13], v[6:7]
	v_div_fixup_f64 v[8:9], v[10:11], v[8:9], 1.0
	s_delay_alu instid0(VALU_DEP_1) | instskip(NEXT) | instid1(VALU_DEP_3)
	v_mul_f64_e32 v[12:13], v[14:15], v[8:9]
	v_mul_f64_e32 v[14:15], v[4:5], v[8:9]
	s_branch .LBB228_136
.LBB228_143:                            ;   in Loop: Header=BB228_3 Depth=1
	s_and_saveexec_b32 s24, s35
	s_cbranch_execz .LBB228_2
; %bb.144:                              ;   in Loop: Header=BB228_3 Depth=1
	v_add_nc_u64_e32 v[4:5], s[16:17], v[0:1]
	v_mov_b32_e32 v6, v34
	s_mov_b32 s16, s28
.LBB228_145:                            ;   Parent Loop BB228_3 Depth=1
                                        ; =>  This Inner Loop Header: Depth=2
	ds_load_2addr_b64 v[8:11], v6 offset1:1
	v_add_nc_u32_e32 v6, 0x180, v6
	s_add_co_i32 s16, s16, -1
	s_delay_alu instid0(SALU_CYCLE_1)
	s_cmp_lg_u32 s16, 0
	s_wait_dscnt 0x0
	global_store_b128 v[4:5], v[8:11], off
	s_wait_xcnt 0x0
	v_add_nc_u64_e32 v[4:5], s[14:15], v[4:5]
	s_cbranch_scc1 .LBB228_145
	s_branch .LBB228_2
.LBB228_146:
	s_endpgm
	.section	.rodata,"a",@progbits
	.p2align	6, 0x0
	.amdhsa_kernel _ZL31rocblas_trsm_small_right_deviceI19rocblas_complex_numIdES1_PKS1_PS1_Li24EEv13rocblas_fill_18rocblas_operation_17rocblas_diagonal_iiT0_T1_lilT2_lili
		.amdhsa_group_segment_fixed_size 18432
		.amdhsa_private_segment_fixed_size 0
		.amdhsa_kernarg_size 368
		.amdhsa_user_sgpr_count 2
		.amdhsa_user_sgpr_dispatch_ptr 0
		.amdhsa_user_sgpr_queue_ptr 0
		.amdhsa_user_sgpr_kernarg_segment_ptr 1
		.amdhsa_user_sgpr_dispatch_id 0
		.amdhsa_user_sgpr_kernarg_preload_length 0
		.amdhsa_user_sgpr_kernarg_preload_offset 0
		.amdhsa_user_sgpr_private_segment_size 0
		.amdhsa_wavefront_size32 1
		.amdhsa_uses_dynamic_stack 0
		.amdhsa_enable_private_segment 0
		.amdhsa_system_sgpr_workgroup_id_x 1
		.amdhsa_system_sgpr_workgroup_id_y 0
		.amdhsa_system_sgpr_workgroup_id_z 1
		.amdhsa_system_sgpr_workgroup_info 0
		.amdhsa_system_vgpr_workitem_id 0
		.amdhsa_next_free_vgpr 161
		.amdhsa_next_free_sgpr 40
		.amdhsa_named_barrier_count 0
		.amdhsa_reserve_vcc 1
		.amdhsa_float_round_mode_32 0
		.amdhsa_float_round_mode_16_64 0
		.amdhsa_float_denorm_mode_32 3
		.amdhsa_float_denorm_mode_16_64 3
		.amdhsa_fp16_overflow 0
		.amdhsa_memory_ordered 1
		.amdhsa_forward_progress 1
		.amdhsa_inst_pref_size 117
		.amdhsa_round_robin_scheduling 0
		.amdhsa_exception_fp_ieee_invalid_op 0
		.amdhsa_exception_fp_denorm_src 0
		.amdhsa_exception_fp_ieee_div_zero 0
		.amdhsa_exception_fp_ieee_overflow 0
		.amdhsa_exception_fp_ieee_underflow 0
		.amdhsa_exception_fp_ieee_inexact 0
		.amdhsa_exception_int_div_zero 0
	.end_amdhsa_kernel
	.section	.text._ZL31rocblas_trsm_small_right_deviceI19rocblas_complex_numIdES1_PKS1_PS1_Li24EEv13rocblas_fill_18rocblas_operation_17rocblas_diagonal_iiT0_T1_lilT2_lili,"axG",@progbits,_ZL31rocblas_trsm_small_right_deviceI19rocblas_complex_numIdES1_PKS1_PS1_Li24EEv13rocblas_fill_18rocblas_operation_17rocblas_diagonal_iiT0_T1_lilT2_lili,comdat
.Lfunc_end228:
	.size	_ZL31rocblas_trsm_small_right_deviceI19rocblas_complex_numIdES1_PKS1_PS1_Li24EEv13rocblas_fill_18rocblas_operation_17rocblas_diagonal_iiT0_T1_lilT2_lili, .Lfunc_end228-_ZL31rocblas_trsm_small_right_deviceI19rocblas_complex_numIdES1_PKS1_PS1_Li24EEv13rocblas_fill_18rocblas_operation_17rocblas_diagonal_iiT0_T1_lilT2_lili
                                        ; -- End function
	.set _ZL31rocblas_trsm_small_right_deviceI19rocblas_complex_numIdES1_PKS1_PS1_Li24EEv13rocblas_fill_18rocblas_operation_17rocblas_diagonal_iiT0_T1_lilT2_lili.num_vgpr, 64
	.set _ZL31rocblas_trsm_small_right_deviceI19rocblas_complex_numIdES1_PKS1_PS1_Li24EEv13rocblas_fill_18rocblas_operation_17rocblas_diagonal_iiT0_T1_lilT2_lili.num_agpr, 0
	.set _ZL31rocblas_trsm_small_right_deviceI19rocblas_complex_numIdES1_PKS1_PS1_Li24EEv13rocblas_fill_18rocblas_operation_17rocblas_diagonal_iiT0_T1_lilT2_lili.numbered_sgpr, 40
	.set _ZL31rocblas_trsm_small_right_deviceI19rocblas_complex_numIdES1_PKS1_PS1_Li24EEv13rocblas_fill_18rocblas_operation_17rocblas_diagonal_iiT0_T1_lilT2_lili.num_named_barrier, 0
	.set _ZL31rocblas_trsm_small_right_deviceI19rocblas_complex_numIdES1_PKS1_PS1_Li24EEv13rocblas_fill_18rocblas_operation_17rocblas_diagonal_iiT0_T1_lilT2_lili.private_seg_size, 0
	.set _ZL31rocblas_trsm_small_right_deviceI19rocblas_complex_numIdES1_PKS1_PS1_Li24EEv13rocblas_fill_18rocblas_operation_17rocblas_diagonal_iiT0_T1_lilT2_lili.uses_vcc, 1
	.set _ZL31rocblas_trsm_small_right_deviceI19rocblas_complex_numIdES1_PKS1_PS1_Li24EEv13rocblas_fill_18rocblas_operation_17rocblas_diagonal_iiT0_T1_lilT2_lili.uses_flat_scratch, 0
	.set _ZL31rocblas_trsm_small_right_deviceI19rocblas_complex_numIdES1_PKS1_PS1_Li24EEv13rocblas_fill_18rocblas_operation_17rocblas_diagonal_iiT0_T1_lilT2_lili.has_dyn_sized_stack, 0
	.set _ZL31rocblas_trsm_small_right_deviceI19rocblas_complex_numIdES1_PKS1_PS1_Li24EEv13rocblas_fill_18rocblas_operation_17rocblas_diagonal_iiT0_T1_lilT2_lili.has_recursion, 0
	.set _ZL31rocblas_trsm_small_right_deviceI19rocblas_complex_numIdES1_PKS1_PS1_Li24EEv13rocblas_fill_18rocblas_operation_17rocblas_diagonal_iiT0_T1_lilT2_lili.has_indirect_call, 0
	.section	.AMDGPU.csdata,"",@progbits
; Kernel info:
; codeLenInByte = 14920
; TotalNumSgprs: 42
; NumVgprs: 64
; ScratchSize: 0
; MemoryBound: 0
; FloatMode: 240
; IeeeMode: 1
; LDSByteSize: 18432 bytes/workgroup (compile time only)
; SGPRBlocks: 0
; VGPRBlocks: 10
; NumSGPRsForWavesPerEU: 42
; NumVGPRsForWavesPerEU: 161
; NamedBarCnt: 0
; Occupancy: 5
; WaveLimiterHint : 0
; COMPUTE_PGM_RSRC2:SCRATCH_EN: 0
; COMPUTE_PGM_RSRC2:USER_SGPR: 2
; COMPUTE_PGM_RSRC2:TRAP_HANDLER: 0
; COMPUTE_PGM_RSRC2:TGID_X_EN: 1
; COMPUTE_PGM_RSRC2:TGID_Y_EN: 0
; COMPUTE_PGM_RSRC2:TGID_Z_EN: 1
; COMPUTE_PGM_RSRC2:TIDIG_COMP_CNT: 0
	.section	.text._ZL38rocblas_trsm_small_left_device_sharedBILi28ELi28ELb0E19rocblas_complex_numIdES1_PKS1_PS1_Ev13rocblas_fill_18rocblas_operation_17rocblas_diagonal_iiT3_T4_lilT5_lili,"axG",@progbits,_ZL38rocblas_trsm_small_left_device_sharedBILi28ELi28ELb0E19rocblas_complex_numIdES1_PKS1_PS1_Ev13rocblas_fill_18rocblas_operation_17rocblas_diagonal_iiT3_T4_lilT5_lili,comdat
	.globl	_ZL38rocblas_trsm_small_left_device_sharedBILi28ELi28ELb0E19rocblas_complex_numIdES1_PKS1_PS1_Ev13rocblas_fill_18rocblas_operation_17rocblas_diagonal_iiT3_T4_lilT5_lili ; -- Begin function _ZL38rocblas_trsm_small_left_device_sharedBILi28ELi28ELb0E19rocblas_complex_numIdES1_PKS1_PS1_Ev13rocblas_fill_18rocblas_operation_17rocblas_diagonal_iiT3_T4_lilT5_lili
	.p2align	8
	.type	_ZL38rocblas_trsm_small_left_device_sharedBILi28ELi28ELb0E19rocblas_complex_numIdES1_PKS1_PS1_Ev13rocblas_fill_18rocblas_operation_17rocblas_diagonal_iiT3_T4_lilT5_lili,@function
_ZL38rocblas_trsm_small_left_device_sharedBILi28ELi28ELb0E19rocblas_complex_numIdES1_PKS1_PS1_Ev13rocblas_fill_18rocblas_operation_17rocblas_diagonal_iiT3_T4_lilT5_lili: ; @_ZL38rocblas_trsm_small_left_device_sharedBILi28ELi28ELb0E19rocblas_complex_numIdES1_PKS1_PS1_Ev13rocblas_fill_18rocblas_operation_17rocblas_diagonal_iiT3_T4_lilT5_lili
; %bb.0:
	s_load_b32 s3, s[0:1], 0x68
	s_bfe_u32 s2, ttmp6, 0x40014
	s_lshr_b32 s4, ttmp7, 16
	s_add_co_i32 s2, s2, 1
	s_bfe_u32 s5, ttmp6, 0x40008
	s_mul_i32 s2, s4, s2
	s_getreg_b32 s8, hwreg(HW_REG_IB_STS2, 6, 4)
	s_add_co_i32 s5, s5, s2
	s_cmp_eq_u32 s8, 0
	s_mov_b32 s21, 0
	s_cselect_b32 s20, s4, s5
	s_wait_kmcnt 0x0
	s_cmp_ge_u32 s20, s3
	s_cbranch_scc1 .LBB229_62
; %bb.1:
	s_clause 0x5
	s_load_b32 s26, s[0:1], 0x38
	s_load_b96 s[16:18], s[0:1], 0x50
	s_load_b128 s[4:7], s[0:1], 0x4
	s_load_b32 s9, s[0:1], 0x70
	s_load_b64 s[28:29], s[0:1], 0x60
	s_load_b128 s[12:15], s[0:1], 0x40
	v_dual_mov_b32 v9, 0 :: v_dual_lshlrev_b32 v8, 4, v0
	s_wait_kmcnt 0x0
	s_ashr_i32 s27, s26, 31
	s_ashr_i32 s25, s18, 31
	s_cmp_eq_u32 s4, 0x71
	s_cselect_b32 s2, -1, 0
	s_bfe_u32 s10, ttmp6, 0x4000c
	s_min_i32 s19, s6, 28
	s_add_co_i32 s10, s10, 1
	s_and_b32 s11, ttmp6, 15
	s_mul_i32 s10, ttmp9, s10
	s_add_co_i32 s9, s9, -1
	s_add_co_i32 s22, s19, -1
	s_add_co_i32 s11, s11, s10
	s_cmp_eq_u32 s8, 0
	s_cselect_b32 s8, ttmp9, s11
	s_delay_alu instid0(SALU_CYCLE_1) | instskip(NEXT) | instid1(SALU_CYCLE_1)
	s_mul_i32 s10, s8, 0xffffffe4
	s_add_co_i32 s7, s7, s10
	s_cmp_ge_u32 s8, s9
	s_mul_i32 s8, s8, 28
	s_cselect_b32 s30, s7, 28
	s_ashr_i32 s9, s8, 31
	s_cmp_lg_u32 s5, 0x84
	v_lshl_add_u64 v[2:3], s[8:9], 4, v[8:9]
	s_cselect_b32 s23, -1, 0
	s_cmp_gt_i32 s6, 0
	v_cmp_gt_i32_e32 vcc_lo, s30, v0
	s_cselect_b32 s31, -1, 0
	s_cmp_lg_u32 s4, 0x6f
	s_cselect_b32 s24, -1, 0
	s_lshl_b64 s[4:5], s[16:17], 4
	s_delay_alu instid0(SALU_CYCLE_1) | instskip(SKIP_3) | instid1(VALU_DEP_1)
	s_add_nc_u64 s[4:5], s[14:15], s[4:5]
	s_lshl_b64 s[14:15], s[28:29], 4
	v_mad_nc_u64_u32 v[10:11], v2, s18, s[4:5]
	s_load_b256 s[4:11], s[0:1], 0x18
	v_mad_u32 v1, v3, s18, v11
	s_or_b32 s18, 0, 8
	s_wait_kmcnt 0x0
	s_lshl_b64 s[0:1], s[10:11], 4
	s_delay_alu instid0(VALU_DEP_1)
	v_mad_u32 v11, v2, s25, v1
	s_add_nc_u64 s[0:1], s[8:9], s[0:1]
	v_mul_u32_u24_e32 v1, 0x1c0, v0
	v_add_nc_u64_e32 v[2:3], s[0:1], v[8:9]
	v_add_nc_u32_e32 v9, 0x3100, v8
	v_cmp_gt_i32_e64 s0, s19, v0
	s_mul_i32 s25, s19, 0x1c0
	v_add_nc_u32_e32 v16, v8, v1
	s_and_b32 s1, vcc_lo, s31
	s_lshl_b64 s[8:9], s[12:13], 4
	v_add_nc_u64_e32 v[12:13], 8, v[2:3]
	v_add_nc_u64_e32 v[14:15], 8, v[10:11]
	s_lshl_b64 s[10:11], s[26:27], 4
	s_addk_co_i32 s25, 0xfe40
	s_get_pc_i64 s[12:13]
	s_add_nc_u64 s[12:13], s[12:13], __const._ZL38rocblas_trsm_small_left_device_sharedBILi28ELi28ELb0E19rocblas_complex_numIdES1_PKS1_PS1_Ev13rocblas_fill_18rocblas_operation_17rocblas_diagonal_iiT3_T4_lilT5_lili.step_sizes@rel64+4
	s_branch .LBB229_3
.LBB229_2:                              ;   in Loop: Header=BB229_3 Depth=1
	s_or_b32 exec_lo, exec_lo, s26
	s_add_co_i32 s20, s20, 0x10000
	s_delay_alu instid0(SALU_CYCLE_1)
	s_cmp_lt_u32 s20, s3
	s_cbranch_scc0 .LBB229_62
.LBB229_3:                              ; =>This Loop Header: Depth=1
                                        ;     Child Loop BB229_5 Depth 2
                                        ;     Child Loop BB229_16 Depth 2
                                        ;     Child Loop BB229_20 Depth 2
                                        ;       Child Loop BB229_23 Depth 3
                                        ;         Child Loop BB229_24 Depth 4
                                        ;         Child Loop BB229_27 Depth 4
                                        ;           Child Loop BB229_28 Depth 5
                                        ;         Child Loop BB229_32 Depth 4
                                        ;           Child Loop BB229_34 Depth 5
                                        ;     Child Loop BB229_42 Depth 2
                                        ;       Child Loop BB229_45 Depth 3
                                        ;         Child Loop BB229_46 Depth 4
                                        ;         Child Loop BB229_48 Depth 4
                                        ;           Child Loop BB229_49 Depth 5
                                        ;         Child Loop BB229_53 Depth 4
                                        ;           Child Loop BB229_55 Depth 5
                                        ;     Child Loop BB229_61 Depth 2
	s_and_saveexec_b32 s16, s0
	s_cbranch_execz .LBB229_14
; %bb.4:                                ;   in Loop: Header=BB229_3 Depth=1
	v_mad_nc_u64_u32 v[0:1], s8, s20, v[12:13]
	v_mov_b32_e32 v2, v8
	s_mov_b32 s17, s19
	s_delay_alu instid0(VALU_DEP_2)
	v_mad_u32 v1, s9, s20, v1
.LBB229_5:                              ;   Parent Loop BB229_3 Depth=1
                                        ; =>  This Inner Loop Header: Depth=2
	global_load_b128 v[4:7], v[0:1], off offset:-8
	s_wait_xcnt 0x0
	v_add_nc_u64_e32 v[0:1], s[10:11], v[0:1]
	s_add_co_i32 s17, s17, -1
	s_delay_alu instid0(SALU_CYCLE_1) | instskip(SKIP_2) | instid1(VALU_DEP_1)
	s_cmp_eq_u32 s17, 0
	s_wait_loadcnt 0x0
	v_xor_b32_e32 v3, 0x80000000, v7
	v_cndmask_b32_e64 v7, v7, v3, s2
	ds_store_b128 v2, v[4:7]
	v_add_nc_u32_e32 v2, 0x1c0, v2
	s_cbranch_scc0 .LBB229_5
; %bb.6:                                ;   in Loop: Header=BB229_3 Depth=1
	s_and_b32 vcc_lo, exec_lo, s23
	s_cbranch_vccz .LBB229_12
; %bb.7:                                ;   in Loop: Header=BB229_3 Depth=1
	ds_load_b128 v[0:3], v16
                                        ; implicit-def: $vgpr6_vgpr7
	s_wait_dscnt 0x0
	v_cmp_ngt_f64_e64 s17, |v[0:1]|, |v[2:3]|
	s_and_saveexec_b32 s26, s17
	s_delay_alu instid0(SALU_CYCLE_1)
	s_xor_b32 s17, exec_lo, s26
	s_cbranch_execz .LBB229_9
; %bb.8:                                ;   in Loop: Header=BB229_3 Depth=1
	v_div_scale_f64 v[4:5], null, v[2:3], v[2:3], v[0:1]
	v_div_scale_f64 v[20:21], vcc_lo, v[0:1], v[2:3], v[0:1]
	s_delay_alu instid0(VALU_DEP_2) | instskip(SKIP_1) | instid1(TRANS32_DEP_1)
	v_rcp_f64_e32 v[6:7], v[4:5]
	v_nop
	v_fma_f64 v[18:19], -v[4:5], v[6:7], 1.0
	s_delay_alu instid0(VALU_DEP_1) | instskip(NEXT) | instid1(VALU_DEP_1)
	v_fmac_f64_e32 v[6:7], v[6:7], v[18:19]
	v_fma_f64 v[18:19], -v[4:5], v[6:7], 1.0
	s_delay_alu instid0(VALU_DEP_1) | instskip(NEXT) | instid1(VALU_DEP_1)
	v_fmac_f64_e32 v[6:7], v[6:7], v[18:19]
	v_mul_f64_e32 v[18:19], v[20:21], v[6:7]
	s_delay_alu instid0(VALU_DEP_1) | instskip(NEXT) | instid1(VALU_DEP_1)
	v_fma_f64 v[4:5], -v[4:5], v[18:19], v[20:21]
	v_div_fmas_f64 v[4:5], v[4:5], v[6:7], v[18:19]
	s_delay_alu instid0(VALU_DEP_1) | instskip(NEXT) | instid1(VALU_DEP_1)
	v_div_fixup_f64 v[4:5], v[4:5], v[2:3], v[0:1]
	v_fmac_f64_e32 v[2:3], v[0:1], v[4:5]
	s_delay_alu instid0(VALU_DEP_1) | instskip(SKIP_1) | instid1(VALU_DEP_2)
	v_div_scale_f64 v[0:1], null, v[2:3], v[2:3], 1.0
	v_div_scale_f64 v[20:21], vcc_lo, 1.0, v[2:3], 1.0
	v_rcp_f64_e32 v[6:7], v[0:1]
	v_nop
	s_delay_alu instid0(TRANS32_DEP_1) | instskip(NEXT) | instid1(VALU_DEP_1)
	v_fma_f64 v[18:19], -v[0:1], v[6:7], 1.0
	v_fmac_f64_e32 v[6:7], v[6:7], v[18:19]
	s_delay_alu instid0(VALU_DEP_1) | instskip(NEXT) | instid1(VALU_DEP_1)
	v_fma_f64 v[18:19], -v[0:1], v[6:7], 1.0
	v_fmac_f64_e32 v[6:7], v[6:7], v[18:19]
	s_delay_alu instid0(VALU_DEP_1) | instskip(NEXT) | instid1(VALU_DEP_1)
	v_mul_f64_e32 v[18:19], v[20:21], v[6:7]
	v_fma_f64 v[0:1], -v[0:1], v[18:19], v[20:21]
	s_delay_alu instid0(VALU_DEP_1) | instskip(SKIP_1) | instid1(VALU_DEP_2)
	v_div_fmas_f64 v[0:1], v[0:1], v[6:7], v[18:19]
	v_add_f64_e32 v[6:7], 0, v[4:5]
	v_div_fixup_f64 v[0:1], v[0:1], v[2:3], 1.0
	v_fma_f64 v[2:3], v[4:5], 0, -1.0
	s_delay_alu instid0(VALU_DEP_2) | instskip(NEXT) | instid1(VALU_DEP_2)
	v_mul_f64_e32 v[4:5], v[6:7], v[0:1]
	v_mul_f64_e32 v[6:7], v[2:3], v[0:1]
                                        ; implicit-def: $vgpr0_vgpr1
.LBB229_9:                              ;   in Loop: Header=BB229_3 Depth=1
	s_and_not1_saveexec_b32 s17, s17
	s_cbranch_execz .LBB229_11
; %bb.10:                               ;   in Loop: Header=BB229_3 Depth=1
	v_div_scale_f64 v[4:5], null, v[0:1], v[0:1], v[2:3]
	v_div_scale_f64 v[20:21], vcc_lo, v[2:3], v[0:1], v[2:3]
	s_delay_alu instid0(VALU_DEP_2) | instskip(SKIP_1) | instid1(TRANS32_DEP_1)
	v_rcp_f64_e32 v[6:7], v[4:5]
	v_nop
	v_fma_f64 v[18:19], -v[4:5], v[6:7], 1.0
	s_delay_alu instid0(VALU_DEP_1) | instskip(NEXT) | instid1(VALU_DEP_1)
	v_fmac_f64_e32 v[6:7], v[6:7], v[18:19]
	v_fma_f64 v[18:19], -v[4:5], v[6:7], 1.0
	s_delay_alu instid0(VALU_DEP_1) | instskip(NEXT) | instid1(VALU_DEP_1)
	v_fmac_f64_e32 v[6:7], v[6:7], v[18:19]
	v_mul_f64_e32 v[18:19], v[20:21], v[6:7]
	s_delay_alu instid0(VALU_DEP_1) | instskip(NEXT) | instid1(VALU_DEP_1)
	v_fma_f64 v[4:5], -v[4:5], v[18:19], v[20:21]
	v_div_fmas_f64 v[4:5], v[4:5], v[6:7], v[18:19]
	s_delay_alu instid0(VALU_DEP_1) | instskip(NEXT) | instid1(VALU_DEP_1)
	v_div_fixup_f64 v[4:5], v[4:5], v[0:1], v[2:3]
	v_fmac_f64_e32 v[0:1], v[2:3], v[4:5]
	s_delay_alu instid0(VALU_DEP_1) | instskip(SKIP_1) | instid1(VALU_DEP_2)
	v_div_scale_f64 v[2:3], null, v[0:1], v[0:1], 1.0
	v_div_scale_f64 v[20:21], vcc_lo, 1.0, v[0:1], 1.0
	v_rcp_f64_e32 v[6:7], v[2:3]
	v_nop
	s_delay_alu instid0(TRANS32_DEP_1) | instskip(NEXT) | instid1(VALU_DEP_1)
	v_fma_f64 v[18:19], -v[2:3], v[6:7], 1.0
	v_fmac_f64_e32 v[6:7], v[6:7], v[18:19]
	s_delay_alu instid0(VALU_DEP_1) | instskip(NEXT) | instid1(VALU_DEP_1)
	v_fma_f64 v[18:19], -v[2:3], v[6:7], 1.0
	v_fmac_f64_e32 v[6:7], v[6:7], v[18:19]
	s_delay_alu instid0(VALU_DEP_1) | instskip(NEXT) | instid1(VALU_DEP_1)
	v_mul_f64_e32 v[18:19], v[20:21], v[6:7]
	v_fma_f64 v[2:3], -v[2:3], v[18:19], v[20:21]
	s_delay_alu instid0(VALU_DEP_1) | instskip(SKIP_1) | instid1(VALU_DEP_2)
	v_div_fmas_f64 v[2:3], v[2:3], v[6:7], v[18:19]
	v_fma_f64 v[6:7], v[4:5], 0, 1.0
	v_div_fixup_f64 v[0:1], v[2:3], v[0:1], 1.0
	v_add_f64_e64 v[2:3], -v[4:5], 0
	s_delay_alu instid0(VALU_DEP_2) | instskip(NEXT) | instid1(VALU_DEP_2)
	v_mul_f64_e32 v[4:5], v[6:7], v[0:1]
	v_mul_f64_e32 v[6:7], v[2:3], v[0:1]
.LBB229_11:                             ;   in Loop: Header=BB229_3 Depth=1
	s_or_b32 exec_lo, exec_lo, s17
	s_branch .LBB229_13
.LBB229_12:                             ;   in Loop: Header=BB229_3 Depth=1
	v_mov_b64_e32 v[6:7], 0
	v_mov_b64_e32 v[4:5], 1.0
.LBB229_13:                             ;   in Loop: Header=BB229_3 Depth=1
	ds_store_b128 v16, v[4:7]
.LBB229_14:                             ;   in Loop: Header=BB229_3 Depth=1
	s_or_b32 exec_lo, exec_lo, s16
	s_mul_u64 s[16:17], s[14:15], s[20:21]
	s_and_saveexec_b32 s26, s1
	s_cbranch_execz .LBB229_17
; %bb.15:                               ;   in Loop: Header=BB229_3 Depth=1
	v_add_nc_u64_e32 v[0:1], s[16:17], v[14:15]
	v_mov_b32_e32 v2, v9
	s_mov_b32 s27, s19
.LBB229_16:                             ;   Parent Loop BB229_3 Depth=1
                                        ; =>  This Inner Loop Header: Depth=2
	global_load_b128 v[4:7], v[0:1], off offset:-8
	s_wait_xcnt 0x0
	v_add_nc_u64_e32 v[0:1], 16, v[0:1]
	s_add_co_i32 s27, s27, -1
	s_delay_alu instid0(SALU_CYCLE_1) | instskip(SKIP_3) | instid1(VALU_DEP_2)
	s_cmp_lg_u32 s27, 0
	s_wait_loadcnt 0x0
	v_mul_f64_e32 v[18:19], s[6:7], v[6:7]
	v_mul_f64_e32 v[20:21], s[4:5], v[6:7]
	v_fma_f64 v[18:19], s[4:5], v[4:5], -v[18:19]
	s_delay_alu instid0(VALU_DEP_2)
	v_fmac_f64_e32 v[20:21], s[6:7], v[4:5]
	ds_store_b128 v2, v[18:21]
	v_add_nc_u32_e32 v2, 0x1c0, v2
	s_cbranch_scc1 .LBB229_16
.LBB229_17:                             ;   in Loop: Header=BB229_3 Depth=1
	s_or_b32 exec_lo, exec_lo, s26
	s_delay_alu instid0(SALU_CYCLE_1)
	s_and_not1_b32 vcc_lo, exec_lo, s24
	s_mov_b32 s26, -1
	s_wait_dscnt 0x0
	; wave barrier
	s_cbranch_vccnz .LBB229_39
; %bb.18:                               ;   in Loop: Header=BB229_3 Depth=1
	s_mov_b32 s27, 0
	s_mov_b32 s26, 0
	s_branch .LBB229_20
.LBB229_19:                             ;   in Loop: Header=BB229_20 Depth=2
	s_cmp_lt_i32 s26, s19
	s_cselect_b32 s28, -1, 0
	s_add_co_i32 s29, s27, 1
	s_cmp_lt_u32 s27, 2
	s_wait_xcnt 0x0
	s_cselect_b32 s27, -1, 0
	s_delay_alu instid0(SALU_CYCLE_1) | instskip(NEXT) | instid1(SALU_CYCLE_1)
	s_and_b32 s27, s28, s27
	s_and_b32 vcc_lo, exec_lo, s27
	s_mov_b32 s27, s29
	s_cbranch_vccz .LBB229_38
.LBB229_20:                             ;   Parent Loop BB229_3 Depth=1
                                        ; =>  This Loop Header: Depth=2
                                        ;       Child Loop BB229_23 Depth 3
                                        ;         Child Loop BB229_24 Depth 4
                                        ;         Child Loop BB229_27 Depth 4
                                        ;           Child Loop BB229_28 Depth 5
                                        ;         Child Loop BB229_32 Depth 4
                                        ;           Child Loop BB229_34 Depth 5
	s_load_b32 s28, s[12:13], s27 offset:0x0 scale_offset
	s_wait_kmcnt 0x0
	s_add_co_i32 s29, s28, -1
	s_delay_alu instid0(SALU_CYCLE_1) | instskip(NEXT) | instid1(SALU_CYCLE_1)
	s_add_co_i32 s30, s29, s26
	s_cmp_ge_i32 s30, s19
	s_cbranch_scc1 .LBB229_19
; %bb.21:                               ;   in Loop: Header=BB229_20 Depth=2
	s_mul_i32 s30, s26, 0x1c0
	s_max_i32 s31, s28, 1
	v_add_nc_u32_e32 v4, s30, v9
	s_mul_i32 s33, s28, 0x1c0
	s_mul_i32 s34, s26, 0x1d0
	;; [unrolled: 1-line block ×3, first 2 shown]
	s_branch .LBB229_23
.LBB229_22:                             ;   in Loop: Header=BB229_23 Depth=3
	s_add_co_i32 s26, s26, s28
	v_add_nc_u32_e32 v4, s33, v4
	s_add_co_i32 s36, s29, s26
	s_add_co_i32 s30, s30, s33
	s_add_co_i32 s34, s34, s35
	s_cmp_ge_i32 s36, s19
	s_cbranch_scc1 .LBB229_19
.LBB229_23:                             ;   Parent Loop BB229_3 Depth=1
                                        ;     Parent Loop BB229_20 Depth=2
                                        ; =>    This Loop Header: Depth=3
                                        ;         Child Loop BB229_24 Depth 4
                                        ;         Child Loop BB229_27 Depth 4
                                        ;           Child Loop BB229_28 Depth 5
                                        ;         Child Loop BB229_32 Depth 4
                                        ;           Child Loop BB229_34 Depth 5
	v_mov_b32_e32 v0, v4
	s_mov_b32 s36, 0
	s_mov_b32 s37, s31
.LBB229_24:                             ;   Parent Loop BB229_3 Depth=1
                                        ;     Parent Loop BB229_20 Depth=2
                                        ;       Parent Loop BB229_23 Depth=3
                                        ; =>      This Inner Loop Header: Depth=4
	ds_load_b128 v[18:21], v0
	v_add_nc_u32_e32 v0, 0x1c0, v0
	s_add_co_i32 s37, s37, -1
	s_wait_dscnt 0x0
	scratch_store_b128 off, v[18:21], s36
	s_wait_xcnt 0x0
	s_add_co_i32 s36, s36, 16
	s_cmp_eq_u32 s37, 0
	s_cbranch_scc0 .LBB229_24
; %bb.25:                               ;   in Loop: Header=BB229_23 Depth=3
	s_cmp_lt_i32 s26, 1
	s_cbranch_scc1 .LBB229_30
; %bb.26:                               ;   in Loop: Header=BB229_23 Depth=3
	s_mov_b32 s36, 0
	s_mov_b32 s37, s30
.LBB229_27:                             ;   Parent Loop BB229_3 Depth=1
                                        ;     Parent Loop BB229_20 Depth=2
                                        ;       Parent Loop BB229_23 Depth=3
                                        ; =>      This Loop Header: Depth=4
                                        ;           Child Loop BB229_28 Depth 5
	v_mad_u32 v0, 0x1c0, s36, v9
	s_mov_b32 s38, s18
	s_mov_b32 s39, s37
	;; [unrolled: 1-line block ×3, first 2 shown]
	ds_load_b128 v[0:3], v0
.LBB229_28:                             ;   Parent Loop BB229_3 Depth=1
                                        ;     Parent Loop BB229_20 Depth=2
                                        ;       Parent Loop BB229_23 Depth=3
                                        ;         Parent Loop BB229_27 Depth=4
                                        ; =>        This Inner Loop Header: Depth=5
	scratch_load_b128 v[18:21], off, s38 offset:-8
	v_mov_b32_e32 v5, s39
	s_add_co_i32 s40, s40, -1
	s_addk_co_i32 s39, 0x1c0
	ds_load_b128 v[22:25], v5
	s_wait_dscnt 0x0
	v_mul_f64_e32 v[6:7], v[2:3], v[24:25]
	v_mul_f64_e32 v[24:25], v[0:1], v[24:25]
	s_delay_alu instid0(VALU_DEP_2) | instskip(NEXT) | instid1(VALU_DEP_2)
	v_fma_f64 v[6:7], v[0:1], v[22:23], -v[6:7]
	v_fmac_f64_e32 v[24:25], v[2:3], v[22:23]
	s_wait_loadcnt 0x0
	s_delay_alu instid0(VALU_DEP_2) | instskip(NEXT) | instid1(VALU_DEP_2)
	v_add_f64_e64 v[18:19], v[18:19], -v[6:7]
	v_add_f64_e64 v[20:21], v[20:21], -v[24:25]
	scratch_store_b128 off, v[18:21], s38 offset:-8
	s_wait_xcnt 0x0
	s_add_co_i32 s38, s38, 16
	s_cmp_eq_u32 s40, 0
	s_cbranch_scc0 .LBB229_28
; %bb.29:                               ;   in Loop: Header=BB229_27 Depth=4
	s_add_co_i32 s36, s36, 1
	s_add_co_i32 s37, s37, 16
	s_cmp_eq_u32 s36, s26
	s_cbranch_scc0 .LBB229_27
.LBB229_30:                             ;   in Loop: Header=BB229_23 Depth=3
	s_mul_i32 s36, s26, 0x1c0
	s_mov_b32 s37, 0
	s_mov_b32 s38, s34
	s_branch .LBB229_32
.LBB229_31:                             ;   in Loop: Header=BB229_32 Depth=4
	s_wait_xcnt 0x0
	s_mulk_i32 s40, 0x1d0
	s_addk_co_i32 s38, 0x1c0
	v_mov_b32_e32 v5, s40
	s_lshl_b32 s40, s37, 4
	s_add_co_i32 s37, s37, 1
	s_delay_alu instid0(SALU_CYCLE_1) | instskip(SKIP_4) | instid1(VALU_DEP_2)
	s_cmp_eq_u32 s37, s31
	ds_load_b128 v[18:21], v5
	s_wait_loadcnt_dscnt 0x0
	v_mul_f64_e32 v[6:7], v[20:21], v[2:3]
	v_mul_f64_e32 v[24:25], v[18:19], v[2:3]
	v_fma_f64 v[22:23], v[18:19], v[0:1], -v[6:7]
	s_delay_alu instid0(VALU_DEP_2)
	v_fmac_f64_e32 v[24:25], v[20:21], v[0:1]
	v_add_nc_u32_e32 v0, s39, v9
	scratch_store_b128 off, v[22:25], s40
	ds_store_b128 v0, v[22:25]
	s_cbranch_scc1 .LBB229_22
.LBB229_32:                             ;   Parent Loop BB229_3 Depth=1
                                        ;     Parent Loop BB229_20 Depth=2
                                        ;       Parent Loop BB229_23 Depth=3
                                        ; =>      This Loop Header: Depth=4
                                        ;           Child Loop BB229_34 Depth 5
	s_cmp_lg_u32 s37, 0
	s_cbranch_scc0 .LBB229_36
; %bb.33:                               ;   in Loop: Header=BB229_32 Depth=4
	s_lshl_b32 s41, s37, 4
	s_wait_xcnt 0x0
	s_add_co_i32 s40, s37, s26
	scratch_load_b128 v[0:3], off, s41
	s_mul_i32 s39, s40, 0x1c0
	s_mov_b32 s42, s38
	s_mov_b32 s43, s18
	;; [unrolled: 1-line block ×3, first 2 shown]
.LBB229_34:                             ;   Parent Loop BB229_3 Depth=1
                                        ;     Parent Loop BB229_20 Depth=2
                                        ;       Parent Loop BB229_23 Depth=3
                                        ;         Parent Loop BB229_32 Depth=4
                                        ; =>        This Inner Loop Header: Depth=5
	scratch_load_b128 v[18:21], off, s43 offset:-8
	v_mov_b32_e32 v5, s42
	s_add_co_i32 s44, s44, -1
	s_wait_xcnt 0x0
	s_add_co_i32 s43, s43, 16
	s_add_co_i32 s42, s42, 16
	s_cmp_eq_u32 s44, 0
	ds_load_b128 v[22:25], v5
	s_wait_loadcnt_dscnt 0x0
	v_mul_f64_e32 v[6:7], v[24:25], v[20:21]
	v_mul_f64_e32 v[20:21], v[22:23], v[20:21]
	s_delay_alu instid0(VALU_DEP_2) | instskip(NEXT) | instid1(VALU_DEP_2)
	v_fma_f64 v[6:7], v[22:23], v[18:19], -v[6:7]
	v_fmac_f64_e32 v[20:21], v[24:25], v[18:19]
	s_delay_alu instid0(VALU_DEP_2) | instskip(NEXT) | instid1(VALU_DEP_2)
	v_add_f64_e64 v[0:1], v[0:1], -v[6:7]
	v_add_f64_e64 v[2:3], v[2:3], -v[20:21]
	scratch_store_b128 off, v[0:3], s41
	s_cbranch_scc0 .LBB229_34
; %bb.35:                               ;   in Loop: Header=BB229_32 Depth=4
	s_wait_xcnt 0x0
	s_branch .LBB229_31
.LBB229_36:                             ;   in Loop: Header=BB229_32 Depth=4
                                        ; implicit-def: $vgpr0_vgpr1
                                        ; implicit-def: $sgpr40
                                        ; implicit-def: $sgpr39
	s_cbranch_execz .LBB229_31
; %bb.37:                               ;   in Loop: Header=BB229_32 Depth=4
	scratch_load_b128 v[0:3], off, off
	s_mov_b32 s39, s36
	s_wait_xcnt 0x1
	s_mov_b32 s40, s26
	s_branch .LBB229_31
.LBB229_38:                             ;   in Loop: Header=BB229_3 Depth=1
	s_mov_b32 s26, 0
.LBB229_39:                             ;   in Loop: Header=BB229_3 Depth=1
	s_delay_alu instid0(SALU_CYCLE_1)
	s_and_b32 vcc_lo, exec_lo, s26
	s_cbranch_vccz .LBB229_59
; %bb.40:                               ;   in Loop: Header=BB229_3 Depth=1
	s_mov_b32 s27, 0
	s_mov_b32 s26, s22
	s_branch .LBB229_42
.LBB229_41:                             ;   in Loop: Header=BB229_42 Depth=2
	s_cmp_gt_i32 s26, -1
	s_cselect_b32 s28, -1, 0
	s_add_co_i32 s29, s27, 1
	s_cmp_lt_u32 s27, 2
	s_wait_xcnt 0x0
	s_cselect_b32 s27, -1, 0
	s_delay_alu instid0(SALU_CYCLE_1) | instskip(NEXT) | instid1(SALU_CYCLE_1)
	s_and_b32 s27, s28, s27
	s_and_not1_b32 vcc_lo, exec_lo, s27
	s_mov_b32 s27, s29
	s_cbranch_vccnz .LBB229_59
.LBB229_42:                             ;   Parent Loop BB229_3 Depth=1
                                        ; =>  This Loop Header: Depth=2
                                        ;       Child Loop BB229_45 Depth 3
                                        ;         Child Loop BB229_46 Depth 4
                                        ;         Child Loop BB229_48 Depth 4
                                        ;           Child Loop BB229_49 Depth 5
                                        ;         Child Loop BB229_53 Depth 4
                                        ;           Child Loop BB229_55 Depth 5
	s_load_b32 s28, s[12:13], s27 offset:0x0 scale_offset
	s_wait_kmcnt 0x0
	s_add_co_i32 s29, s28, -1
	s_delay_alu instid0(SALU_CYCLE_1)
	s_cmp_lt_i32 s26, s29
	s_cbranch_scc1 .LBB229_41
; %bb.43:                               ;   in Loop: Header=BB229_42 Depth=2
	v_mad_u32 v4, 0x1c0, s26, v9
	s_lshl_b32 s33, s26, 4
	s_lshl_b32 s34, s28, 4
	s_max_i32 s30, s28, 1
	s_mul_i32 s31, s28, 0xfffffe40
	s_add_co_i32 s33, s25, s33
	s_sub_co_i32 s34, 0, s34
	s_mul_i32 s35, s26, 0x1d0
	s_mul_i32 s36, s28, 0xfffffe30
	s_branch .LBB229_45
.LBB229_44:                             ;   in Loop: Header=BB229_45 Depth=3
	v_add_nc_u32_e32 v4, s31, v4
	s_sub_co_i32 s26, s26, s28
	s_add_co_i32 s33, s33, s34
	s_add_co_i32 s35, s35, s36
	s_cmp_lt_i32 s26, s29
	s_cbranch_scc1 .LBB229_41
.LBB229_45:                             ;   Parent Loop BB229_3 Depth=1
                                        ;     Parent Loop BB229_42 Depth=2
                                        ; =>    This Loop Header: Depth=3
                                        ;         Child Loop BB229_46 Depth 4
                                        ;         Child Loop BB229_48 Depth 4
                                        ;           Child Loop BB229_49 Depth 5
                                        ;         Child Loop BB229_53 Depth 4
                                        ;           Child Loop BB229_55 Depth 5
	s_delay_alu instid0(VALU_DEP_1)
	v_mov_b32_e32 v0, v4
	s_mov_b32 s37, 0
	s_mov_b32 s38, s30
.LBB229_46:                             ;   Parent Loop BB229_3 Depth=1
                                        ;     Parent Loop BB229_42 Depth=2
                                        ;       Parent Loop BB229_45 Depth=3
                                        ; =>      This Inner Loop Header: Depth=4
	ds_load_b128 v[18:21], v0
	v_add_nc_u32_e32 v0, 0xfffffe40, v0
	s_add_co_i32 s38, s38, -1
	s_wait_dscnt 0x0
	scratch_store_b128 off, v[18:21], s37
	s_wait_xcnt 0x0
	s_add_co_i32 s37, s37, 16
	s_cmp_eq_u32 s38, 0
	s_cbranch_scc0 .LBB229_46
; %bb.47:                               ;   in Loop: Header=BB229_45 Depth=3
	s_cmp_le_i32 s22, s26
	s_mov_b32 s37, s33
	s_mov_b32 s38, s22
	s_cbranch_scc1 .LBB229_51
.LBB229_48:                             ;   Parent Loop BB229_3 Depth=1
                                        ;     Parent Loop BB229_42 Depth=2
                                        ;       Parent Loop BB229_45 Depth=3
                                        ; =>      This Loop Header: Depth=4
                                        ;           Child Loop BB229_49 Depth 5
	v_mad_u32 v0, 0x1c0, s38, v9
	s_mov_b32 s39, s18
	s_mov_b32 s40, s37
	;; [unrolled: 1-line block ×3, first 2 shown]
	ds_load_b128 v[0:3], v0
.LBB229_49:                             ;   Parent Loop BB229_3 Depth=1
                                        ;     Parent Loop BB229_42 Depth=2
                                        ;       Parent Loop BB229_45 Depth=3
                                        ;         Parent Loop BB229_48 Depth=4
                                        ; =>        This Inner Loop Header: Depth=5
	scratch_load_b128 v[18:21], off, s39 offset:-8
	v_mov_b32_e32 v5, s40
	s_add_co_i32 s41, s41, -1
	s_add_co_i32 s40, s40, -16
	ds_load_b128 v[22:25], v5
	s_wait_dscnt 0x0
	v_mul_f64_e32 v[6:7], v[2:3], v[24:25]
	v_mul_f64_e32 v[24:25], v[0:1], v[24:25]
	s_delay_alu instid0(VALU_DEP_2) | instskip(NEXT) | instid1(VALU_DEP_2)
	v_fma_f64 v[6:7], v[0:1], v[22:23], -v[6:7]
	v_fmac_f64_e32 v[24:25], v[2:3], v[22:23]
	s_wait_loadcnt 0x0
	s_delay_alu instid0(VALU_DEP_2) | instskip(NEXT) | instid1(VALU_DEP_2)
	v_add_f64_e64 v[18:19], v[18:19], -v[6:7]
	v_add_f64_e64 v[20:21], v[20:21], -v[24:25]
	scratch_store_b128 off, v[18:21], s39 offset:-8
	s_wait_xcnt 0x0
	s_add_co_i32 s39, s39, 16
	s_cmp_eq_u32 s41, 0
	s_cbranch_scc0 .LBB229_49
; %bb.50:                               ;   in Loop: Header=BB229_48 Depth=4
	s_add_co_i32 s38, s38, -1
	s_addk_co_i32 s37, 0xfe40
	s_cmp_le_i32 s38, s26
	s_cbranch_scc0 .LBB229_48
.LBB229_51:                             ;   in Loop: Header=BB229_45 Depth=3
	s_mov_b32 s37, 0
	s_mov_b32 s38, s35
	s_branch .LBB229_53
.LBB229_52:                             ;   in Loop: Header=BB229_53 Depth=4
	s_mul_i32 s40, s39, 0x1d0
	s_add_co_i32 s38, s38, -16
	v_mov_b32_e32 v5, s40
	ds_load_b128 v[18:21], v5
	s_wait_loadcnt_dscnt 0x0
	v_mul_f64_e32 v[6:7], v[20:21], v[2:3]
	s_wait_xcnt 0x0
	v_mul_f64_e32 v[24:25], v[18:19], v[2:3]
	s_delay_alu instid0(VALU_DEP_2) | instskip(NEXT) | instid1(VALU_DEP_2)
	v_fma_f64 v[22:23], v[18:19], v[0:1], -v[6:7]
	v_fmac_f64_e32 v[24:25], v[20:21], v[0:1]
	v_mad_u32 v0, 0x1c0, s39, v9
	s_lshl_b32 s39, s37, 4
	s_add_co_i32 s37, s37, 1
	s_delay_alu instid0(SALU_CYCLE_1)
	s_cmp_eq_u32 s37, s30
	scratch_store_b128 off, v[22:25], s39
	ds_store_b128 v0, v[22:25]
	s_cbranch_scc1 .LBB229_44
.LBB229_53:                             ;   Parent Loop BB229_3 Depth=1
                                        ;     Parent Loop BB229_42 Depth=2
                                        ;       Parent Loop BB229_45 Depth=3
                                        ; =>      This Loop Header: Depth=4
                                        ;           Child Loop BB229_55 Depth 5
	s_cmp_lg_u32 s37, 0
	s_cbranch_scc0 .LBB229_57
; %bb.54:                               ;   in Loop: Header=BB229_53 Depth=4
	s_lshl_b32 s40, s37, 4
	s_wait_xcnt 0x0
	s_sub_co_i32 s39, s26, s37
	scratch_load_b128 v[0:3], off, s40
	s_mov_b32 s41, s18
	s_mov_b32 s42, s38
	;; [unrolled: 1-line block ×3, first 2 shown]
.LBB229_55:                             ;   Parent Loop BB229_3 Depth=1
                                        ;     Parent Loop BB229_42 Depth=2
                                        ;       Parent Loop BB229_45 Depth=3
                                        ;         Parent Loop BB229_53 Depth=4
                                        ; =>        This Inner Loop Header: Depth=5
	scratch_load_b128 v[18:21], off, s41 offset:-8
	v_mov_b32_e32 v5, s42
	s_add_co_i32 s43, s43, -1
	s_addk_co_i32 s42, 0xfe40
	s_wait_xcnt 0x0
	s_add_co_i32 s41, s41, 16
	s_cmp_eq_u32 s43, 0
	ds_load_b128 v[22:25], v5
	s_wait_loadcnt_dscnt 0x0
	v_mul_f64_e32 v[6:7], v[24:25], v[20:21]
	v_mul_f64_e32 v[20:21], v[22:23], v[20:21]
	s_delay_alu instid0(VALU_DEP_2) | instskip(NEXT) | instid1(VALU_DEP_2)
	v_fma_f64 v[6:7], v[22:23], v[18:19], -v[6:7]
	v_fmac_f64_e32 v[20:21], v[24:25], v[18:19]
	s_delay_alu instid0(VALU_DEP_2) | instskip(NEXT) | instid1(VALU_DEP_2)
	v_add_f64_e64 v[0:1], v[0:1], -v[6:7]
	v_add_f64_e64 v[2:3], v[2:3], -v[20:21]
	scratch_store_b128 off, v[0:3], s40
	s_cbranch_scc0 .LBB229_55
; %bb.56:                               ;   in Loop: Header=BB229_53 Depth=4
	s_wait_xcnt 0x0
	s_branch .LBB229_52
.LBB229_57:                             ;   in Loop: Header=BB229_53 Depth=4
                                        ; implicit-def: $vgpr0_vgpr1
                                        ; implicit-def: $sgpr39
	s_cbranch_execz .LBB229_52
; %bb.58:                               ;   in Loop: Header=BB229_53 Depth=4
	scratch_load_b128 v[0:3], off, off
	s_wait_xcnt 0x1
	s_mov_b32 s39, s26
	s_branch .LBB229_52
.LBB229_59:                             ;   in Loop: Header=BB229_3 Depth=1
	; wave barrier
	s_wait_storecnt_dscnt 0x0
	s_wait_xcnt 0x0
	s_and_saveexec_b32 s26, s1
	s_cbranch_execz .LBB229_2
; %bb.60:                               ;   in Loop: Header=BB229_3 Depth=1
	v_add_nc_u64_e32 v[0:1], s[16:17], v[10:11]
	v_mov_b32_e32 v2, v9
	s_mov_b32 s16, s19
.LBB229_61:                             ;   Parent Loop BB229_3 Depth=1
                                        ; =>  This Inner Loop Header: Depth=2
	ds_load_2addr_b64 v[4:7], v2 offset1:1
	v_add_nc_u32_e32 v2, 0x1c0, v2
	s_add_co_i32 s16, s16, -1
	s_delay_alu instid0(SALU_CYCLE_1)
	s_cmp_lg_u32 s16, 0
	s_wait_dscnt 0x0
	global_store_b128 v[0:1], v[4:7], off
	s_wait_xcnt 0x0
	v_add_nc_u64_e32 v[0:1], 16, v[0:1]
	s_cbranch_scc1 .LBB229_61
	s_branch .LBB229_2
.LBB229_62:
	s_endpgm
	.section	.rodata,"a",@progbits
	.p2align	6, 0x0
	.amdhsa_kernel _ZL38rocblas_trsm_small_left_device_sharedBILi28ELi28ELb0E19rocblas_complex_numIdES1_PKS1_PS1_Ev13rocblas_fill_18rocblas_operation_17rocblas_diagonal_iiT3_T4_lilT5_lili
		.amdhsa_group_segment_fixed_size 25088
		.amdhsa_private_segment_fixed_size 464
		.amdhsa_kernarg_size 368
		.amdhsa_user_sgpr_count 2
		.amdhsa_user_sgpr_dispatch_ptr 0
		.amdhsa_user_sgpr_queue_ptr 0
		.amdhsa_user_sgpr_kernarg_segment_ptr 1
		.amdhsa_user_sgpr_dispatch_id 0
		.amdhsa_user_sgpr_kernarg_preload_length 0
		.amdhsa_user_sgpr_kernarg_preload_offset 0
		.amdhsa_user_sgpr_private_segment_size 0
		.amdhsa_wavefront_size32 1
		.amdhsa_uses_dynamic_stack 0
		.amdhsa_enable_private_segment 1
		.amdhsa_system_sgpr_workgroup_id_x 1
		.amdhsa_system_sgpr_workgroup_id_y 0
		.amdhsa_system_sgpr_workgroup_id_z 1
		.amdhsa_system_sgpr_workgroup_info 0
		.amdhsa_system_vgpr_workitem_id 0
		.amdhsa_next_free_vgpr 193
		.amdhsa_next_free_sgpr 45
		.amdhsa_named_barrier_count 0
		.amdhsa_reserve_vcc 1
		.amdhsa_float_round_mode_32 0
		.amdhsa_float_round_mode_16_64 0
		.amdhsa_float_denorm_mode_32 3
		.amdhsa_float_denorm_mode_16_64 3
		.amdhsa_fp16_overflow 0
		.amdhsa_memory_ordered 1
		.amdhsa_forward_progress 1
		.amdhsa_inst_pref_size 22
		.amdhsa_round_robin_scheduling 0
		.amdhsa_exception_fp_ieee_invalid_op 0
		.amdhsa_exception_fp_denorm_src 0
		.amdhsa_exception_fp_ieee_div_zero 0
		.amdhsa_exception_fp_ieee_overflow 0
		.amdhsa_exception_fp_ieee_underflow 0
		.amdhsa_exception_fp_ieee_inexact 0
		.amdhsa_exception_int_div_zero 0
	.end_amdhsa_kernel
	.section	.text._ZL38rocblas_trsm_small_left_device_sharedBILi28ELi28ELb0E19rocblas_complex_numIdES1_PKS1_PS1_Ev13rocblas_fill_18rocblas_operation_17rocblas_diagonal_iiT3_T4_lilT5_lili,"axG",@progbits,_ZL38rocblas_trsm_small_left_device_sharedBILi28ELi28ELb0E19rocblas_complex_numIdES1_PKS1_PS1_Ev13rocblas_fill_18rocblas_operation_17rocblas_diagonal_iiT3_T4_lilT5_lili,comdat
.Lfunc_end229:
	.size	_ZL38rocblas_trsm_small_left_device_sharedBILi28ELi28ELb0E19rocblas_complex_numIdES1_PKS1_PS1_Ev13rocblas_fill_18rocblas_operation_17rocblas_diagonal_iiT3_T4_lilT5_lili, .Lfunc_end229-_ZL38rocblas_trsm_small_left_device_sharedBILi28ELi28ELb0E19rocblas_complex_numIdES1_PKS1_PS1_Ev13rocblas_fill_18rocblas_operation_17rocblas_diagonal_iiT3_T4_lilT5_lili
                                        ; -- End function
	.set _ZL38rocblas_trsm_small_left_device_sharedBILi28ELi28ELb0E19rocblas_complex_numIdES1_PKS1_PS1_Ev13rocblas_fill_18rocblas_operation_17rocblas_diagonal_iiT3_T4_lilT5_lili.num_vgpr, 26
	.set _ZL38rocblas_trsm_small_left_device_sharedBILi28ELi28ELb0E19rocblas_complex_numIdES1_PKS1_PS1_Ev13rocblas_fill_18rocblas_operation_17rocblas_diagonal_iiT3_T4_lilT5_lili.num_agpr, 0
	.set _ZL38rocblas_trsm_small_left_device_sharedBILi28ELi28ELb0E19rocblas_complex_numIdES1_PKS1_PS1_Ev13rocblas_fill_18rocblas_operation_17rocblas_diagonal_iiT3_T4_lilT5_lili.numbered_sgpr, 45
	.set _ZL38rocblas_trsm_small_left_device_sharedBILi28ELi28ELb0E19rocblas_complex_numIdES1_PKS1_PS1_Ev13rocblas_fill_18rocblas_operation_17rocblas_diagonal_iiT3_T4_lilT5_lili.num_named_barrier, 0
	.set _ZL38rocblas_trsm_small_left_device_sharedBILi28ELi28ELb0E19rocblas_complex_numIdES1_PKS1_PS1_Ev13rocblas_fill_18rocblas_operation_17rocblas_diagonal_iiT3_T4_lilT5_lili.private_seg_size, 464
	.set _ZL38rocblas_trsm_small_left_device_sharedBILi28ELi28ELb0E19rocblas_complex_numIdES1_PKS1_PS1_Ev13rocblas_fill_18rocblas_operation_17rocblas_diagonal_iiT3_T4_lilT5_lili.uses_vcc, 1
	.set _ZL38rocblas_trsm_small_left_device_sharedBILi28ELi28ELb0E19rocblas_complex_numIdES1_PKS1_PS1_Ev13rocblas_fill_18rocblas_operation_17rocblas_diagonal_iiT3_T4_lilT5_lili.uses_flat_scratch, 0
	.set _ZL38rocblas_trsm_small_left_device_sharedBILi28ELi28ELb0E19rocblas_complex_numIdES1_PKS1_PS1_Ev13rocblas_fill_18rocblas_operation_17rocblas_diagonal_iiT3_T4_lilT5_lili.has_dyn_sized_stack, 0
	.set _ZL38rocblas_trsm_small_left_device_sharedBILi28ELi28ELb0E19rocblas_complex_numIdES1_PKS1_PS1_Ev13rocblas_fill_18rocblas_operation_17rocblas_diagonal_iiT3_T4_lilT5_lili.has_recursion, 0
	.set _ZL38rocblas_trsm_small_left_device_sharedBILi28ELi28ELb0E19rocblas_complex_numIdES1_PKS1_PS1_Ev13rocblas_fill_18rocblas_operation_17rocblas_diagonal_iiT3_T4_lilT5_lili.has_indirect_call, 0
	.section	.AMDGPU.csdata,"",@progbits
; Kernel info:
; codeLenInByte = 2752
; TotalNumSgprs: 47
; NumVgprs: 26
; ScratchSize: 464
; MemoryBound: 0
; FloatMode: 240
; IeeeMode: 1
; LDSByteSize: 25088 bytes/workgroup (compile time only)
; SGPRBlocks: 0
; VGPRBlocks: 12
; NumSGPRsForWavesPerEU: 47
; NumVGPRsForWavesPerEU: 193
; NamedBarCnt: 0
; Occupancy: 4
; WaveLimiterHint : 0
; COMPUTE_PGM_RSRC2:SCRATCH_EN: 1
; COMPUTE_PGM_RSRC2:USER_SGPR: 2
; COMPUTE_PGM_RSRC2:TRAP_HANDLER: 0
; COMPUTE_PGM_RSRC2:TGID_X_EN: 1
; COMPUTE_PGM_RSRC2:TGID_Y_EN: 0
; COMPUTE_PGM_RSRC2:TGID_Z_EN: 1
; COMPUTE_PGM_RSRC2:TIDIG_COMP_CNT: 0
	.section	.text._ZL30rocblas_trsm_small_left_deviceILi28ELi28ELb0E19rocblas_complex_numIdES1_PKS1_PS1_Ev13rocblas_fill_18rocblas_operation_17rocblas_diagonal_iiT3_T4_lilT5_lili,"axG",@progbits,_ZL30rocblas_trsm_small_left_deviceILi28ELi28ELb0E19rocblas_complex_numIdES1_PKS1_PS1_Ev13rocblas_fill_18rocblas_operation_17rocblas_diagonal_iiT3_T4_lilT5_lili,comdat
	.globl	_ZL30rocblas_trsm_small_left_deviceILi28ELi28ELb0E19rocblas_complex_numIdES1_PKS1_PS1_Ev13rocblas_fill_18rocblas_operation_17rocblas_diagonal_iiT3_T4_lilT5_lili ; -- Begin function _ZL30rocblas_trsm_small_left_deviceILi28ELi28ELb0E19rocblas_complex_numIdES1_PKS1_PS1_Ev13rocblas_fill_18rocblas_operation_17rocblas_diagonal_iiT3_T4_lilT5_lili
	.p2align	8
	.type	_ZL30rocblas_trsm_small_left_deviceILi28ELi28ELb0E19rocblas_complex_numIdES1_PKS1_PS1_Ev13rocblas_fill_18rocblas_operation_17rocblas_diagonal_iiT3_T4_lilT5_lili,@function
_ZL30rocblas_trsm_small_left_deviceILi28ELi28ELb0E19rocblas_complex_numIdES1_PKS1_PS1_Ev13rocblas_fill_18rocblas_operation_17rocblas_diagonal_iiT3_T4_lilT5_lili: ; @_ZL30rocblas_trsm_small_left_deviceILi28ELi28ELb0E19rocblas_complex_numIdES1_PKS1_PS1_Ev13rocblas_fill_18rocblas_operation_17rocblas_diagonal_iiT3_T4_lilT5_lili
; %bb.0:
	s_load_b32 s3, s[0:1], 0x68
	s_bfe_u32 s2, ttmp6, 0x40014
	s_lshr_b32 s5, ttmp7, 16
	s_add_co_i32 s2, s2, 1
	s_bfe_u32 s6, ttmp6, 0x40008
	s_mul_i32 s2, s5, s2
	s_getreg_b32 s4, hwreg(HW_REG_IB_STS2, 6, 4)
	s_add_co_i32 s6, s6, s2
	s_cmp_eq_u32 s4, 0
	s_mov_b32 s23, 0
	s_cselect_b32 s20, s5, s6
	s_wait_kmcnt 0x0
	s_cmp_ge_u32 s20, s3
	s_cbranch_scc1 .LBB230_59
; %bb.1:
	s_clause 0x5
	s_load_b32 s26, s[0:1], 0x38
	s_load_b96 s[8:10], s[0:1], 0x50
	s_load_b128 s[16:19], s[0:1], 0x4
	s_load_b32 s6, s[0:1], 0x70
	s_load_b64 s[24:25], s[0:1], 0x60
	s_load_b128 s[12:15], s[0:1], 0x40
	v_mov_b32_e32 v9, 0
	v_mul_u32_u24_e32 v1, 0x1c0, v0
	s_mov_b32 s39, 0
                                        ; implicit-def: $sgpr40
                                        ; implicit-def: $sgpr41
	v_lshlrev_b32_e32 v8, 4, v0
	s_wait_kmcnt 0x0
	s_ashr_i32 s27, s26, 31
	s_ashr_i32 s5, s10, 31
	s_cmp_eq_u32 s16, 0x71
	s_cselect_b32 s2, -1, 0
	s_bfe_u32 s7, ttmp6, 0x4000c
	s_min_i32 s33, s18, 28
	s_add_co_i32 s7, s7, 1
	s_add_co_i32 s18, s6, -1
	s_and_b32 s6, ttmp6, 15
	s_mul_i32 s7, ttmp9, s7
	s_lshl_b64 s[28:29], s[8:9], 4
	s_add_co_i32 s34, s33, -1
	s_add_co_i32 s6, s6, s7
	s_cmp_eq_u32 s4, 0
	s_mov_b32 s4, s10
	s_cselect_b32 s21, ttmp9, s6
	s_mul_i32 s38, s33, 0x1c0
	v_mad_u32 v2, s21, 28, v0
	s_delay_alu instid0(VALU_DEP_1) | instskip(NEXT) | instid1(VALU_DEP_1)
	v_ashrrev_i32_e32 v3, 31, v2
	v_mul_u64_e32 v[2:3], s[4:5], v[2:3]
	s_load_b256 s[4:11], s[0:1], 0x18
	s_wait_xcnt 0x0
	s_mul_i32 s0, s21, 0xffffffe4
	s_delay_alu instid0(SALU_CYCLE_1)
	s_add_co_i32 s0, s19, s0
	s_cmp_ge_u32 s21, s18
	s_cselect_b32 s18, s0, 28
	s_cmp_lg_u32 s17, 0x84
	s_cselect_b32 s35, -1, 0
	s_cmp_lg_u32 s16, 0x6f
	s_cselect_b32 s36, -1, 0
	s_or_b32 s37, 0, 8
	s_addk_co_i32 s38, 0xfe40
	s_wait_kmcnt 0x0
	s_lshl_b64 s[0:1], s[10:11], 4
	s_add_nc_u64 s[10:11], s[14:15], s[28:29]
	s_add_nc_u64 s[8:9], s[8:9], s[0:1]
	v_cmp_gt_i32_e64 s0, s33, v0
	v_add_nc_u64_e32 v[4:5], s[8:9], v[8:9]
	v_cmp_gt_i32_e64 s1, s18, v0
	v_add_nc_u32_e32 v9, v8, v1
	s_lshl_b64 s[8:9], s[12:13], 4
	s_lshl_b64 s[14:15], s[24:25], 4
	s_get_pc_i64 s[12:13]
	s_add_nc_u64 s[12:13], s[12:13], __const._ZL30rocblas_trsm_small_left_deviceILi28ELi28ELb0E19rocblas_complex_numIdES1_PKS1_PS1_Ev13rocblas_fill_18rocblas_operation_17rocblas_diagonal_iiT3_T4_lilT5_lili.step_sizes@rel64+4
	v_lshl_add_u64 v[10:11], v[2:3], 4, s[10:11]
	v_add_nc_u64_e32 v[12:13], 8, v[4:5]
	s_lshl_b64 s[10:11], s[26:27], 4
	s_delay_alu instid0(VALU_DEP_2)
	v_add_nc_u64_e32 v[14:15], 8, v[10:11]
	s_branch .LBB230_4
.LBB230_2:                              ;   in Loop: Header=BB230_4 Depth=1
	s_add_co_i32 s20, s20, 0x10000
	s_delay_alu instid0(SALU_CYCLE_1)
	s_cmp_ge_u32 s20, s3
	s_cselect_b32 s16, -1, 0
	s_and_not1_b32 s41, s41, exec_lo
	s_or_not1_b32 s16, s16, exec_lo
.LBB230_3:                              ;   in Loop: Header=BB230_4 Depth=1
	s_wait_xcnt 0x0
	s_or_b32 exec_lo, exec_lo, s42
	s_delay_alu instid0(SALU_CYCLE_1) | instskip(NEXT) | instid1(SALU_CYCLE_1)
	s_and_b32 s16, exec_lo, s16
	s_or_b32 s39, s16, s39
	s_and_not1_b32 s16, s40, exec_lo
	s_and_b32 s17, s41, exec_lo
	s_delay_alu instid0(SALU_CYCLE_1)
	s_or_b32 s40, s16, s17
	s_and_not1_b32 exec_lo, exec_lo, s39
	s_cbranch_execz .LBB230_58
.LBB230_4:                              ; =>This Loop Header: Depth=1
                                        ;     Child Loop BB230_6 Depth 2
                                        ;     Child Loop BB230_19 Depth 2
                                        ;       Child Loop BB230_22 Depth 3
                                        ;         Child Loop BB230_23 Depth 4
                                        ;         Child Loop BB230_26 Depth 4
                                        ;           Child Loop BB230_27 Depth 5
                                        ;         Child Loop BB230_31 Depth 4
                                        ;           Child Loop BB230_33 Depth 5
                                        ;     Child Loop BB230_41 Depth 2
                                        ;       Child Loop BB230_44 Depth 3
                                        ;         Child Loop BB230_45 Depth 4
                                        ;         Child Loop BB230_47 Depth 4
                                        ;           Child Loop BB230_48 Depth 5
                                        ;         Child Loop BB230_52 Depth 4
                                        ;           Child Loop BB230_54 Depth 5
	s_mov_b32 s21, s23
	s_and_saveexec_b32 s16, s0
	s_cbranch_execz .LBB230_15
; %bb.5:                                ;   in Loop: Header=BB230_4 Depth=1
	v_mad_nc_u64_u32 v[0:1], s8, s20, v[12:13]
	v_mov_b32_e32 v2, v8
	s_mov_b32 s17, s33
	s_delay_alu instid0(VALU_DEP_2)
	v_mad_u32 v1, s9, s20, v1
.LBB230_6:                              ;   Parent Loop BB230_4 Depth=1
                                        ; =>  This Inner Loop Header: Depth=2
	global_load_b128 v[4:7], v[0:1], off offset:-8
	s_wait_xcnt 0x0
	v_add_nc_u64_e32 v[0:1], s[10:11], v[0:1]
	s_add_co_i32 s17, s17, -1
	s_delay_alu instid0(SALU_CYCLE_1) | instskip(SKIP_2) | instid1(VALU_DEP_1)
	s_cmp_eq_u32 s17, 0
	s_wait_loadcnt 0x0
	v_xor_b32_e32 v3, 0x80000000, v7
	v_cndmask_b32_e64 v7, v7, v3, s2
	ds_store_b128 v2, v[4:7]
	v_add_nc_u32_e32 v2, 0x1c0, v2
	s_cbranch_scc0 .LBB230_6
; %bb.7:                                ;   in Loop: Header=BB230_4 Depth=1
	s_and_b32 vcc_lo, exec_lo, s35
	s_cbranch_vccz .LBB230_13
; %bb.8:                                ;   in Loop: Header=BB230_4 Depth=1
	ds_load_b128 v[0:3], v9
                                        ; implicit-def: $vgpr6_vgpr7
	s_wait_dscnt 0x0
	v_cmp_ngt_f64_e64 s17, |v[0:1]|, |v[2:3]|
	s_and_saveexec_b32 s18, s17
	s_delay_alu instid0(SALU_CYCLE_1)
	s_xor_b32 s17, exec_lo, s18
	s_cbranch_execz .LBB230_10
; %bb.9:                                ;   in Loop: Header=BB230_4 Depth=1
	v_div_scale_f64 v[4:5], null, v[2:3], v[2:3], v[0:1]
	v_div_scale_f64 v[18:19], vcc_lo, v[0:1], v[2:3], v[0:1]
	s_delay_alu instid0(VALU_DEP_2) | instskip(SKIP_1) | instid1(TRANS32_DEP_1)
	v_rcp_f64_e32 v[6:7], v[4:5]
	v_nop
	v_fma_f64 v[16:17], -v[4:5], v[6:7], 1.0
	s_delay_alu instid0(VALU_DEP_1) | instskip(NEXT) | instid1(VALU_DEP_1)
	v_fmac_f64_e32 v[6:7], v[6:7], v[16:17]
	v_fma_f64 v[16:17], -v[4:5], v[6:7], 1.0
	s_delay_alu instid0(VALU_DEP_1) | instskip(NEXT) | instid1(VALU_DEP_1)
	v_fmac_f64_e32 v[6:7], v[6:7], v[16:17]
	v_mul_f64_e32 v[16:17], v[18:19], v[6:7]
	s_delay_alu instid0(VALU_DEP_1) | instskip(NEXT) | instid1(VALU_DEP_1)
	v_fma_f64 v[4:5], -v[4:5], v[16:17], v[18:19]
	v_div_fmas_f64 v[4:5], v[4:5], v[6:7], v[16:17]
	s_delay_alu instid0(VALU_DEP_1) | instskip(NEXT) | instid1(VALU_DEP_1)
	v_div_fixup_f64 v[4:5], v[4:5], v[2:3], v[0:1]
	v_fmac_f64_e32 v[2:3], v[0:1], v[4:5]
	s_delay_alu instid0(VALU_DEP_1) | instskip(SKIP_1) | instid1(VALU_DEP_2)
	v_div_scale_f64 v[0:1], null, v[2:3], v[2:3], 1.0
	v_div_scale_f64 v[18:19], vcc_lo, 1.0, v[2:3], 1.0
	v_rcp_f64_e32 v[6:7], v[0:1]
	v_nop
	s_delay_alu instid0(TRANS32_DEP_1) | instskip(NEXT) | instid1(VALU_DEP_1)
	v_fma_f64 v[16:17], -v[0:1], v[6:7], 1.0
	v_fmac_f64_e32 v[6:7], v[6:7], v[16:17]
	s_delay_alu instid0(VALU_DEP_1) | instskip(NEXT) | instid1(VALU_DEP_1)
	v_fma_f64 v[16:17], -v[0:1], v[6:7], 1.0
	v_fmac_f64_e32 v[6:7], v[6:7], v[16:17]
	s_delay_alu instid0(VALU_DEP_1) | instskip(NEXT) | instid1(VALU_DEP_1)
	v_mul_f64_e32 v[16:17], v[18:19], v[6:7]
	v_fma_f64 v[0:1], -v[0:1], v[16:17], v[18:19]
	s_delay_alu instid0(VALU_DEP_1) | instskip(SKIP_1) | instid1(VALU_DEP_2)
	v_div_fmas_f64 v[0:1], v[0:1], v[6:7], v[16:17]
	v_add_f64_e32 v[6:7], 0, v[4:5]
	v_div_fixup_f64 v[0:1], v[0:1], v[2:3], 1.0
	v_fma_f64 v[2:3], v[4:5], 0, -1.0
	s_delay_alu instid0(VALU_DEP_2) | instskip(NEXT) | instid1(VALU_DEP_2)
	v_mul_f64_e32 v[4:5], v[6:7], v[0:1]
	v_mul_f64_e32 v[6:7], v[2:3], v[0:1]
                                        ; implicit-def: $vgpr0_vgpr1
.LBB230_10:                             ;   in Loop: Header=BB230_4 Depth=1
	s_and_not1_saveexec_b32 s17, s17
	s_cbranch_execz .LBB230_12
; %bb.11:                               ;   in Loop: Header=BB230_4 Depth=1
	v_div_scale_f64 v[4:5], null, v[0:1], v[0:1], v[2:3]
	v_div_scale_f64 v[18:19], vcc_lo, v[2:3], v[0:1], v[2:3]
	s_delay_alu instid0(VALU_DEP_2) | instskip(SKIP_1) | instid1(TRANS32_DEP_1)
	v_rcp_f64_e32 v[6:7], v[4:5]
	v_nop
	v_fma_f64 v[16:17], -v[4:5], v[6:7], 1.0
	s_delay_alu instid0(VALU_DEP_1) | instskip(NEXT) | instid1(VALU_DEP_1)
	v_fmac_f64_e32 v[6:7], v[6:7], v[16:17]
	v_fma_f64 v[16:17], -v[4:5], v[6:7], 1.0
	s_delay_alu instid0(VALU_DEP_1) | instskip(NEXT) | instid1(VALU_DEP_1)
	v_fmac_f64_e32 v[6:7], v[6:7], v[16:17]
	v_mul_f64_e32 v[16:17], v[18:19], v[6:7]
	s_delay_alu instid0(VALU_DEP_1) | instskip(NEXT) | instid1(VALU_DEP_1)
	v_fma_f64 v[4:5], -v[4:5], v[16:17], v[18:19]
	v_div_fmas_f64 v[4:5], v[4:5], v[6:7], v[16:17]
	s_delay_alu instid0(VALU_DEP_1) | instskip(NEXT) | instid1(VALU_DEP_1)
	v_div_fixup_f64 v[4:5], v[4:5], v[0:1], v[2:3]
	v_fmac_f64_e32 v[0:1], v[2:3], v[4:5]
	s_delay_alu instid0(VALU_DEP_1) | instskip(SKIP_1) | instid1(VALU_DEP_2)
	v_div_scale_f64 v[2:3], null, v[0:1], v[0:1], 1.0
	v_div_scale_f64 v[18:19], vcc_lo, 1.0, v[0:1], 1.0
	v_rcp_f64_e32 v[6:7], v[2:3]
	v_nop
	s_delay_alu instid0(TRANS32_DEP_1) | instskip(NEXT) | instid1(VALU_DEP_1)
	v_fma_f64 v[16:17], -v[2:3], v[6:7], 1.0
	v_fmac_f64_e32 v[6:7], v[6:7], v[16:17]
	s_delay_alu instid0(VALU_DEP_1) | instskip(NEXT) | instid1(VALU_DEP_1)
	v_fma_f64 v[16:17], -v[2:3], v[6:7], 1.0
	v_fmac_f64_e32 v[6:7], v[6:7], v[16:17]
	s_delay_alu instid0(VALU_DEP_1) | instskip(NEXT) | instid1(VALU_DEP_1)
	v_mul_f64_e32 v[16:17], v[18:19], v[6:7]
	v_fma_f64 v[2:3], -v[2:3], v[16:17], v[18:19]
	s_delay_alu instid0(VALU_DEP_1) | instskip(SKIP_1) | instid1(VALU_DEP_2)
	v_div_fmas_f64 v[2:3], v[2:3], v[6:7], v[16:17]
	v_fma_f64 v[6:7], v[4:5], 0, 1.0
	v_div_fixup_f64 v[0:1], v[2:3], v[0:1], 1.0
	v_add_f64_e64 v[2:3], -v[4:5], 0
	s_delay_alu instid0(VALU_DEP_2) | instskip(NEXT) | instid1(VALU_DEP_2)
	v_mul_f64_e32 v[4:5], v[6:7], v[0:1]
	v_mul_f64_e32 v[6:7], v[2:3], v[0:1]
.LBB230_12:                             ;   in Loop: Header=BB230_4 Depth=1
	s_or_b32 exec_lo, exec_lo, s17
	s_branch .LBB230_14
.LBB230_13:                             ;   in Loop: Header=BB230_4 Depth=1
	v_mov_b64_e32 v[6:7], 0
	v_mov_b64_e32 v[4:5], 1.0
.LBB230_14:                             ;   in Loop: Header=BB230_4 Depth=1
	ds_store_b128 v9, v[4:7]
.LBB230_15:                             ;   in Loop: Header=BB230_4 Depth=1
	s_or_b32 exec_lo, exec_lo, s16
	s_mov_b32 s16, -1
	s_or_b32 s41, s41, exec_lo
	s_wait_dscnt 0x0
	; wave barrier
	s_and_saveexec_b32 s42, s1
	s_cbranch_execz .LBB230_3
; %bb.16:                               ;   in Loop: Header=BB230_4 Depth=1
	s_mul_u64 s[16:17], s[24:25], s[20:21]
	s_and_not1_b32 vcc_lo, exec_lo, s36
	v_lshl_add_u64 v[4:5], s[16:17], 4, v[10:11]
	s_mul_u64 s[16:17], s[14:15], s[20:21]
	s_mov_b32 s18, -1
	s_cbranch_vccnz .LBB230_38
; %bb.17:                               ;   in Loop: Header=BB230_4 Depth=1
	v_add_nc_u64_e32 v[6:7], s[16:17], v[14:15]
	s_mov_b32 s21, 0
	s_mov_b32 s18, 0
	s_branch .LBB230_19
.LBB230_18:                             ;   in Loop: Header=BB230_19 Depth=2
	s_cmp_lt_i32 s18, s33
	s_cselect_b32 s19, -1, 0
	s_add_co_i32 s22, s21, 1
	s_cmp_lt_u32 s21, 2
	s_wait_xcnt 0x0
	s_cselect_b32 s21, -1, 0
	s_delay_alu instid0(SALU_CYCLE_1)
	s_and_b32 s19, s19, s21
	s_mov_b32 s21, s22
	s_and_b32 vcc_lo, exec_lo, s19
	s_cbranch_vccz .LBB230_37
.LBB230_19:                             ;   Parent Loop BB230_4 Depth=1
                                        ; =>  This Loop Header: Depth=2
                                        ;       Child Loop BB230_22 Depth 3
                                        ;         Child Loop BB230_23 Depth 4
                                        ;         Child Loop BB230_26 Depth 4
                                        ;           Child Loop BB230_27 Depth 5
                                        ;         Child Loop BB230_31 Depth 4
                                        ;           Child Loop BB230_33 Depth 5
	s_load_b32 s26, s[12:13], s21 offset:0x0 scale_offset
	s_wait_kmcnt 0x0
	s_add_co_i32 s43, s26, -1
	s_delay_alu instid0(SALU_CYCLE_1) | instskip(NEXT) | instid1(SALU_CYCLE_1)
	s_add_co_i32 s19, s43, s18
	s_cmp_ge_i32 s19, s33
	s_cbranch_scc1 .LBB230_18
; %bb.20:                               ;   in Loop: Header=BB230_19 Depth=2
	s_ashr_i32 s19, s18, 31
	s_ashr_i32 s27, s26, 31
	v_lshl_add_u64 v[16:17], s[18:19], 4, v[6:7]
	s_max_i32 s44, s26, 1
	s_lshl_b64 s[28:29], s[26:27], 4
	s_mul_i32 s19, s18, 0x1c0
	s_mul_i32 s27, s26, 0x1c0
	;; [unrolled: 1-line block ×4, first 2 shown]
	s_branch .LBB230_22
.LBB230_21:                             ;   in Loop: Header=BB230_22 Depth=3
	v_add_nc_u64_e32 v[16:17], s[28:29], v[16:17]
	s_add_co_i32 s18, s18, s26
	s_add_co_i32 s19, s19, s27
	;; [unrolled: 1-line block ×4, first 2 shown]
	s_cmp_ge_i32 s22, s33
	s_cbranch_scc1 .LBB230_18
.LBB230_22:                             ;   Parent Loop BB230_4 Depth=1
                                        ;     Parent Loop BB230_19 Depth=2
                                        ; =>    This Loop Header: Depth=3
                                        ;         Child Loop BB230_23 Depth 4
                                        ;         Child Loop BB230_26 Depth 4
                                        ;           Child Loop BB230_27 Depth 5
                                        ;         Child Loop BB230_31 Depth 4
                                        ;           Child Loop BB230_33 Depth 5
	s_wait_xcnt 0x0
	v_mov_b64_e32 v[0:1], v[16:17]
	s_mov_b32 s22, 8
	s_mov_b32 s30, s44
.LBB230_23:                             ;   Parent Loop BB230_4 Depth=1
                                        ;     Parent Loop BB230_19 Depth=2
                                        ;       Parent Loop BB230_22 Depth=3
                                        ; =>      This Inner Loop Header: Depth=4
	global_load_b128 v[18:21], v[0:1], off offset:-8
	s_wait_xcnt 0x0
	v_add_nc_u64_e32 v[0:1], 16, v[0:1]
	s_add_co_i32 s30, s30, -1
	s_mov_b32 s31, s22
	s_add_co_i32 s22, s22, 16
	s_cmp_eq_u32 s30, 0
	s_wait_loadcnt 0x0
	v_mul_f64_e32 v[2:3], s[6:7], v[20:21]
	v_mul_f64_e32 v[22:23], s[4:5], v[20:21]
	s_delay_alu instid0(VALU_DEP_2) | instskip(NEXT) | instid1(VALU_DEP_2)
	v_fma_f64 v[20:21], s[4:5], v[18:19], -v[2:3]
	v_fmac_f64_e32 v[22:23], s[6:7], v[18:19]
	scratch_store_b128 off, v[20:23], s31 offset:-8
	s_cbranch_scc0 .LBB230_23
; %bb.24:                               ;   in Loop: Header=BB230_22 Depth=3
	s_cmp_lt_i32 s18, 1
	s_cbranch_scc1 .LBB230_29
; %bb.25:                               ;   in Loop: Header=BB230_22 Depth=3
	s_mov_b32 s22, 0
	s_mov_b32 s30, s19
.LBB230_26:                             ;   Parent Loop BB230_4 Depth=1
                                        ;     Parent Loop BB230_19 Depth=2
                                        ;       Parent Loop BB230_22 Depth=3
                                        ; =>      This Loop Header: Depth=4
                                        ;           Child Loop BB230_27 Depth 5
	v_lshl_add_u64 v[0:1], s[22:23], 4, v[4:5]
	s_wait_xcnt 0x0
	s_mov_b32 s31, s37
	s_mov_b32 s47, s30
	;; [unrolled: 1-line block ×3, first 2 shown]
	global_load_b128 v[0:3], v[0:1], off
.LBB230_27:                             ;   Parent Loop BB230_4 Depth=1
                                        ;     Parent Loop BB230_19 Depth=2
                                        ;       Parent Loop BB230_22 Depth=3
                                        ;         Parent Loop BB230_26 Depth=4
                                        ; =>        This Inner Loop Header: Depth=5
	scratch_load_b128 v[18:21], off, s31 offset:-8
	v_mov_b32_e32 v22, s47
	s_add_co_i32 s48, s48, -1
	s_addk_co_i32 s47, 0x1c0
	ds_load_b128 v[22:25], v22
	s_wait_loadcnt_dscnt 0x100
	v_mul_f64_e32 v[26:27], v[2:3], v[24:25]
	v_mul_f64_e32 v[24:25], v[0:1], v[24:25]
	s_delay_alu instid0(VALU_DEP_2) | instskip(NEXT) | instid1(VALU_DEP_2)
	v_fma_f64 v[26:27], v[0:1], v[22:23], -v[26:27]
	v_fmac_f64_e32 v[24:25], v[2:3], v[22:23]
	s_wait_loadcnt 0x0
	s_delay_alu instid0(VALU_DEP_2) | instskip(NEXT) | instid1(VALU_DEP_2)
	v_add_f64_e64 v[18:19], v[18:19], -v[26:27]
	v_add_f64_e64 v[20:21], v[20:21], -v[24:25]
	scratch_store_b128 off, v[18:21], s31 offset:-8
	s_wait_xcnt 0x0
	s_add_co_i32 s31, s31, 16
	s_cmp_eq_u32 s48, 0
	s_cbranch_scc0 .LBB230_27
; %bb.28:                               ;   in Loop: Header=BB230_26 Depth=4
	s_add_co_i32 s22, s22, 1
	s_add_co_i32 s30, s30, 16
	s_cmp_eq_u32 s22, s18
	s_cbranch_scc0 .LBB230_26
.LBB230_29:                             ;   in Loop: Header=BB230_22 Depth=3
	s_mov_b32 s22, 0
	s_mov_b32 s47, s45
	s_branch .LBB230_31
.LBB230_30:                             ;   in Loop: Header=BB230_31 Depth=4
	s_mul_i32 s31, s30, 0x1d0
	s_lshl_b32 s48, s22, 4
	v_mov_b32_e32 v18, s31
	s_ashr_i32 s31, s30, 31
	s_add_co_i32 s22, s22, 1
	s_addk_co_i32 s47, 0x1c0
	s_cmp_eq_u32 s22, s44
	ds_load_b128 v[18:21], v18
	s_wait_loadcnt_dscnt 0x0
	v_mul_f64_e32 v[22:23], v[20:21], v[2:3]
	v_mul_f64_e32 v[24:25], v[18:19], v[2:3]
	s_delay_alu instid0(VALU_DEP_2) | instskip(NEXT) | instid1(VALU_DEP_2)
	v_fma_f64 v[22:23], v[18:19], v[0:1], -v[22:23]
	v_fmac_f64_e32 v[24:25], v[20:21], v[0:1]
	v_lshl_add_u64 v[0:1], s[30:31], 4, v[4:5]
	scratch_store_b128 off, v[22:25], s48
	global_store_b128 v[0:1], v[22:25], off
	s_cbranch_scc1 .LBB230_21
.LBB230_31:                             ;   Parent Loop BB230_4 Depth=1
                                        ;     Parent Loop BB230_19 Depth=2
                                        ;       Parent Loop BB230_22 Depth=3
                                        ; =>      This Loop Header: Depth=4
                                        ;           Child Loop BB230_33 Depth 5
	s_cmp_lg_u32 s22, 0
	s_cbranch_scc0 .LBB230_35
; %bb.32:                               ;   in Loop: Header=BB230_31 Depth=4
	s_wait_xcnt 0x0
	s_lshl_b32 s31, s22, 4
	s_add_co_i32 s30, s22, s18
	scratch_load_b128 v[0:3], off, s31
	s_mov_b32 s48, s47
	s_mov_b32 s49, s37
	;; [unrolled: 1-line block ×3, first 2 shown]
.LBB230_33:                             ;   Parent Loop BB230_4 Depth=1
                                        ;     Parent Loop BB230_19 Depth=2
                                        ;       Parent Loop BB230_22 Depth=3
                                        ;         Parent Loop BB230_31 Depth=4
                                        ; =>        This Inner Loop Header: Depth=5
	scratch_load_b128 v[18:21], off, s49 offset:-8
	v_mov_b32_e32 v22, s48
	s_add_co_i32 s50, s50, -1
	s_wait_xcnt 0x0
	s_add_co_i32 s49, s49, 16
	s_add_co_i32 s48, s48, 16
	s_cmp_eq_u32 s50, 0
	ds_load_b128 v[22:25], v22
	s_wait_loadcnt_dscnt 0x0
	v_mul_f64_e32 v[26:27], v[24:25], v[20:21]
	v_mul_f64_e32 v[20:21], v[22:23], v[20:21]
	s_delay_alu instid0(VALU_DEP_2) | instskip(NEXT) | instid1(VALU_DEP_2)
	v_fma_f64 v[22:23], v[22:23], v[18:19], -v[26:27]
	v_fmac_f64_e32 v[20:21], v[24:25], v[18:19]
	s_delay_alu instid0(VALU_DEP_2) | instskip(NEXT) | instid1(VALU_DEP_2)
	v_add_f64_e64 v[0:1], v[0:1], -v[22:23]
	v_add_f64_e64 v[2:3], v[2:3], -v[20:21]
	scratch_store_b128 off, v[0:3], s31
	s_cbranch_scc0 .LBB230_33
; %bb.34:                               ;   in Loop: Header=BB230_31 Depth=4
	s_wait_xcnt 0x0
	s_branch .LBB230_30
.LBB230_35:                             ;   in Loop: Header=BB230_31 Depth=4
	s_wait_xcnt 0x0
                                        ; implicit-def: $vgpr0_vgpr1
                                        ; implicit-def: $sgpr30
	s_cbranch_execz .LBB230_30
; %bb.36:                               ;   in Loop: Header=BB230_31 Depth=4
	scratch_load_b128 v[0:3], off, off
	s_mov_b32 s30, s18
	s_branch .LBB230_30
.LBB230_37:                             ;   in Loop: Header=BB230_4 Depth=1
	s_mov_b32 s18, 0
.LBB230_38:                             ;   in Loop: Header=BB230_4 Depth=1
	s_delay_alu instid0(SALU_CYCLE_1)
	s_and_b32 vcc_lo, exec_lo, s18
	s_cbranch_vccz .LBB230_2
; %bb.39:                               ;   in Loop: Header=BB230_4 Depth=1
	v_add_nc_u64_e32 v[6:7], s[16:17], v[14:15]
	s_mov_b32 s21, 0
	s_mov_b32 s16, s34
	s_branch .LBB230_41
.LBB230_40:                             ;   in Loop: Header=BB230_41 Depth=2
	s_cmp_gt_i32 s16, -1
	s_cselect_b32 s17, -1, 0
	s_add_co_i32 s18, s21, 1
	s_cmp_lt_u32 s21, 2
	s_wait_xcnt 0x0
	s_mov_b32 s21, s18
	s_cselect_b32 s19, -1, 0
	s_delay_alu instid0(SALU_CYCLE_1) | instskip(NEXT) | instid1(SALU_CYCLE_1)
	s_and_b32 s17, s17, s19
	s_and_not1_b32 vcc_lo, exec_lo, s17
	s_cbranch_vccnz .LBB230_2
.LBB230_41:                             ;   Parent Loop BB230_4 Depth=1
                                        ; =>  This Loop Header: Depth=2
                                        ;       Child Loop BB230_44 Depth 3
                                        ;         Child Loop BB230_45 Depth 4
                                        ;         Child Loop BB230_47 Depth 4
                                        ;           Child Loop BB230_48 Depth 5
                                        ;         Child Loop BB230_52 Depth 4
                                        ;           Child Loop BB230_54 Depth 5
	s_load_b32 s22, s[12:13], s21 offset:0x0 scale_offset
	s_wait_kmcnt 0x0
	s_add_co_i32 s28, s22, -1
	s_delay_alu instid0(SALU_CYCLE_1)
	s_cmp_lt_i32 s16, s28
	s_cbranch_scc1 .LBB230_40
; %bb.42:                               ;   in Loop: Header=BB230_41 Depth=2
	s_lshl_b32 s17, s16, 4
	s_lshl_b32 s18, s22, 4
	s_max_i32 s29, s22, 1
	s_add_co_i32 s30, s38, s17
	s_sub_co_i32 s31, 0, s18
	s_mul_i32 s43, s16, 0x1d0
	s_mul_i32 s44, s22, 0xfffffe30
	s_branch .LBB230_44
.LBB230_43:                             ;   in Loop: Header=BB230_44 Depth=3
	s_sub_co_i32 s16, s16, s22
	s_add_co_i32 s30, s30, s31
	s_add_co_i32 s43, s43, s44
	s_cmp_lt_i32 s16, s28
	s_cbranch_scc1 .LBB230_40
.LBB230_44:                             ;   Parent Loop BB230_4 Depth=1
                                        ;     Parent Loop BB230_41 Depth=2
                                        ; =>    This Loop Header: Depth=3
                                        ;         Child Loop BB230_45 Depth 4
                                        ;         Child Loop BB230_47 Depth 4
                                        ;           Child Loop BB230_48 Depth 5
                                        ;         Child Loop BB230_52 Depth 4
                                        ;           Child Loop BB230_54 Depth 5
	s_ashr_i32 s17, s16, 31
	s_mov_b32 s18, 8
	s_wait_xcnt 0x0
	v_lshl_add_u64 v[0:1], s[16:17], 4, v[6:7]
	s_mov_b32 s19, s29
.LBB230_45:                             ;   Parent Loop BB230_4 Depth=1
                                        ;     Parent Loop BB230_41 Depth=2
                                        ;       Parent Loop BB230_44 Depth=3
                                        ; =>      This Inner Loop Header: Depth=4
	global_load_b128 v[16:19], v[0:1], off offset:-8
	s_wait_xcnt 0x0
	v_add_nc_u64_e32 v[0:1], -16, v[0:1]
	s_add_co_i32 s19, s19, -1
	s_mov_b32 s26, s18
	s_add_co_i32 s18, s18, 16
	s_cmp_eq_u32 s19, 0
	s_wait_loadcnt 0x0
	v_mul_f64_e32 v[2:3], s[6:7], v[18:19]
	v_mul_f64_e32 v[20:21], s[4:5], v[18:19]
	s_delay_alu instid0(VALU_DEP_2) | instskip(NEXT) | instid1(VALU_DEP_2)
	v_fma_f64 v[18:19], s[4:5], v[16:17], -v[2:3]
	v_fmac_f64_e32 v[20:21], s[6:7], v[16:17]
	scratch_store_b128 off, v[18:21], s26 offset:-8
	s_cbranch_scc0 .LBB230_45
; %bb.46:                               ;   in Loop: Header=BB230_44 Depth=3
	s_cmp_le_i32 s34, s16
	s_wait_xcnt 0x0
	s_mov_b32 s26, s30
	s_mov_b32 s18, s34
	s_cbranch_scc1 .LBB230_50
.LBB230_47:                             ;   Parent Loop BB230_4 Depth=1
                                        ;     Parent Loop BB230_41 Depth=2
                                        ;       Parent Loop BB230_44 Depth=3
                                        ; =>      This Loop Header: Depth=4
                                        ;           Child Loop BB230_48 Depth 5
	s_ashr_i32 s19, s18, 31
	s_mov_b32 s27, s26
	v_lshl_add_u64 v[0:1], s[18:19], 4, v[4:5]
	s_mov_b32 s19, s37
	s_mov_b32 s45, s29
	global_load_b128 v[0:3], v[0:1], off
.LBB230_48:                             ;   Parent Loop BB230_4 Depth=1
                                        ;     Parent Loop BB230_41 Depth=2
                                        ;       Parent Loop BB230_44 Depth=3
                                        ;         Parent Loop BB230_47 Depth=4
                                        ; =>        This Inner Loop Header: Depth=5
	scratch_load_b128 v[16:19], off, s19 offset:-8
	v_mov_b32_e32 v20, s27
	s_add_co_i32 s45, s45, -1
	s_add_co_i32 s27, s27, -16
	ds_load_b128 v[20:23], v20
	s_wait_loadcnt_dscnt 0x100
	v_mul_f64_e32 v[24:25], v[2:3], v[22:23]
	v_mul_f64_e32 v[22:23], v[0:1], v[22:23]
	s_delay_alu instid0(VALU_DEP_2) | instskip(NEXT) | instid1(VALU_DEP_2)
	v_fma_f64 v[24:25], v[0:1], v[20:21], -v[24:25]
	v_fmac_f64_e32 v[22:23], v[2:3], v[20:21]
	s_wait_loadcnt 0x0
	s_delay_alu instid0(VALU_DEP_2) | instskip(NEXT) | instid1(VALU_DEP_2)
	v_add_f64_e64 v[16:17], v[16:17], -v[24:25]
	v_add_f64_e64 v[18:19], v[18:19], -v[22:23]
	scratch_store_b128 off, v[16:19], s19 offset:-8
	s_wait_xcnt 0x0
	s_add_co_i32 s19, s19, 16
	s_cmp_eq_u32 s45, 0
	s_cbranch_scc0 .LBB230_48
; %bb.49:                               ;   in Loop: Header=BB230_47 Depth=4
	s_add_co_i32 s18, s18, -1
	s_addk_co_i32 s26, 0xfe40
	s_cmp_le_i32 s18, s16
	s_cbranch_scc0 .LBB230_47
.LBB230_50:                             ;   in Loop: Header=BB230_44 Depth=3
	s_mov_b32 s45, 0
	s_mov_b32 s46, s43
	s_branch .LBB230_52
.LBB230_51:                             ;   in Loop: Header=BB230_52 Depth=4
	s_wait_xcnt 0x1
	s_mulk_i32 s26, 0x1d0
	s_add_co_i32 s46, s46, -16
	v_mov_b32_e32 v16, s26
	s_lshl_b32 s26, s45, 4
	s_add_co_i32 s45, s45, 1
	s_delay_alu instid0(SALU_CYCLE_1)
	s_cmp_eq_u32 s45, s29
	ds_load_b128 v[16:19], v16
	s_wait_loadcnt_dscnt 0x0
	s_wait_xcnt 0x0
	v_mul_f64_e32 v[20:21], v[18:19], v[2:3]
	v_mul_f64_e32 v[22:23], v[16:17], v[2:3]
	s_delay_alu instid0(VALU_DEP_2) | instskip(NEXT) | instid1(VALU_DEP_2)
	v_fma_f64 v[20:21], v[16:17], v[0:1], -v[20:21]
	v_fmac_f64_e32 v[22:23], v[18:19], v[0:1]
	v_lshl_add_u64 v[0:1], s[18:19], 4, v[4:5]
	scratch_store_b128 off, v[20:23], s26
	global_store_b128 v[0:1], v[20:23], off
	s_cbranch_scc1 .LBB230_43
.LBB230_52:                             ;   Parent Loop BB230_4 Depth=1
                                        ;     Parent Loop BB230_41 Depth=2
                                        ;       Parent Loop BB230_44 Depth=3
                                        ; =>      This Loop Header: Depth=4
                                        ;           Child Loop BB230_54 Depth 5
	s_cmp_lg_u32 s45, 0
	s_cbranch_scc0 .LBB230_56
; %bb.53:                               ;   in Loop: Header=BB230_52 Depth=4
	s_lshl_b32 s18, s45, 4
	s_mov_b32 s19, s37
	scratch_load_b128 v[0:3], off, s18
	s_mov_b32 s26, s46
	s_mov_b32 s27, s45
.LBB230_54:                             ;   Parent Loop BB230_4 Depth=1
                                        ;     Parent Loop BB230_41 Depth=2
                                        ;       Parent Loop BB230_44 Depth=3
                                        ;         Parent Loop BB230_52 Depth=4
                                        ; =>        This Inner Loop Header: Depth=5
	scratch_load_b128 v[16:19], off, s19 offset:-8
	v_mov_b32_e32 v20, s26
	s_add_co_i32 s27, s27, -1
	s_addk_co_i32 s26, 0xfe40
	s_wait_xcnt 0x0
	s_add_co_i32 s19, s19, 16
	s_cmp_eq_u32 s27, 0
	ds_load_b128 v[20:23], v20
	s_wait_loadcnt_dscnt 0x0
	v_mul_f64_e32 v[24:25], v[22:23], v[18:19]
	v_mul_f64_e32 v[18:19], v[20:21], v[18:19]
	s_delay_alu instid0(VALU_DEP_2) | instskip(NEXT) | instid1(VALU_DEP_2)
	v_fma_f64 v[20:21], v[20:21], v[16:17], -v[24:25]
	v_fmac_f64_e32 v[18:19], v[22:23], v[16:17]
	s_delay_alu instid0(VALU_DEP_2) | instskip(NEXT) | instid1(VALU_DEP_2)
	v_add_f64_e64 v[0:1], v[0:1], -v[20:21]
	v_add_f64_e64 v[2:3], v[2:3], -v[18:19]
	scratch_store_b128 off, v[0:3], s18
	s_cbranch_scc0 .LBB230_54
; %bb.55:                               ;   in Loop: Header=BB230_52 Depth=4
	s_sub_co_i32 s26, s16, s45
	s_delay_alu instid0(SALU_CYCLE_1)
	s_ashr_i32 s27, s26, 31
	s_wait_xcnt 0x0
	s_mov_b64 s[18:19], s[26:27]
	s_branch .LBB230_51
.LBB230_56:                             ;   in Loop: Header=BB230_52 Depth=4
                                        ; implicit-def: $vgpr0_vgpr1
                                        ; implicit-def: $sgpr26
                                        ; implicit-def: $sgpr18_sgpr19
	s_cbranch_execz .LBB230_51
; %bb.57:                               ;   in Loop: Header=BB230_52 Depth=4
	scratch_load_b128 v[0:3], off, off
	s_mov_b64 s[18:19], s[16:17]
	s_mov_b32 s26, s16
	s_branch .LBB230_51
.LBB230_58:
	s_or_b32 exec_lo, exec_lo, s39
	s_and_saveexec_b32 s0, s40
	s_delay_alu instid0(SALU_CYCLE_1)
	s_xor_b32 s0, exec_lo, s0
.LBB230_59:
	s_endpgm
	.section	.rodata,"a",@progbits
	.p2align	6, 0x0
	.amdhsa_kernel _ZL30rocblas_trsm_small_left_deviceILi28ELi28ELb0E19rocblas_complex_numIdES1_PKS1_PS1_Ev13rocblas_fill_18rocblas_operation_17rocblas_diagonal_iiT3_T4_lilT5_lili
		.amdhsa_group_segment_fixed_size 12544
		.amdhsa_private_segment_fixed_size 464
		.amdhsa_kernarg_size 368
		.amdhsa_user_sgpr_count 2
		.amdhsa_user_sgpr_dispatch_ptr 0
		.amdhsa_user_sgpr_queue_ptr 0
		.amdhsa_user_sgpr_kernarg_segment_ptr 1
		.amdhsa_user_sgpr_dispatch_id 0
		.amdhsa_user_sgpr_kernarg_preload_length 0
		.amdhsa_user_sgpr_kernarg_preload_offset 0
		.amdhsa_user_sgpr_private_segment_size 0
		.amdhsa_wavefront_size32 1
		.amdhsa_uses_dynamic_stack 0
		.amdhsa_enable_private_segment 1
		.amdhsa_system_sgpr_workgroup_id_x 1
		.amdhsa_system_sgpr_workgroup_id_y 0
		.amdhsa_system_sgpr_workgroup_id_z 1
		.amdhsa_system_sgpr_workgroup_info 0
		.amdhsa_system_vgpr_workitem_id 0
		.amdhsa_next_free_vgpr 129
		.amdhsa_next_free_sgpr 51
		.amdhsa_named_barrier_count 0
		.amdhsa_reserve_vcc 1
		.amdhsa_float_round_mode_32 0
		.amdhsa_float_round_mode_16_64 0
		.amdhsa_float_denorm_mode_32 3
		.amdhsa_float_denorm_mode_16_64 3
		.amdhsa_fp16_overflow 0
		.amdhsa_memory_ordered 1
		.amdhsa_forward_progress 1
		.amdhsa_inst_pref_size 22
		.amdhsa_round_robin_scheduling 0
		.amdhsa_exception_fp_ieee_invalid_op 0
		.amdhsa_exception_fp_denorm_src 0
		.amdhsa_exception_fp_ieee_div_zero 0
		.amdhsa_exception_fp_ieee_overflow 0
		.amdhsa_exception_fp_ieee_underflow 0
		.amdhsa_exception_fp_ieee_inexact 0
		.amdhsa_exception_int_div_zero 0
	.end_amdhsa_kernel
	.section	.text._ZL30rocblas_trsm_small_left_deviceILi28ELi28ELb0E19rocblas_complex_numIdES1_PKS1_PS1_Ev13rocblas_fill_18rocblas_operation_17rocblas_diagonal_iiT3_T4_lilT5_lili,"axG",@progbits,_ZL30rocblas_trsm_small_left_deviceILi28ELi28ELb0E19rocblas_complex_numIdES1_PKS1_PS1_Ev13rocblas_fill_18rocblas_operation_17rocblas_diagonal_iiT3_T4_lilT5_lili,comdat
.Lfunc_end230:
	.size	_ZL30rocblas_trsm_small_left_deviceILi28ELi28ELb0E19rocblas_complex_numIdES1_PKS1_PS1_Ev13rocblas_fill_18rocblas_operation_17rocblas_diagonal_iiT3_T4_lilT5_lili, .Lfunc_end230-_ZL30rocblas_trsm_small_left_deviceILi28ELi28ELb0E19rocblas_complex_numIdES1_PKS1_PS1_Ev13rocblas_fill_18rocblas_operation_17rocblas_diagonal_iiT3_T4_lilT5_lili
                                        ; -- End function
	.set _ZL30rocblas_trsm_small_left_deviceILi28ELi28ELb0E19rocblas_complex_numIdES1_PKS1_PS1_Ev13rocblas_fill_18rocblas_operation_17rocblas_diagonal_iiT3_T4_lilT5_lili.num_vgpr, 28
	.set _ZL30rocblas_trsm_small_left_deviceILi28ELi28ELb0E19rocblas_complex_numIdES1_PKS1_PS1_Ev13rocblas_fill_18rocblas_operation_17rocblas_diagonal_iiT3_T4_lilT5_lili.num_agpr, 0
	.set _ZL30rocblas_trsm_small_left_deviceILi28ELi28ELb0E19rocblas_complex_numIdES1_PKS1_PS1_Ev13rocblas_fill_18rocblas_operation_17rocblas_diagonal_iiT3_T4_lilT5_lili.numbered_sgpr, 51
	.set _ZL30rocblas_trsm_small_left_deviceILi28ELi28ELb0E19rocblas_complex_numIdES1_PKS1_PS1_Ev13rocblas_fill_18rocblas_operation_17rocblas_diagonal_iiT3_T4_lilT5_lili.num_named_barrier, 0
	.set _ZL30rocblas_trsm_small_left_deviceILi28ELi28ELb0E19rocblas_complex_numIdES1_PKS1_PS1_Ev13rocblas_fill_18rocblas_operation_17rocblas_diagonal_iiT3_T4_lilT5_lili.private_seg_size, 464
	.set _ZL30rocblas_trsm_small_left_deviceILi28ELi28ELb0E19rocblas_complex_numIdES1_PKS1_PS1_Ev13rocblas_fill_18rocblas_operation_17rocblas_diagonal_iiT3_T4_lilT5_lili.uses_vcc, 1
	.set _ZL30rocblas_trsm_small_left_deviceILi28ELi28ELb0E19rocblas_complex_numIdES1_PKS1_PS1_Ev13rocblas_fill_18rocblas_operation_17rocblas_diagonal_iiT3_T4_lilT5_lili.uses_flat_scratch, 0
	.set _ZL30rocblas_trsm_small_left_deviceILi28ELi28ELb0E19rocblas_complex_numIdES1_PKS1_PS1_Ev13rocblas_fill_18rocblas_operation_17rocblas_diagonal_iiT3_T4_lilT5_lili.has_dyn_sized_stack, 0
	.set _ZL30rocblas_trsm_small_left_deviceILi28ELi28ELb0E19rocblas_complex_numIdES1_PKS1_PS1_Ev13rocblas_fill_18rocblas_operation_17rocblas_diagonal_iiT3_T4_lilT5_lili.has_recursion, 0
	.set _ZL30rocblas_trsm_small_left_deviceILi28ELi28ELb0E19rocblas_complex_numIdES1_PKS1_PS1_Ev13rocblas_fill_18rocblas_operation_17rocblas_diagonal_iiT3_T4_lilT5_lili.has_indirect_call, 0
	.section	.AMDGPU.csdata,"",@progbits
; Kernel info:
; codeLenInByte = 2708
; TotalNumSgprs: 53
; NumVgprs: 28
; ScratchSize: 464
; MemoryBound: 0
; FloatMode: 240
; IeeeMode: 1
; LDSByteSize: 12544 bytes/workgroup (compile time only)
; SGPRBlocks: 0
; VGPRBlocks: 8
; NumSGPRsForWavesPerEU: 53
; NumVGPRsForWavesPerEU: 129
; NamedBarCnt: 0
; Occupancy: 7
; WaveLimiterHint : 0
; COMPUTE_PGM_RSRC2:SCRATCH_EN: 1
; COMPUTE_PGM_RSRC2:USER_SGPR: 2
; COMPUTE_PGM_RSRC2:TRAP_HANDLER: 0
; COMPUTE_PGM_RSRC2:TGID_X_EN: 1
; COMPUTE_PGM_RSRC2:TGID_Y_EN: 0
; COMPUTE_PGM_RSRC2:TGID_Z_EN: 1
; COMPUTE_PGM_RSRC2:TIDIG_COMP_CNT: 0
	.section	.text._ZL38rocblas_trsm_small_left_device_sharedBILi28ELi28ELb1E19rocblas_complex_numIdES1_PKS1_PS1_Ev13rocblas_fill_18rocblas_operation_17rocblas_diagonal_iiT3_T4_lilT5_lili,"axG",@progbits,_ZL38rocblas_trsm_small_left_device_sharedBILi28ELi28ELb1E19rocblas_complex_numIdES1_PKS1_PS1_Ev13rocblas_fill_18rocblas_operation_17rocblas_diagonal_iiT3_T4_lilT5_lili,comdat
	.globl	_ZL38rocblas_trsm_small_left_device_sharedBILi28ELi28ELb1E19rocblas_complex_numIdES1_PKS1_PS1_Ev13rocblas_fill_18rocblas_operation_17rocblas_diagonal_iiT3_T4_lilT5_lili ; -- Begin function _ZL38rocblas_trsm_small_left_device_sharedBILi28ELi28ELb1E19rocblas_complex_numIdES1_PKS1_PS1_Ev13rocblas_fill_18rocblas_operation_17rocblas_diagonal_iiT3_T4_lilT5_lili
	.p2align	8
	.type	_ZL38rocblas_trsm_small_left_device_sharedBILi28ELi28ELb1E19rocblas_complex_numIdES1_PKS1_PS1_Ev13rocblas_fill_18rocblas_operation_17rocblas_diagonal_iiT3_T4_lilT5_lili,@function
_ZL38rocblas_trsm_small_left_device_sharedBILi28ELi28ELb1E19rocblas_complex_numIdES1_PKS1_PS1_Ev13rocblas_fill_18rocblas_operation_17rocblas_diagonal_iiT3_T4_lilT5_lili: ; @_ZL38rocblas_trsm_small_left_device_sharedBILi28ELi28ELb1E19rocblas_complex_numIdES1_PKS1_PS1_Ev13rocblas_fill_18rocblas_operation_17rocblas_diagonal_iiT3_T4_lilT5_lili
; %bb.0:
	s_load_b32 s3, s[0:1], 0x68
	s_bfe_u32 s2, ttmp6, 0x40014
	s_lshr_b32 s4, ttmp7, 16
	s_add_co_i32 s2, s2, 1
	s_bfe_u32 s5, ttmp6, 0x40008
	s_mul_i32 s2, s4, s2
	s_getreg_b32 s8, hwreg(HW_REG_IB_STS2, 6, 4)
	s_add_co_i32 s5, s5, s2
	s_cmp_eq_u32 s8, 0
	s_mov_b32 s21, 0
	s_cselect_b32 s20, s4, s5
	s_wait_kmcnt 0x0
	s_cmp_ge_u32 s20, s3
	s_cbranch_scc1 .LBB231_62
; %bb.1:
	s_clause 0x5
	s_load_b32 s26, s[0:1], 0x38
	s_load_b96 s[16:18], s[0:1], 0x50
	s_load_b128 s[4:7], s[0:1], 0x4
	s_load_b32 s9, s[0:1], 0x70
	s_load_b64 s[28:29], s[0:1], 0x60
	s_load_b128 s[12:15], s[0:1], 0x40
	v_dual_mov_b32 v9, 0 :: v_dual_lshlrev_b32 v8, 4, v0
	s_wait_kmcnt 0x0
	s_ashr_i32 s27, s26, 31
	s_ashr_i32 s25, s18, 31
	s_cmp_eq_u32 s4, 0x71
	s_cselect_b32 s2, -1, 0
	s_bfe_u32 s10, ttmp6, 0x4000c
	s_min_i32 s19, s6, 28
	s_add_co_i32 s10, s10, 1
	s_and_b32 s11, ttmp6, 15
	s_mul_i32 s10, ttmp9, s10
	s_add_co_i32 s9, s9, -1
	s_add_co_i32 s22, s19, -1
	s_add_co_i32 s11, s11, s10
	s_cmp_eq_u32 s8, 0
	s_cselect_b32 s8, ttmp9, s11
	s_delay_alu instid0(SALU_CYCLE_1) | instskip(NEXT) | instid1(SALU_CYCLE_1)
	s_mul_i32 s10, s8, 0xffffffe4
	s_add_co_i32 s7, s7, s10
	s_cmp_ge_u32 s8, s9
	s_mul_i32 s8, s8, 28
	s_cselect_b32 s30, s7, 28
	s_ashr_i32 s9, s8, 31
	s_cmp_lg_u32 s5, 0x84
	v_lshl_add_u64 v[2:3], s[8:9], 4, v[8:9]
	s_cselect_b32 s23, -1, 0
	s_cmp_gt_i32 s6, 0
	v_cmp_gt_i32_e32 vcc_lo, s30, v0
	s_cselect_b32 s31, -1, 0
	s_cmp_lg_u32 s4, 0x6f
	s_cselect_b32 s24, -1, 0
	s_lshl_b64 s[4:5], s[16:17], 4
	s_delay_alu instid0(SALU_CYCLE_1) | instskip(SKIP_3) | instid1(VALU_DEP_1)
	s_add_nc_u64 s[4:5], s[14:15], s[4:5]
	s_lshl_b64 s[14:15], s[28:29], 4
	v_mad_nc_u64_u32 v[10:11], v2, s18, s[4:5]
	s_load_b256 s[4:11], s[0:1], 0x18
	v_mad_u32 v1, v3, s18, v11
	s_or_b32 s18, 0, 8
	s_wait_kmcnt 0x0
	s_lshl_b64 s[0:1], s[10:11], 4
	s_delay_alu instid0(VALU_DEP_1)
	v_mad_u32 v11, v2, s25, v1
	s_add_nc_u64 s[0:1], s[8:9], s[0:1]
	v_mul_u32_u24_e32 v1, 0x1c0, v0
	v_add_nc_u64_e32 v[2:3], s[0:1], v[8:9]
	v_add_nc_u32_e32 v9, 0x3100, v8
	v_cmp_gt_i32_e64 s0, s19, v0
	s_lshl_b32 s25, s19, 4
	v_add_nc_u32_e32 v16, v8, v1
	s_and_b32 s1, vcc_lo, s31
	s_lshl_b64 s[8:9], s[12:13], 4
	v_add_nc_u64_e32 v[12:13], 8, v[2:3]
	v_add_nc_u64_e32 v[14:15], 8, v[10:11]
	s_lshl_b64 s[10:11], s[26:27], 4
	s_add_co_i32 s25, s25, -16
	s_get_pc_i64 s[12:13]
	s_add_nc_u64 s[12:13], s[12:13], __const._ZL38rocblas_trsm_small_left_device_sharedBILi28ELi28ELb1E19rocblas_complex_numIdES1_PKS1_PS1_Ev13rocblas_fill_18rocblas_operation_17rocblas_diagonal_iiT3_T4_lilT5_lili.step_sizes@rel64+4
	s_branch .LBB231_3
.LBB231_2:                              ;   in Loop: Header=BB231_3 Depth=1
	s_or_b32 exec_lo, exec_lo, s26
	s_add_co_i32 s20, s20, 0x10000
	s_delay_alu instid0(SALU_CYCLE_1)
	s_cmp_lt_u32 s20, s3
	s_cbranch_scc0 .LBB231_62
.LBB231_3:                              ; =>This Loop Header: Depth=1
                                        ;     Child Loop BB231_5 Depth 2
                                        ;     Child Loop BB231_16 Depth 2
	;; [unrolled: 1-line block ×3, first 2 shown]
                                        ;       Child Loop BB231_23 Depth 3
                                        ;         Child Loop BB231_24 Depth 4
                                        ;         Child Loop BB231_26 Depth 4
                                        ;           Child Loop BB231_27 Depth 5
                                        ;         Child Loop BB231_31 Depth 4
                                        ;           Child Loop BB231_33 Depth 5
                                        ;     Child Loop BB231_41 Depth 2
                                        ;       Child Loop BB231_44 Depth 3
                                        ;         Child Loop BB231_45 Depth 4
                                        ;         Child Loop BB231_48 Depth 4
                                        ;           Child Loop BB231_49 Depth 5
                                        ;         Child Loop BB231_53 Depth 4
                                        ;           Child Loop BB231_55 Depth 5
                                        ;     Child Loop BB231_61 Depth 2
	s_and_saveexec_b32 s16, s0
	s_cbranch_execz .LBB231_14
; %bb.4:                                ;   in Loop: Header=BB231_3 Depth=1
	v_mad_nc_u64_u32 v[0:1], s8, s20, v[12:13]
	v_mov_b32_e32 v2, v8
	s_mov_b32 s17, s19
	s_delay_alu instid0(VALU_DEP_2)
	v_mad_u32 v1, s9, s20, v1
.LBB231_5:                              ;   Parent Loop BB231_3 Depth=1
                                        ; =>  This Inner Loop Header: Depth=2
	global_load_b128 v[4:7], v[0:1], off offset:-8
	s_wait_xcnt 0x0
	v_add_nc_u64_e32 v[0:1], s[10:11], v[0:1]
	s_add_co_i32 s17, s17, -1
	s_delay_alu instid0(SALU_CYCLE_1) | instskip(SKIP_2) | instid1(VALU_DEP_1)
	s_cmp_eq_u32 s17, 0
	s_wait_loadcnt 0x0
	v_xor_b32_e32 v3, 0x80000000, v7
	v_cndmask_b32_e64 v7, v7, v3, s2
	ds_store_b128 v2, v[4:7]
	v_add_nc_u32_e32 v2, 0x1c0, v2
	s_cbranch_scc0 .LBB231_5
; %bb.6:                                ;   in Loop: Header=BB231_3 Depth=1
	s_and_b32 vcc_lo, exec_lo, s23
	s_cbranch_vccz .LBB231_12
; %bb.7:                                ;   in Loop: Header=BB231_3 Depth=1
	ds_load_b128 v[0:3], v16
                                        ; implicit-def: $vgpr6_vgpr7
	s_wait_dscnt 0x0
	v_cmp_ngt_f64_e64 s17, |v[0:1]|, |v[2:3]|
	s_and_saveexec_b32 s26, s17
	s_delay_alu instid0(SALU_CYCLE_1)
	s_xor_b32 s17, exec_lo, s26
	s_cbranch_execz .LBB231_9
; %bb.8:                                ;   in Loop: Header=BB231_3 Depth=1
	v_div_scale_f64 v[4:5], null, v[2:3], v[2:3], v[0:1]
	v_div_scale_f64 v[20:21], vcc_lo, v[0:1], v[2:3], v[0:1]
	s_delay_alu instid0(VALU_DEP_2) | instskip(SKIP_1) | instid1(TRANS32_DEP_1)
	v_rcp_f64_e32 v[6:7], v[4:5]
	v_nop
	v_fma_f64 v[18:19], -v[4:5], v[6:7], 1.0
	s_delay_alu instid0(VALU_DEP_1) | instskip(NEXT) | instid1(VALU_DEP_1)
	v_fmac_f64_e32 v[6:7], v[6:7], v[18:19]
	v_fma_f64 v[18:19], -v[4:5], v[6:7], 1.0
	s_delay_alu instid0(VALU_DEP_1) | instskip(NEXT) | instid1(VALU_DEP_1)
	v_fmac_f64_e32 v[6:7], v[6:7], v[18:19]
	v_mul_f64_e32 v[18:19], v[20:21], v[6:7]
	s_delay_alu instid0(VALU_DEP_1) | instskip(NEXT) | instid1(VALU_DEP_1)
	v_fma_f64 v[4:5], -v[4:5], v[18:19], v[20:21]
	v_div_fmas_f64 v[4:5], v[4:5], v[6:7], v[18:19]
	s_delay_alu instid0(VALU_DEP_1) | instskip(NEXT) | instid1(VALU_DEP_1)
	v_div_fixup_f64 v[4:5], v[4:5], v[2:3], v[0:1]
	v_fmac_f64_e32 v[2:3], v[0:1], v[4:5]
	s_delay_alu instid0(VALU_DEP_1) | instskip(SKIP_1) | instid1(VALU_DEP_2)
	v_div_scale_f64 v[0:1], null, v[2:3], v[2:3], 1.0
	v_div_scale_f64 v[20:21], vcc_lo, 1.0, v[2:3], 1.0
	v_rcp_f64_e32 v[6:7], v[0:1]
	v_nop
	s_delay_alu instid0(TRANS32_DEP_1) | instskip(NEXT) | instid1(VALU_DEP_1)
	v_fma_f64 v[18:19], -v[0:1], v[6:7], 1.0
	v_fmac_f64_e32 v[6:7], v[6:7], v[18:19]
	s_delay_alu instid0(VALU_DEP_1) | instskip(NEXT) | instid1(VALU_DEP_1)
	v_fma_f64 v[18:19], -v[0:1], v[6:7], 1.0
	v_fmac_f64_e32 v[6:7], v[6:7], v[18:19]
	s_delay_alu instid0(VALU_DEP_1) | instskip(NEXT) | instid1(VALU_DEP_1)
	v_mul_f64_e32 v[18:19], v[20:21], v[6:7]
	v_fma_f64 v[0:1], -v[0:1], v[18:19], v[20:21]
	s_delay_alu instid0(VALU_DEP_1) | instskip(SKIP_1) | instid1(VALU_DEP_2)
	v_div_fmas_f64 v[0:1], v[0:1], v[6:7], v[18:19]
	v_add_f64_e32 v[6:7], 0, v[4:5]
	v_div_fixup_f64 v[0:1], v[0:1], v[2:3], 1.0
	v_fma_f64 v[2:3], v[4:5], 0, -1.0
	s_delay_alu instid0(VALU_DEP_2) | instskip(NEXT) | instid1(VALU_DEP_2)
	v_mul_f64_e32 v[4:5], v[6:7], v[0:1]
	v_mul_f64_e32 v[6:7], v[2:3], v[0:1]
                                        ; implicit-def: $vgpr0_vgpr1
.LBB231_9:                              ;   in Loop: Header=BB231_3 Depth=1
	s_and_not1_saveexec_b32 s17, s17
	s_cbranch_execz .LBB231_11
; %bb.10:                               ;   in Loop: Header=BB231_3 Depth=1
	v_div_scale_f64 v[4:5], null, v[0:1], v[0:1], v[2:3]
	v_div_scale_f64 v[20:21], vcc_lo, v[2:3], v[0:1], v[2:3]
	s_delay_alu instid0(VALU_DEP_2) | instskip(SKIP_1) | instid1(TRANS32_DEP_1)
	v_rcp_f64_e32 v[6:7], v[4:5]
	v_nop
	v_fma_f64 v[18:19], -v[4:5], v[6:7], 1.0
	s_delay_alu instid0(VALU_DEP_1) | instskip(NEXT) | instid1(VALU_DEP_1)
	v_fmac_f64_e32 v[6:7], v[6:7], v[18:19]
	v_fma_f64 v[18:19], -v[4:5], v[6:7], 1.0
	s_delay_alu instid0(VALU_DEP_1) | instskip(NEXT) | instid1(VALU_DEP_1)
	v_fmac_f64_e32 v[6:7], v[6:7], v[18:19]
	v_mul_f64_e32 v[18:19], v[20:21], v[6:7]
	s_delay_alu instid0(VALU_DEP_1) | instskip(NEXT) | instid1(VALU_DEP_1)
	v_fma_f64 v[4:5], -v[4:5], v[18:19], v[20:21]
	v_div_fmas_f64 v[4:5], v[4:5], v[6:7], v[18:19]
	s_delay_alu instid0(VALU_DEP_1) | instskip(NEXT) | instid1(VALU_DEP_1)
	v_div_fixup_f64 v[4:5], v[4:5], v[0:1], v[2:3]
	v_fmac_f64_e32 v[0:1], v[2:3], v[4:5]
	s_delay_alu instid0(VALU_DEP_1) | instskip(SKIP_1) | instid1(VALU_DEP_2)
	v_div_scale_f64 v[2:3], null, v[0:1], v[0:1], 1.0
	v_div_scale_f64 v[20:21], vcc_lo, 1.0, v[0:1], 1.0
	v_rcp_f64_e32 v[6:7], v[2:3]
	v_nop
	s_delay_alu instid0(TRANS32_DEP_1) | instskip(NEXT) | instid1(VALU_DEP_1)
	v_fma_f64 v[18:19], -v[2:3], v[6:7], 1.0
	v_fmac_f64_e32 v[6:7], v[6:7], v[18:19]
	s_delay_alu instid0(VALU_DEP_1) | instskip(NEXT) | instid1(VALU_DEP_1)
	v_fma_f64 v[18:19], -v[2:3], v[6:7], 1.0
	v_fmac_f64_e32 v[6:7], v[6:7], v[18:19]
	s_delay_alu instid0(VALU_DEP_1) | instskip(NEXT) | instid1(VALU_DEP_1)
	v_mul_f64_e32 v[18:19], v[20:21], v[6:7]
	v_fma_f64 v[2:3], -v[2:3], v[18:19], v[20:21]
	s_delay_alu instid0(VALU_DEP_1) | instskip(SKIP_1) | instid1(VALU_DEP_2)
	v_div_fmas_f64 v[2:3], v[2:3], v[6:7], v[18:19]
	v_fma_f64 v[6:7], v[4:5], 0, 1.0
	v_div_fixup_f64 v[0:1], v[2:3], v[0:1], 1.0
	v_add_f64_e64 v[2:3], -v[4:5], 0
	s_delay_alu instid0(VALU_DEP_2) | instskip(NEXT) | instid1(VALU_DEP_2)
	v_mul_f64_e32 v[4:5], v[6:7], v[0:1]
	v_mul_f64_e32 v[6:7], v[2:3], v[0:1]
.LBB231_11:                             ;   in Loop: Header=BB231_3 Depth=1
	s_or_b32 exec_lo, exec_lo, s17
	s_branch .LBB231_13
.LBB231_12:                             ;   in Loop: Header=BB231_3 Depth=1
	v_mov_b64_e32 v[6:7], 0
	v_mov_b64_e32 v[4:5], 1.0
.LBB231_13:                             ;   in Loop: Header=BB231_3 Depth=1
	ds_store_b128 v16, v[4:7]
.LBB231_14:                             ;   in Loop: Header=BB231_3 Depth=1
	s_or_b32 exec_lo, exec_lo, s16
	s_mul_u64 s[16:17], s[14:15], s[20:21]
	s_and_saveexec_b32 s26, s1
	s_cbranch_execz .LBB231_17
; %bb.15:                               ;   in Loop: Header=BB231_3 Depth=1
	v_add_nc_u64_e32 v[0:1], s[16:17], v[14:15]
	v_mov_b32_e32 v2, v9
	s_mov_b32 s27, s19
.LBB231_16:                             ;   Parent Loop BB231_3 Depth=1
                                        ; =>  This Inner Loop Header: Depth=2
	global_load_b128 v[4:7], v[0:1], off offset:-8
	s_wait_xcnt 0x0
	v_add_nc_u64_e32 v[0:1], 16, v[0:1]
	s_add_co_i32 s27, s27, -1
	s_delay_alu instid0(SALU_CYCLE_1) | instskip(SKIP_3) | instid1(VALU_DEP_2)
	s_cmp_lg_u32 s27, 0
	s_wait_loadcnt 0x0
	v_mul_f64_e32 v[18:19], s[6:7], v[6:7]
	v_mul_f64_e32 v[20:21], s[4:5], v[6:7]
	v_fma_f64 v[18:19], s[4:5], v[4:5], -v[18:19]
	s_delay_alu instid0(VALU_DEP_2)
	v_fmac_f64_e32 v[20:21], s[6:7], v[4:5]
	ds_store_b128 v2, v[18:21]
	v_add_nc_u32_e32 v2, 0x1c0, v2
	s_cbranch_scc1 .LBB231_16
.LBB231_17:                             ;   in Loop: Header=BB231_3 Depth=1
	s_or_b32 exec_lo, exec_lo, s26
	s_delay_alu instid0(SALU_CYCLE_1)
	s_and_not1_b32 vcc_lo, exec_lo, s24
	s_mov_b32 s26, -1
	s_wait_dscnt 0x0
	; wave barrier
	s_cbranch_vccnz .LBB231_38
; %bb.18:                               ;   in Loop: Header=BB231_3 Depth=1
	s_mov_b32 s27, 0
	s_mov_b32 s26, s22
	s_branch .LBB231_20
.LBB231_19:                             ;   in Loop: Header=BB231_20 Depth=2
	s_cmp_gt_i32 s26, -1
	s_cselect_b32 s28, -1, 0
	s_add_co_i32 s29, s27, 1
	s_cmp_lt_u32 s27, 2
	s_wait_xcnt 0x0
	s_cselect_b32 s27, -1, 0
	s_delay_alu instid0(SALU_CYCLE_1) | instskip(NEXT) | instid1(SALU_CYCLE_1)
	s_and_b32 s27, s28, s27
	s_and_b32 vcc_lo, exec_lo, s27
	s_mov_b32 s27, s29
	s_cbranch_vccz .LBB231_37
.LBB231_20:                             ;   Parent Loop BB231_3 Depth=1
                                        ; =>  This Loop Header: Depth=2
                                        ;       Child Loop BB231_23 Depth 3
                                        ;         Child Loop BB231_24 Depth 4
                                        ;         Child Loop BB231_26 Depth 4
                                        ;           Child Loop BB231_27 Depth 5
                                        ;         Child Loop BB231_31 Depth 4
                                        ;           Child Loop BB231_33 Depth 5
	s_load_b32 s28, s[12:13], s27 offset:0x0 scale_offset
	s_wait_kmcnt 0x0
	s_add_co_i32 s29, s28, -1
	s_delay_alu instid0(SALU_CYCLE_1)
	s_cmp_lt_i32 s26, s29
	s_cbranch_scc1 .LBB231_19
; %bb.21:                               ;   in Loop: Header=BB231_20 Depth=2
	s_mul_i32 s33, s26, 0x1c0
	s_max_i32 s30, s28, 1
	v_add_nc_u32_e32 v4, s33, v9
	s_mul_i32 s31, s28, 0xfffffe40
	s_add_co_i32 s33, s25, s33
	s_mul_i32 s34, s26, 0x1d0
	s_mul_i32 s35, s28, 0xfffffe30
	s_branch .LBB231_23
.LBB231_22:                             ;   in Loop: Header=BB231_23 Depth=3
	v_add_nc_u32_e32 v4, s31, v4
	s_sub_co_i32 s26, s26, s28
	s_add_co_i32 s33, s33, s31
	s_add_co_i32 s34, s34, s35
	s_cmp_lt_i32 s26, s29
	s_cbranch_scc1 .LBB231_19
.LBB231_23:                             ;   Parent Loop BB231_3 Depth=1
                                        ;     Parent Loop BB231_20 Depth=2
                                        ; =>    This Loop Header: Depth=3
                                        ;         Child Loop BB231_24 Depth 4
                                        ;         Child Loop BB231_26 Depth 4
                                        ;           Child Loop BB231_27 Depth 5
                                        ;         Child Loop BB231_31 Depth 4
                                        ;           Child Loop BB231_33 Depth 5
	v_mov_b32_e32 v0, v4
	s_mov_b32 s36, 0
	s_mov_b32 s37, s30
.LBB231_24:                             ;   Parent Loop BB231_3 Depth=1
                                        ;     Parent Loop BB231_20 Depth=2
                                        ;       Parent Loop BB231_23 Depth=3
                                        ; =>      This Inner Loop Header: Depth=4
	ds_load_b128 v[18:21], v0
	v_add_nc_u32_e32 v0, 0xfffffe40, v0
	s_add_co_i32 s37, s37, -1
	s_wait_dscnt 0x0
	scratch_store_b128 off, v[18:21], s36
	s_wait_xcnt 0x0
	s_add_co_i32 s36, s36, 16
	s_cmp_eq_u32 s37, 0
	s_cbranch_scc0 .LBB231_24
; %bb.25:                               ;   in Loop: Header=BB231_23 Depth=3
	s_cmp_le_i32 s22, s26
	s_mov_b32 s36, s33
	s_mov_b32 s37, s22
	s_cbranch_scc1 .LBB231_29
.LBB231_26:                             ;   Parent Loop BB231_3 Depth=1
                                        ;     Parent Loop BB231_20 Depth=2
                                        ;       Parent Loop BB231_23 Depth=3
                                        ; =>      This Loop Header: Depth=4
                                        ;           Child Loop BB231_27 Depth 5
	v_mad_u32 v0, 0x1c0, s37, v9
	s_mov_b32 s38, s18
	s_mov_b32 s39, s36
	;; [unrolled: 1-line block ×3, first 2 shown]
	ds_load_b128 v[0:3], v0
.LBB231_27:                             ;   Parent Loop BB231_3 Depth=1
                                        ;     Parent Loop BB231_20 Depth=2
                                        ;       Parent Loop BB231_23 Depth=3
                                        ;         Parent Loop BB231_26 Depth=4
                                        ; =>        This Inner Loop Header: Depth=5
	scratch_load_b128 v[18:21], off, s38 offset:-8
	v_mov_b32_e32 v5, s39
	s_add_co_i32 s40, s40, -1
	s_addk_co_i32 s39, 0xfe40
	ds_load_b128 v[22:25], v5
	s_wait_dscnt 0x0
	v_mul_f64_e32 v[6:7], v[2:3], v[24:25]
	v_mul_f64_e32 v[24:25], v[0:1], v[24:25]
	s_delay_alu instid0(VALU_DEP_2) | instskip(NEXT) | instid1(VALU_DEP_2)
	v_fma_f64 v[6:7], v[0:1], v[22:23], -v[6:7]
	v_fmac_f64_e32 v[24:25], v[2:3], v[22:23]
	s_wait_loadcnt 0x0
	s_delay_alu instid0(VALU_DEP_2) | instskip(NEXT) | instid1(VALU_DEP_2)
	v_add_f64_e64 v[18:19], v[18:19], -v[6:7]
	v_add_f64_e64 v[20:21], v[20:21], -v[24:25]
	scratch_store_b128 off, v[18:21], s38 offset:-8
	s_wait_xcnt 0x0
	s_add_co_i32 s38, s38, 16
	s_cmp_eq_u32 s40, 0
	s_cbranch_scc0 .LBB231_27
; %bb.28:                               ;   in Loop: Header=BB231_26 Depth=4
	s_add_co_i32 s37, s37, -1
	s_add_co_i32 s36, s36, -16
	s_cmp_le_i32 s37, s26
	s_cbranch_scc0 .LBB231_26
.LBB231_29:                             ;   in Loop: Header=BB231_23 Depth=3
	s_mul_i32 s36, s26, 0x1c0
	s_mov_b32 s37, 0
	s_mov_b32 s38, s34
	s_branch .LBB231_31
.LBB231_30:                             ;   in Loop: Header=BB231_31 Depth=4
	s_wait_xcnt 0x0
	s_mulk_i32 s40, 0x1d0
	s_addk_co_i32 s38, 0xfe40
	v_mov_b32_e32 v5, s40
	s_lshl_b32 s40, s37, 4
	s_add_co_i32 s37, s37, 1
	s_delay_alu instid0(SALU_CYCLE_1) | instskip(SKIP_4) | instid1(VALU_DEP_2)
	s_cmp_eq_u32 s37, s30
	ds_load_b128 v[18:21], v5
	s_wait_loadcnt_dscnt 0x0
	v_mul_f64_e32 v[6:7], v[20:21], v[2:3]
	v_mul_f64_e32 v[24:25], v[18:19], v[2:3]
	v_fma_f64 v[22:23], v[18:19], v[0:1], -v[6:7]
	s_delay_alu instid0(VALU_DEP_2)
	v_fmac_f64_e32 v[24:25], v[20:21], v[0:1]
	v_add_nc_u32_e32 v0, s39, v9
	scratch_store_b128 off, v[22:25], s40
	ds_store_b128 v0, v[22:25]
	s_cbranch_scc1 .LBB231_22
.LBB231_31:                             ;   Parent Loop BB231_3 Depth=1
                                        ;     Parent Loop BB231_20 Depth=2
                                        ;       Parent Loop BB231_23 Depth=3
                                        ; =>      This Loop Header: Depth=4
                                        ;           Child Loop BB231_33 Depth 5
	s_cmp_lg_u32 s37, 0
	s_cbranch_scc0 .LBB231_35
; %bb.32:                               ;   in Loop: Header=BB231_31 Depth=4
	s_lshl_b32 s41, s37, 4
	s_wait_xcnt 0x0
	s_sub_co_i32 s40, s26, s37
	scratch_load_b128 v[0:3], off, s41
	s_mul_i32 s39, s40, 0x1c0
	s_mov_b32 s42, s18
	s_mov_b32 s43, s38
	;; [unrolled: 1-line block ×3, first 2 shown]
.LBB231_33:                             ;   Parent Loop BB231_3 Depth=1
                                        ;     Parent Loop BB231_20 Depth=2
                                        ;       Parent Loop BB231_23 Depth=3
                                        ;         Parent Loop BB231_31 Depth=4
                                        ; =>        This Inner Loop Header: Depth=5
	scratch_load_b128 v[18:21], off, s42 offset:-8
	v_mov_b32_e32 v5, s43
	s_add_co_i32 s44, s44, -1
	s_add_co_i32 s43, s43, -16
	s_wait_xcnt 0x0
	s_add_co_i32 s42, s42, 16
	s_cmp_eq_u32 s44, 0
	ds_load_b128 v[22:25], v5
	s_wait_loadcnt_dscnt 0x0
	v_mul_f64_e32 v[6:7], v[24:25], v[20:21]
	v_mul_f64_e32 v[20:21], v[22:23], v[20:21]
	s_delay_alu instid0(VALU_DEP_2) | instskip(NEXT) | instid1(VALU_DEP_2)
	v_fma_f64 v[6:7], v[22:23], v[18:19], -v[6:7]
	v_fmac_f64_e32 v[20:21], v[24:25], v[18:19]
	s_delay_alu instid0(VALU_DEP_2) | instskip(NEXT) | instid1(VALU_DEP_2)
	v_add_f64_e64 v[0:1], v[0:1], -v[6:7]
	v_add_f64_e64 v[2:3], v[2:3], -v[20:21]
	scratch_store_b128 off, v[0:3], s41
	s_cbranch_scc0 .LBB231_33
; %bb.34:                               ;   in Loop: Header=BB231_31 Depth=4
	s_wait_xcnt 0x0
	s_branch .LBB231_30
.LBB231_35:                             ;   in Loop: Header=BB231_31 Depth=4
                                        ; implicit-def: $vgpr0_vgpr1
                                        ; implicit-def: $sgpr40
                                        ; implicit-def: $sgpr39
	s_cbranch_execz .LBB231_30
; %bb.36:                               ;   in Loop: Header=BB231_31 Depth=4
	scratch_load_b128 v[0:3], off, off
	s_mov_b32 s39, s36
	s_wait_xcnt 0x1
	s_mov_b32 s40, s26
	s_branch .LBB231_30
.LBB231_37:                             ;   in Loop: Header=BB231_3 Depth=1
	s_mov_b32 s26, 0
.LBB231_38:                             ;   in Loop: Header=BB231_3 Depth=1
	s_delay_alu instid0(SALU_CYCLE_1)
	s_and_b32 vcc_lo, exec_lo, s26
	s_cbranch_vccz .LBB231_59
; %bb.39:                               ;   in Loop: Header=BB231_3 Depth=1
	s_mov_b32 s27, 0
	s_mov_b32 s26, 0
	s_branch .LBB231_41
.LBB231_40:                             ;   in Loop: Header=BB231_41 Depth=2
	s_cmp_lt_i32 s26, s19
	s_cselect_b32 s28, -1, 0
	s_add_co_i32 s29, s27, 1
	s_cmp_lt_u32 s27, 2
	s_wait_xcnt 0x0
	s_cselect_b32 s27, -1, 0
	s_delay_alu instid0(SALU_CYCLE_1) | instskip(NEXT) | instid1(SALU_CYCLE_1)
	s_and_b32 s27, s28, s27
	s_and_not1_b32 vcc_lo, exec_lo, s27
	s_mov_b32 s27, s29
	s_cbranch_vccnz .LBB231_59
.LBB231_41:                             ;   Parent Loop BB231_3 Depth=1
                                        ; =>  This Loop Header: Depth=2
                                        ;       Child Loop BB231_44 Depth 3
                                        ;         Child Loop BB231_45 Depth 4
                                        ;         Child Loop BB231_48 Depth 4
                                        ;           Child Loop BB231_49 Depth 5
                                        ;         Child Loop BB231_53 Depth 4
                                        ;           Child Loop BB231_55 Depth 5
	s_load_b32 s28, s[12:13], s27 offset:0x0 scale_offset
	s_wait_kmcnt 0x0
	s_add_co_i32 s29, s28, -1
	s_delay_alu instid0(SALU_CYCLE_1) | instskip(NEXT) | instid1(SALU_CYCLE_1)
	s_add_co_i32 s30, s29, s26
	s_cmp_ge_i32 s30, s19
	s_cbranch_scc1 .LBB231_40
; %bb.42:                               ;   in Loop: Header=BB231_41 Depth=2
	v_mad_u32 v4, 0x1c0, s26, v9
	s_max_i32 s30, s28, 1
	s_mul_i32 s31, s28, 0x1c0
	s_lshl_b32 s33, s26, 4
	s_lshl_b32 s34, s28, 4
	s_mul_i32 s35, s26, 0x1d0
	s_mul_i32 s36, s28, 0x1d0
	s_branch .LBB231_44
.LBB231_43:                             ;   in Loop: Header=BB231_44 Depth=3
	s_add_co_i32 s26, s26, s28
	v_add_nc_u32_e32 v4, s31, v4
	s_add_co_i32 s37, s29, s26
	s_add_co_i32 s33, s33, s34
	;; [unrolled: 1-line block ×3, first 2 shown]
	s_cmp_ge_i32 s37, s19
	s_cbranch_scc1 .LBB231_40
.LBB231_44:                             ;   Parent Loop BB231_3 Depth=1
                                        ;     Parent Loop BB231_41 Depth=2
                                        ; =>    This Loop Header: Depth=3
                                        ;         Child Loop BB231_45 Depth 4
                                        ;         Child Loop BB231_48 Depth 4
                                        ;           Child Loop BB231_49 Depth 5
                                        ;         Child Loop BB231_53 Depth 4
                                        ;           Child Loop BB231_55 Depth 5
	s_delay_alu instid0(VALU_DEP_1)
	v_mov_b32_e32 v0, v4
	s_mov_b32 s37, 0
	s_mov_b32 s38, s30
.LBB231_45:                             ;   Parent Loop BB231_3 Depth=1
                                        ;     Parent Loop BB231_41 Depth=2
                                        ;       Parent Loop BB231_44 Depth=3
                                        ; =>      This Inner Loop Header: Depth=4
	ds_load_b128 v[18:21], v0
	v_add_nc_u32_e32 v0, 0x1c0, v0
	s_add_co_i32 s38, s38, -1
	s_wait_dscnt 0x0
	scratch_store_b128 off, v[18:21], s37
	s_wait_xcnt 0x0
	s_add_co_i32 s37, s37, 16
	s_cmp_eq_u32 s38, 0
	s_cbranch_scc0 .LBB231_45
; %bb.46:                               ;   in Loop: Header=BB231_44 Depth=3
	s_cmp_lt_i32 s26, 1
	s_cbranch_scc1 .LBB231_51
; %bb.47:                               ;   in Loop: Header=BB231_44 Depth=3
	s_mov_b32 s37, 0
	s_mov_b32 s38, s33
.LBB231_48:                             ;   Parent Loop BB231_3 Depth=1
                                        ;     Parent Loop BB231_41 Depth=2
                                        ;       Parent Loop BB231_44 Depth=3
                                        ; =>      This Loop Header: Depth=4
                                        ;           Child Loop BB231_49 Depth 5
	v_mad_u32 v0, 0x1c0, s37, v9
	s_mov_b32 s39, s18
	s_mov_b32 s40, s38
	;; [unrolled: 1-line block ×3, first 2 shown]
	ds_load_b128 v[0:3], v0
.LBB231_49:                             ;   Parent Loop BB231_3 Depth=1
                                        ;     Parent Loop BB231_41 Depth=2
                                        ;       Parent Loop BB231_44 Depth=3
                                        ;         Parent Loop BB231_48 Depth=4
                                        ; =>        This Inner Loop Header: Depth=5
	scratch_load_b128 v[18:21], off, s39 offset:-8
	v_mov_b32_e32 v5, s40
	s_add_co_i32 s41, s41, -1
	s_add_co_i32 s40, s40, 16
	ds_load_b128 v[22:25], v5
	s_wait_dscnt 0x0
	v_mul_f64_e32 v[6:7], v[2:3], v[24:25]
	v_mul_f64_e32 v[24:25], v[0:1], v[24:25]
	s_delay_alu instid0(VALU_DEP_2) | instskip(NEXT) | instid1(VALU_DEP_2)
	v_fma_f64 v[6:7], v[0:1], v[22:23], -v[6:7]
	v_fmac_f64_e32 v[24:25], v[2:3], v[22:23]
	s_wait_loadcnt 0x0
	s_delay_alu instid0(VALU_DEP_2) | instskip(NEXT) | instid1(VALU_DEP_2)
	v_add_f64_e64 v[18:19], v[18:19], -v[6:7]
	v_add_f64_e64 v[20:21], v[20:21], -v[24:25]
	scratch_store_b128 off, v[18:21], s39 offset:-8
	s_wait_xcnt 0x0
	s_add_co_i32 s39, s39, 16
	s_cmp_eq_u32 s41, 0
	s_cbranch_scc0 .LBB231_49
; %bb.50:                               ;   in Loop: Header=BB231_48 Depth=4
	s_add_co_i32 s37, s37, 1
	s_addk_co_i32 s38, 0x1c0
	s_cmp_eq_u32 s37, s26
	s_cbranch_scc0 .LBB231_48
.LBB231_51:                             ;   in Loop: Header=BB231_44 Depth=3
	s_mov_b32 s37, 0
	s_mov_b32 s38, s35
	s_branch .LBB231_53
.LBB231_52:                             ;   in Loop: Header=BB231_53 Depth=4
	s_add_co_i32 s39, s37, s26
	s_add_co_i32 s38, s38, 16
	s_mul_i32 s40, s39, 0x1d0
	s_delay_alu instid0(SALU_CYCLE_1) | instskip(SKIP_4) | instid1(VALU_DEP_2)
	v_mov_b32_e32 v5, s40
	ds_load_b128 v[18:21], v5
	s_wait_loadcnt_dscnt 0x0
	v_mul_f64_e32 v[6:7], v[20:21], v[2:3]
	v_mul_f64_e32 v[24:25], v[18:19], v[2:3]
	v_fma_f64 v[22:23], v[18:19], v[0:1], -v[6:7]
	s_delay_alu instid0(VALU_DEP_2) | instskip(SKIP_3) | instid1(SALU_CYCLE_1)
	v_fmac_f64_e32 v[24:25], v[20:21], v[0:1]
	v_mad_u32 v0, 0x1c0, s39, v9
	s_lshl_b32 s39, s37, 4
	s_add_co_i32 s37, s37, 1
	s_cmp_eq_u32 s37, s30
	scratch_store_b128 off, v[22:25], s39
	ds_store_b128 v0, v[22:25]
	s_cbranch_scc1 .LBB231_43
.LBB231_53:                             ;   Parent Loop BB231_3 Depth=1
                                        ;     Parent Loop BB231_41 Depth=2
                                        ;       Parent Loop BB231_44 Depth=3
                                        ; =>      This Loop Header: Depth=4
                                        ;           Child Loop BB231_55 Depth 5
	s_cmp_lg_u32 s37, 0
	s_cbranch_scc0 .LBB231_57
; %bb.54:                               ;   in Loop: Header=BB231_53 Depth=4
	s_wait_xcnt 0x0
	s_lshl_b32 s39, s37, 4
	s_mov_b32 s40, s18
	scratch_load_b128 v[0:3], off, s39
	s_mov_b32 s41, s38
	s_mov_b32 s42, s37
.LBB231_55:                             ;   Parent Loop BB231_3 Depth=1
                                        ;     Parent Loop BB231_41 Depth=2
                                        ;       Parent Loop BB231_44 Depth=3
                                        ;         Parent Loop BB231_53 Depth=4
                                        ; =>        This Inner Loop Header: Depth=5
	scratch_load_b128 v[18:21], off, s40 offset:-8
	v_mov_b32_e32 v5, s41
	s_add_co_i32 s42, s42, -1
	s_addk_co_i32 s41, 0x1c0
	s_wait_xcnt 0x0
	s_add_co_i32 s40, s40, 16
	s_cmp_eq_u32 s42, 0
	ds_load_b128 v[22:25], v5
	s_wait_loadcnt_dscnt 0x0
	v_mul_f64_e32 v[6:7], v[24:25], v[20:21]
	v_mul_f64_e32 v[20:21], v[22:23], v[20:21]
	s_delay_alu instid0(VALU_DEP_2) | instskip(NEXT) | instid1(VALU_DEP_2)
	v_fma_f64 v[6:7], v[22:23], v[18:19], -v[6:7]
	v_fmac_f64_e32 v[20:21], v[24:25], v[18:19]
	s_delay_alu instid0(VALU_DEP_2) | instskip(NEXT) | instid1(VALU_DEP_2)
	v_add_f64_e64 v[0:1], v[0:1], -v[6:7]
	v_add_f64_e64 v[2:3], v[2:3], -v[20:21]
	scratch_store_b128 off, v[0:3], s39
	s_cbranch_scc0 .LBB231_55
; %bb.56:                               ;   in Loop: Header=BB231_53 Depth=4
	s_wait_xcnt 0x0
	s_branch .LBB231_52
.LBB231_57:                             ;   in Loop: Header=BB231_53 Depth=4
	s_wait_xcnt 0x0
                                        ; implicit-def: $vgpr0_vgpr1
	s_cbranch_execz .LBB231_52
; %bb.58:                               ;   in Loop: Header=BB231_53 Depth=4
	scratch_load_b128 v[0:3], off, off
	s_branch .LBB231_52
.LBB231_59:                             ;   in Loop: Header=BB231_3 Depth=1
	; wave barrier
	s_wait_storecnt_dscnt 0x0
	s_wait_xcnt 0x0
	s_and_saveexec_b32 s26, s1
	s_cbranch_execz .LBB231_2
; %bb.60:                               ;   in Loop: Header=BB231_3 Depth=1
	v_add_nc_u64_e32 v[0:1], s[16:17], v[10:11]
	v_mov_b32_e32 v2, v9
	s_mov_b32 s16, s19
.LBB231_61:                             ;   Parent Loop BB231_3 Depth=1
                                        ; =>  This Inner Loop Header: Depth=2
	ds_load_2addr_b64 v[4:7], v2 offset1:1
	v_add_nc_u32_e32 v2, 0x1c0, v2
	s_add_co_i32 s16, s16, -1
	s_delay_alu instid0(SALU_CYCLE_1)
	s_cmp_lg_u32 s16, 0
	s_wait_dscnt 0x0
	global_store_b128 v[0:1], v[4:7], off
	s_wait_xcnt 0x0
	v_add_nc_u64_e32 v[0:1], 16, v[0:1]
	s_cbranch_scc1 .LBB231_61
	s_branch .LBB231_2
.LBB231_62:
	s_endpgm
	.section	.rodata,"a",@progbits
	.p2align	6, 0x0
	.amdhsa_kernel _ZL38rocblas_trsm_small_left_device_sharedBILi28ELi28ELb1E19rocblas_complex_numIdES1_PKS1_PS1_Ev13rocblas_fill_18rocblas_operation_17rocblas_diagonal_iiT3_T4_lilT5_lili
		.amdhsa_group_segment_fixed_size 25088
		.amdhsa_private_segment_fixed_size 464
		.amdhsa_kernarg_size 368
		.amdhsa_user_sgpr_count 2
		.amdhsa_user_sgpr_dispatch_ptr 0
		.amdhsa_user_sgpr_queue_ptr 0
		.amdhsa_user_sgpr_kernarg_segment_ptr 1
		.amdhsa_user_sgpr_dispatch_id 0
		.amdhsa_user_sgpr_kernarg_preload_length 0
		.amdhsa_user_sgpr_kernarg_preload_offset 0
		.amdhsa_user_sgpr_private_segment_size 0
		.amdhsa_wavefront_size32 1
		.amdhsa_uses_dynamic_stack 0
		.amdhsa_enable_private_segment 1
		.amdhsa_system_sgpr_workgroup_id_x 1
		.amdhsa_system_sgpr_workgroup_id_y 0
		.amdhsa_system_sgpr_workgroup_id_z 1
		.amdhsa_system_sgpr_workgroup_info 0
		.amdhsa_system_vgpr_workitem_id 0
		.amdhsa_next_free_vgpr 193
		.amdhsa_next_free_sgpr 45
		.amdhsa_named_barrier_count 0
		.amdhsa_reserve_vcc 1
		.amdhsa_float_round_mode_32 0
		.amdhsa_float_round_mode_16_64 0
		.amdhsa_float_denorm_mode_32 3
		.amdhsa_float_denorm_mode_16_64 3
		.amdhsa_fp16_overflow 0
		.amdhsa_memory_ordered 1
		.amdhsa_forward_progress 1
		.amdhsa_inst_pref_size 22
		.amdhsa_round_robin_scheduling 0
		.amdhsa_exception_fp_ieee_invalid_op 0
		.amdhsa_exception_fp_denorm_src 0
		.amdhsa_exception_fp_ieee_div_zero 0
		.amdhsa_exception_fp_ieee_overflow 0
		.amdhsa_exception_fp_ieee_underflow 0
		.amdhsa_exception_fp_ieee_inexact 0
		.amdhsa_exception_int_div_zero 0
	.end_amdhsa_kernel
	.section	.text._ZL38rocblas_trsm_small_left_device_sharedBILi28ELi28ELb1E19rocblas_complex_numIdES1_PKS1_PS1_Ev13rocblas_fill_18rocblas_operation_17rocblas_diagonal_iiT3_T4_lilT5_lili,"axG",@progbits,_ZL38rocblas_trsm_small_left_device_sharedBILi28ELi28ELb1E19rocblas_complex_numIdES1_PKS1_PS1_Ev13rocblas_fill_18rocblas_operation_17rocblas_diagonal_iiT3_T4_lilT5_lili,comdat
.Lfunc_end231:
	.size	_ZL38rocblas_trsm_small_left_device_sharedBILi28ELi28ELb1E19rocblas_complex_numIdES1_PKS1_PS1_Ev13rocblas_fill_18rocblas_operation_17rocblas_diagonal_iiT3_T4_lilT5_lili, .Lfunc_end231-_ZL38rocblas_trsm_small_left_device_sharedBILi28ELi28ELb1E19rocblas_complex_numIdES1_PKS1_PS1_Ev13rocblas_fill_18rocblas_operation_17rocblas_diagonal_iiT3_T4_lilT5_lili
                                        ; -- End function
	.set _ZL38rocblas_trsm_small_left_device_sharedBILi28ELi28ELb1E19rocblas_complex_numIdES1_PKS1_PS1_Ev13rocblas_fill_18rocblas_operation_17rocblas_diagonal_iiT3_T4_lilT5_lili.num_vgpr, 26
	.set _ZL38rocblas_trsm_small_left_device_sharedBILi28ELi28ELb1E19rocblas_complex_numIdES1_PKS1_PS1_Ev13rocblas_fill_18rocblas_operation_17rocblas_diagonal_iiT3_T4_lilT5_lili.num_agpr, 0
	.set _ZL38rocblas_trsm_small_left_device_sharedBILi28ELi28ELb1E19rocblas_complex_numIdES1_PKS1_PS1_Ev13rocblas_fill_18rocblas_operation_17rocblas_diagonal_iiT3_T4_lilT5_lili.numbered_sgpr, 45
	.set _ZL38rocblas_trsm_small_left_device_sharedBILi28ELi28ELb1E19rocblas_complex_numIdES1_PKS1_PS1_Ev13rocblas_fill_18rocblas_operation_17rocblas_diagonal_iiT3_T4_lilT5_lili.num_named_barrier, 0
	.set _ZL38rocblas_trsm_small_left_device_sharedBILi28ELi28ELb1E19rocblas_complex_numIdES1_PKS1_PS1_Ev13rocblas_fill_18rocblas_operation_17rocblas_diagonal_iiT3_T4_lilT5_lili.private_seg_size, 464
	.set _ZL38rocblas_trsm_small_left_device_sharedBILi28ELi28ELb1E19rocblas_complex_numIdES1_PKS1_PS1_Ev13rocblas_fill_18rocblas_operation_17rocblas_diagonal_iiT3_T4_lilT5_lili.uses_vcc, 1
	.set _ZL38rocblas_trsm_small_left_device_sharedBILi28ELi28ELb1E19rocblas_complex_numIdES1_PKS1_PS1_Ev13rocblas_fill_18rocblas_operation_17rocblas_diagonal_iiT3_T4_lilT5_lili.uses_flat_scratch, 0
	.set _ZL38rocblas_trsm_small_left_device_sharedBILi28ELi28ELb1E19rocblas_complex_numIdES1_PKS1_PS1_Ev13rocblas_fill_18rocblas_operation_17rocblas_diagonal_iiT3_T4_lilT5_lili.has_dyn_sized_stack, 0
	.set _ZL38rocblas_trsm_small_left_device_sharedBILi28ELi28ELb1E19rocblas_complex_numIdES1_PKS1_PS1_Ev13rocblas_fill_18rocblas_operation_17rocblas_diagonal_iiT3_T4_lilT5_lili.has_recursion, 0
	.set _ZL38rocblas_trsm_small_left_device_sharedBILi28ELi28ELb1E19rocblas_complex_numIdES1_PKS1_PS1_Ev13rocblas_fill_18rocblas_operation_17rocblas_diagonal_iiT3_T4_lilT5_lili.has_indirect_call, 0
	.section	.AMDGPU.csdata,"",@progbits
; Kernel info:
; codeLenInByte = 2736
; TotalNumSgprs: 47
; NumVgprs: 26
; ScratchSize: 464
; MemoryBound: 0
; FloatMode: 240
; IeeeMode: 1
; LDSByteSize: 25088 bytes/workgroup (compile time only)
; SGPRBlocks: 0
; VGPRBlocks: 12
; NumSGPRsForWavesPerEU: 47
; NumVGPRsForWavesPerEU: 193
; NamedBarCnt: 0
; Occupancy: 4
; WaveLimiterHint : 0
; COMPUTE_PGM_RSRC2:SCRATCH_EN: 1
; COMPUTE_PGM_RSRC2:USER_SGPR: 2
; COMPUTE_PGM_RSRC2:TRAP_HANDLER: 0
; COMPUTE_PGM_RSRC2:TGID_X_EN: 1
; COMPUTE_PGM_RSRC2:TGID_Y_EN: 0
; COMPUTE_PGM_RSRC2:TGID_Z_EN: 1
; COMPUTE_PGM_RSRC2:TIDIG_COMP_CNT: 0
	.section	.text._ZL30rocblas_trsm_small_left_deviceILi28ELi28ELb1E19rocblas_complex_numIdES1_PKS1_PS1_Ev13rocblas_fill_18rocblas_operation_17rocblas_diagonal_iiT3_T4_lilT5_lili,"axG",@progbits,_ZL30rocblas_trsm_small_left_deviceILi28ELi28ELb1E19rocblas_complex_numIdES1_PKS1_PS1_Ev13rocblas_fill_18rocblas_operation_17rocblas_diagonal_iiT3_T4_lilT5_lili,comdat
	.globl	_ZL30rocblas_trsm_small_left_deviceILi28ELi28ELb1E19rocblas_complex_numIdES1_PKS1_PS1_Ev13rocblas_fill_18rocblas_operation_17rocblas_diagonal_iiT3_T4_lilT5_lili ; -- Begin function _ZL30rocblas_trsm_small_left_deviceILi28ELi28ELb1E19rocblas_complex_numIdES1_PKS1_PS1_Ev13rocblas_fill_18rocblas_operation_17rocblas_diagonal_iiT3_T4_lilT5_lili
	.p2align	8
	.type	_ZL30rocblas_trsm_small_left_deviceILi28ELi28ELb1E19rocblas_complex_numIdES1_PKS1_PS1_Ev13rocblas_fill_18rocblas_operation_17rocblas_diagonal_iiT3_T4_lilT5_lili,@function
_ZL30rocblas_trsm_small_left_deviceILi28ELi28ELb1E19rocblas_complex_numIdES1_PKS1_PS1_Ev13rocblas_fill_18rocblas_operation_17rocblas_diagonal_iiT3_T4_lilT5_lili: ; @_ZL30rocblas_trsm_small_left_deviceILi28ELi28ELb1E19rocblas_complex_numIdES1_PKS1_PS1_Ev13rocblas_fill_18rocblas_operation_17rocblas_diagonal_iiT3_T4_lilT5_lili
; %bb.0:
	s_load_b32 s3, s[0:1], 0x68
	s_bfe_u32 s2, ttmp6, 0x40014
	s_lshr_b32 s5, ttmp7, 16
	s_add_co_i32 s2, s2, 1
	s_bfe_u32 s6, ttmp6, 0x40008
	s_mul_i32 s2, s5, s2
	s_getreg_b32 s4, hwreg(HW_REG_IB_STS2, 6, 4)
	s_add_co_i32 s6, s6, s2
	s_cmp_eq_u32 s4, 0
	s_mov_b32 s23, 0
	s_cselect_b32 s20, s5, s6
	s_wait_kmcnt 0x0
	s_cmp_ge_u32 s20, s3
	s_cbranch_scc1 .LBB232_59
; %bb.1:
	s_clause 0x5
	s_load_b32 s26, s[0:1], 0x38
	s_load_b96 s[8:10], s[0:1], 0x50
	s_load_b128 s[12:15], s[0:1], 0x4
	s_load_b32 s6, s[0:1], 0x70
	s_load_b64 s[24:25], s[0:1], 0x60
	s_load_b128 s[16:19], s[0:1], 0x40
	v_mov_b32_e32 v9, 0
	v_mul_u32_u24_e32 v1, 0x1c0, v0
	s_mov_b32 s37, 0
                                        ; implicit-def: $sgpr38
                                        ; implicit-def: $sgpr39
	v_lshlrev_b32_e32 v8, 4, v0
	s_wait_kmcnt 0x0
	s_ashr_i32 s27, s26, 31
	s_ashr_i32 s5, s10, 31
	s_cmp_eq_u32 s12, 0x71
	s_cselect_b32 s2, -1, 0
	s_bfe_u32 s7, ttmp6, 0x4000c
	s_min_i32 s30, s14, 28
	s_add_co_i32 s7, s7, 1
	s_add_co_i32 s14, s6, -1
	s_and_b32 s6, ttmp6, 15
	s_mul_i32 s7, ttmp9, s7
	s_lshl_b64 s[28:29], s[8:9], 4
	s_add_co_i32 s31, s30, -1
	s_add_co_i32 s6, s6, s7
	s_cmp_eq_u32 s4, 0
	s_mov_b32 s4, s10
	s_cselect_b32 s21, ttmp9, s6
	s_delay_alu instid0(SALU_CYCLE_1) | instskip(NEXT) | instid1(VALU_DEP_1)
	v_mad_u32 v2, s21, 28, v0
	v_ashrrev_i32_e32 v3, 31, v2
	s_delay_alu instid0(VALU_DEP_1) | instskip(SKIP_3) | instid1(SALU_CYCLE_1)
	v_mul_u64_e32 v[2:3], s[4:5], v[2:3]
	s_load_b256 s[4:11], s[0:1], 0x18
	s_wait_xcnt 0x0
	s_mul_i32 s0, s21, 0xffffffe4
	s_add_co_i32 s0, s15, s0
	s_cmp_ge_u32 s21, s14
	s_cselect_b32 s14, s0, 28
	s_cmp_lg_u32 s13, 0x84
	s_cselect_b32 s33, -1, 0
	s_cmp_lg_u32 s12, 0x6f
	s_get_pc_i64 s[12:13]
	s_add_nc_u64 s[12:13], s[12:13], __const._ZL30rocblas_trsm_small_left_deviceILi28ELi28ELb1E19rocblas_complex_numIdES1_PKS1_PS1_Ev13rocblas_fill_18rocblas_operation_17rocblas_diagonal_iiT3_T4_lilT5_lili.step_sizes@rel64+4
	s_cselect_b32 s34, -1, 0
	s_lshl_b32 s36, s30, 4
	s_or_b32 s35, 0, 8
	s_add_co_i32 s36, s36, -16
	s_wait_kmcnt 0x0
	s_lshl_b64 s[0:1], s[10:11], 4
	s_add_nc_u64 s[10:11], s[18:19], s[28:29]
	s_add_nc_u64 s[8:9], s[8:9], s[0:1]
	v_cmp_gt_i32_e64 s0, s30, v0
	v_add_nc_u64_e32 v[4:5], s[8:9], v[8:9]
	v_cmp_gt_i32_e64 s1, s14, v0
	v_add_nc_u32_e32 v9, v8, v1
	s_lshl_b64 s[8:9], s[16:17], 4
	s_lshl_b64 s[14:15], s[24:25], 4
	v_lshl_add_u64 v[10:11], v[2:3], 4, s[10:11]
	v_add_nc_u64_e32 v[12:13], 8, v[4:5]
	s_lshl_b64 s[10:11], s[26:27], 4
	s_delay_alu instid0(VALU_DEP_2)
	v_add_nc_u64_e32 v[14:15], 8, v[10:11]
	s_branch .LBB232_4
.LBB232_2:                              ;   in Loop: Header=BB232_4 Depth=1
	s_add_co_i32 s20, s20, 0x10000
	s_delay_alu instid0(SALU_CYCLE_1)
	s_cmp_ge_u32 s20, s3
	s_cselect_b32 s16, -1, 0
	s_and_not1_b32 s39, s39, exec_lo
	s_or_not1_b32 s16, s16, exec_lo
.LBB232_3:                              ;   in Loop: Header=BB232_4 Depth=1
	s_wait_xcnt 0x0
	s_or_b32 exec_lo, exec_lo, s40
	s_delay_alu instid0(SALU_CYCLE_1) | instskip(NEXT) | instid1(SALU_CYCLE_1)
	s_and_b32 s16, exec_lo, s16
	s_or_b32 s37, s16, s37
	s_and_not1_b32 s16, s38, exec_lo
	s_and_b32 s17, s39, exec_lo
	s_delay_alu instid0(SALU_CYCLE_1)
	s_or_b32 s38, s16, s17
	s_and_not1_b32 exec_lo, exec_lo, s37
	s_cbranch_execz .LBB232_58
.LBB232_4:                              ; =>This Loop Header: Depth=1
                                        ;     Child Loop BB232_6 Depth 2
                                        ;     Child Loop BB232_19 Depth 2
                                        ;       Child Loop BB232_22 Depth 3
                                        ;         Child Loop BB232_23 Depth 4
                                        ;         Child Loop BB232_25 Depth 4
                                        ;           Child Loop BB232_26 Depth 5
                                        ;         Child Loop BB232_30 Depth 4
                                        ;           Child Loop BB232_32 Depth 5
                                        ;     Child Loop BB232_40 Depth 2
                                        ;       Child Loop BB232_43 Depth 3
                                        ;         Child Loop BB232_44 Depth 4
                                        ;         Child Loop BB232_47 Depth 4
                                        ;           Child Loop BB232_48 Depth 5
                                        ;         Child Loop BB232_52 Depth 4
                                        ;           Child Loop BB232_54 Depth 5
	s_mov_b32 s21, s23
	s_and_saveexec_b32 s16, s0
	s_cbranch_execz .LBB232_15
; %bb.5:                                ;   in Loop: Header=BB232_4 Depth=1
	v_mad_nc_u64_u32 v[0:1], s8, s20, v[12:13]
	v_mov_b32_e32 v2, v8
	s_mov_b32 s17, s30
	s_delay_alu instid0(VALU_DEP_2)
	v_mad_u32 v1, s9, s20, v1
.LBB232_6:                              ;   Parent Loop BB232_4 Depth=1
                                        ; =>  This Inner Loop Header: Depth=2
	global_load_b128 v[4:7], v[0:1], off offset:-8
	s_wait_xcnt 0x0
	v_add_nc_u64_e32 v[0:1], s[10:11], v[0:1]
	s_add_co_i32 s17, s17, -1
	s_delay_alu instid0(SALU_CYCLE_1) | instskip(SKIP_2) | instid1(VALU_DEP_1)
	s_cmp_eq_u32 s17, 0
	s_wait_loadcnt 0x0
	v_xor_b32_e32 v3, 0x80000000, v7
	v_cndmask_b32_e64 v7, v7, v3, s2
	ds_store_b128 v2, v[4:7]
	v_add_nc_u32_e32 v2, 0x1c0, v2
	s_cbranch_scc0 .LBB232_6
; %bb.7:                                ;   in Loop: Header=BB232_4 Depth=1
	s_and_b32 vcc_lo, exec_lo, s33
	s_cbranch_vccz .LBB232_13
; %bb.8:                                ;   in Loop: Header=BB232_4 Depth=1
	ds_load_b128 v[0:3], v9
                                        ; implicit-def: $vgpr6_vgpr7
	s_wait_dscnt 0x0
	v_cmp_ngt_f64_e64 s17, |v[0:1]|, |v[2:3]|
	s_and_saveexec_b32 s18, s17
	s_delay_alu instid0(SALU_CYCLE_1)
	s_xor_b32 s17, exec_lo, s18
	s_cbranch_execz .LBB232_10
; %bb.9:                                ;   in Loop: Header=BB232_4 Depth=1
	v_div_scale_f64 v[4:5], null, v[2:3], v[2:3], v[0:1]
	v_div_scale_f64 v[18:19], vcc_lo, v[0:1], v[2:3], v[0:1]
	s_delay_alu instid0(VALU_DEP_2) | instskip(SKIP_1) | instid1(TRANS32_DEP_1)
	v_rcp_f64_e32 v[6:7], v[4:5]
	v_nop
	v_fma_f64 v[16:17], -v[4:5], v[6:7], 1.0
	s_delay_alu instid0(VALU_DEP_1) | instskip(NEXT) | instid1(VALU_DEP_1)
	v_fmac_f64_e32 v[6:7], v[6:7], v[16:17]
	v_fma_f64 v[16:17], -v[4:5], v[6:7], 1.0
	s_delay_alu instid0(VALU_DEP_1) | instskip(NEXT) | instid1(VALU_DEP_1)
	v_fmac_f64_e32 v[6:7], v[6:7], v[16:17]
	v_mul_f64_e32 v[16:17], v[18:19], v[6:7]
	s_delay_alu instid0(VALU_DEP_1) | instskip(NEXT) | instid1(VALU_DEP_1)
	v_fma_f64 v[4:5], -v[4:5], v[16:17], v[18:19]
	v_div_fmas_f64 v[4:5], v[4:5], v[6:7], v[16:17]
	s_delay_alu instid0(VALU_DEP_1) | instskip(NEXT) | instid1(VALU_DEP_1)
	v_div_fixup_f64 v[4:5], v[4:5], v[2:3], v[0:1]
	v_fmac_f64_e32 v[2:3], v[0:1], v[4:5]
	s_delay_alu instid0(VALU_DEP_1) | instskip(SKIP_1) | instid1(VALU_DEP_2)
	v_div_scale_f64 v[0:1], null, v[2:3], v[2:3], 1.0
	v_div_scale_f64 v[18:19], vcc_lo, 1.0, v[2:3], 1.0
	v_rcp_f64_e32 v[6:7], v[0:1]
	v_nop
	s_delay_alu instid0(TRANS32_DEP_1) | instskip(NEXT) | instid1(VALU_DEP_1)
	v_fma_f64 v[16:17], -v[0:1], v[6:7], 1.0
	v_fmac_f64_e32 v[6:7], v[6:7], v[16:17]
	s_delay_alu instid0(VALU_DEP_1) | instskip(NEXT) | instid1(VALU_DEP_1)
	v_fma_f64 v[16:17], -v[0:1], v[6:7], 1.0
	v_fmac_f64_e32 v[6:7], v[6:7], v[16:17]
	s_delay_alu instid0(VALU_DEP_1) | instskip(NEXT) | instid1(VALU_DEP_1)
	v_mul_f64_e32 v[16:17], v[18:19], v[6:7]
	v_fma_f64 v[0:1], -v[0:1], v[16:17], v[18:19]
	s_delay_alu instid0(VALU_DEP_1) | instskip(SKIP_1) | instid1(VALU_DEP_2)
	v_div_fmas_f64 v[0:1], v[0:1], v[6:7], v[16:17]
	v_add_f64_e32 v[6:7], 0, v[4:5]
	v_div_fixup_f64 v[0:1], v[0:1], v[2:3], 1.0
	v_fma_f64 v[2:3], v[4:5], 0, -1.0
	s_delay_alu instid0(VALU_DEP_2) | instskip(NEXT) | instid1(VALU_DEP_2)
	v_mul_f64_e32 v[4:5], v[6:7], v[0:1]
	v_mul_f64_e32 v[6:7], v[2:3], v[0:1]
                                        ; implicit-def: $vgpr0_vgpr1
.LBB232_10:                             ;   in Loop: Header=BB232_4 Depth=1
	s_and_not1_saveexec_b32 s17, s17
	s_cbranch_execz .LBB232_12
; %bb.11:                               ;   in Loop: Header=BB232_4 Depth=1
	v_div_scale_f64 v[4:5], null, v[0:1], v[0:1], v[2:3]
	v_div_scale_f64 v[18:19], vcc_lo, v[2:3], v[0:1], v[2:3]
	s_delay_alu instid0(VALU_DEP_2) | instskip(SKIP_1) | instid1(TRANS32_DEP_1)
	v_rcp_f64_e32 v[6:7], v[4:5]
	v_nop
	v_fma_f64 v[16:17], -v[4:5], v[6:7], 1.0
	s_delay_alu instid0(VALU_DEP_1) | instskip(NEXT) | instid1(VALU_DEP_1)
	v_fmac_f64_e32 v[6:7], v[6:7], v[16:17]
	v_fma_f64 v[16:17], -v[4:5], v[6:7], 1.0
	s_delay_alu instid0(VALU_DEP_1) | instskip(NEXT) | instid1(VALU_DEP_1)
	v_fmac_f64_e32 v[6:7], v[6:7], v[16:17]
	v_mul_f64_e32 v[16:17], v[18:19], v[6:7]
	s_delay_alu instid0(VALU_DEP_1) | instskip(NEXT) | instid1(VALU_DEP_1)
	v_fma_f64 v[4:5], -v[4:5], v[16:17], v[18:19]
	v_div_fmas_f64 v[4:5], v[4:5], v[6:7], v[16:17]
	s_delay_alu instid0(VALU_DEP_1) | instskip(NEXT) | instid1(VALU_DEP_1)
	v_div_fixup_f64 v[4:5], v[4:5], v[0:1], v[2:3]
	v_fmac_f64_e32 v[0:1], v[2:3], v[4:5]
	s_delay_alu instid0(VALU_DEP_1) | instskip(SKIP_1) | instid1(VALU_DEP_2)
	v_div_scale_f64 v[2:3], null, v[0:1], v[0:1], 1.0
	v_div_scale_f64 v[18:19], vcc_lo, 1.0, v[0:1], 1.0
	v_rcp_f64_e32 v[6:7], v[2:3]
	v_nop
	s_delay_alu instid0(TRANS32_DEP_1) | instskip(NEXT) | instid1(VALU_DEP_1)
	v_fma_f64 v[16:17], -v[2:3], v[6:7], 1.0
	v_fmac_f64_e32 v[6:7], v[6:7], v[16:17]
	s_delay_alu instid0(VALU_DEP_1) | instskip(NEXT) | instid1(VALU_DEP_1)
	v_fma_f64 v[16:17], -v[2:3], v[6:7], 1.0
	v_fmac_f64_e32 v[6:7], v[6:7], v[16:17]
	s_delay_alu instid0(VALU_DEP_1) | instskip(NEXT) | instid1(VALU_DEP_1)
	v_mul_f64_e32 v[16:17], v[18:19], v[6:7]
	v_fma_f64 v[2:3], -v[2:3], v[16:17], v[18:19]
	s_delay_alu instid0(VALU_DEP_1) | instskip(SKIP_1) | instid1(VALU_DEP_2)
	v_div_fmas_f64 v[2:3], v[2:3], v[6:7], v[16:17]
	v_fma_f64 v[6:7], v[4:5], 0, 1.0
	v_div_fixup_f64 v[0:1], v[2:3], v[0:1], 1.0
	v_add_f64_e64 v[2:3], -v[4:5], 0
	s_delay_alu instid0(VALU_DEP_2) | instskip(NEXT) | instid1(VALU_DEP_2)
	v_mul_f64_e32 v[4:5], v[6:7], v[0:1]
	v_mul_f64_e32 v[6:7], v[2:3], v[0:1]
.LBB232_12:                             ;   in Loop: Header=BB232_4 Depth=1
	s_or_b32 exec_lo, exec_lo, s17
	s_branch .LBB232_14
.LBB232_13:                             ;   in Loop: Header=BB232_4 Depth=1
	v_mov_b64_e32 v[6:7], 0
	v_mov_b64_e32 v[4:5], 1.0
.LBB232_14:                             ;   in Loop: Header=BB232_4 Depth=1
	ds_store_b128 v9, v[4:7]
.LBB232_15:                             ;   in Loop: Header=BB232_4 Depth=1
	s_or_b32 exec_lo, exec_lo, s16
	s_mov_b32 s16, -1
	s_or_b32 s39, s39, exec_lo
	s_wait_dscnt 0x0
	; wave barrier
	s_and_saveexec_b32 s40, s1
	s_cbranch_execz .LBB232_3
; %bb.16:                               ;   in Loop: Header=BB232_4 Depth=1
	s_mul_u64 s[16:17], s[24:25], s[20:21]
	s_and_not1_b32 vcc_lo, exec_lo, s34
	v_lshl_add_u64 v[4:5], s[16:17], 4, v[10:11]
	s_mul_u64 s[16:17], s[14:15], s[20:21]
	s_mov_b32 s18, -1
	s_cbranch_vccnz .LBB232_37
; %bb.17:                               ;   in Loop: Header=BB232_4 Depth=1
	v_add_nc_u64_e32 v[6:7], s[16:17], v[14:15]
	s_mov_b32 s21, 0
	s_mov_b32 s18, s31
	s_branch .LBB232_19
.LBB232_18:                             ;   in Loop: Header=BB232_19 Depth=2
	s_cmp_gt_i32 s18, -1
	s_cselect_b32 s19, -1, 0
	s_add_co_i32 s22, s21, 1
	s_cmp_lt_u32 s21, 2
	s_wait_xcnt 0x0
	s_cselect_b32 s21, -1, 0
	s_delay_alu instid0(SALU_CYCLE_1)
	s_and_b32 s19, s19, s21
	s_mov_b32 s21, s22
	s_and_b32 vcc_lo, exec_lo, s19
	s_cbranch_vccz .LBB232_36
.LBB232_19:                             ;   Parent Loop BB232_4 Depth=1
                                        ; =>  This Loop Header: Depth=2
                                        ;       Child Loop BB232_22 Depth 3
                                        ;         Child Loop BB232_23 Depth 4
                                        ;         Child Loop BB232_25 Depth 4
                                        ;           Child Loop BB232_26 Depth 5
                                        ;         Child Loop BB232_30 Depth 4
                                        ;           Child Loop BB232_32 Depth 5
	s_load_b32 s22, s[12:13], s21 offset:0x0 scale_offset
	s_wait_kmcnt 0x0
	s_add_co_i32 s41, s22, -1
	s_delay_alu instid0(SALU_CYCLE_1)
	s_cmp_lt_i32 s18, s41
	s_cbranch_scc1 .LBB232_18
; %bb.20:                               ;   in Loop: Header=BB232_19 Depth=2
	s_mul_i32 s19, s18, 0x1c0
	s_max_i32 s42, s22, 1
	s_add_co_i32 s43, s36, s19
	s_mul_i32 s44, s22, 0xfffffe40
	s_mul_i32 s45, s18, 0x1d0
	;; [unrolled: 1-line block ×3, first 2 shown]
	s_branch .LBB232_22
.LBB232_21:                             ;   in Loop: Header=BB232_22 Depth=3
	s_sub_co_i32 s18, s18, s22
	s_add_co_i32 s43, s43, s44
	s_add_co_i32 s45, s45, s46
	s_cmp_lt_i32 s18, s41
	s_cbranch_scc1 .LBB232_18
.LBB232_22:                             ;   Parent Loop BB232_4 Depth=1
                                        ;     Parent Loop BB232_19 Depth=2
                                        ; =>    This Loop Header: Depth=3
                                        ;         Child Loop BB232_23 Depth 4
                                        ;         Child Loop BB232_25 Depth 4
                                        ;           Child Loop BB232_26 Depth 5
                                        ;         Child Loop BB232_30 Depth 4
                                        ;           Child Loop BB232_32 Depth 5
	s_ashr_i32 s19, s18, 31
	s_mov_b32 s26, 8
	s_wait_xcnt 0x0
	v_lshl_add_u64 v[0:1], s[18:19], 4, v[6:7]
	s_mov_b32 s27, s42
.LBB232_23:                             ;   Parent Loop BB232_4 Depth=1
                                        ;     Parent Loop BB232_19 Depth=2
                                        ;       Parent Loop BB232_22 Depth=3
                                        ; =>      This Inner Loop Header: Depth=4
	global_load_b128 v[16:19], v[0:1], off offset:-8
	s_wait_xcnt 0x0
	v_add_nc_u64_e32 v[0:1], -16, v[0:1]
	s_add_co_i32 s27, s27, -1
	s_mov_b32 s28, s26
	s_add_co_i32 s26, s26, 16
	s_cmp_eq_u32 s27, 0
	s_wait_loadcnt 0x0
	v_mul_f64_e32 v[2:3], s[6:7], v[18:19]
	v_mul_f64_e32 v[20:21], s[4:5], v[18:19]
	s_delay_alu instid0(VALU_DEP_2) | instskip(NEXT) | instid1(VALU_DEP_2)
	v_fma_f64 v[18:19], s[4:5], v[16:17], -v[2:3]
	v_fmac_f64_e32 v[20:21], s[6:7], v[16:17]
	scratch_store_b128 off, v[18:21], s28 offset:-8
	s_cbranch_scc0 .LBB232_23
; %bb.24:                               ;   in Loop: Header=BB232_22 Depth=3
	s_cmp_le_i32 s31, s18
	s_wait_xcnt 0x0
	s_mov_b32 s28, s43
	s_mov_b32 s26, s31
	s_cbranch_scc1 .LBB232_28
.LBB232_25:                             ;   Parent Loop BB232_4 Depth=1
                                        ;     Parent Loop BB232_19 Depth=2
                                        ;       Parent Loop BB232_22 Depth=3
                                        ; =>      This Loop Header: Depth=4
                                        ;           Child Loop BB232_26 Depth 5
	s_ashr_i32 s27, s26, 31
	s_mov_b32 s29, s28
	v_lshl_add_u64 v[0:1], s[26:27], 4, v[4:5]
	s_mov_b32 s27, s35
	s_mov_b32 s47, s42
	global_load_b128 v[0:3], v[0:1], off
.LBB232_26:                             ;   Parent Loop BB232_4 Depth=1
                                        ;     Parent Loop BB232_19 Depth=2
                                        ;       Parent Loop BB232_22 Depth=3
                                        ;         Parent Loop BB232_25 Depth=4
                                        ; =>        This Inner Loop Header: Depth=5
	scratch_load_b128 v[16:19], off, s27 offset:-8
	v_mov_b32_e32 v20, s29
	s_add_co_i32 s47, s47, -1
	s_addk_co_i32 s29, 0xfe40
	ds_load_b128 v[20:23], v20
	s_wait_loadcnt_dscnt 0x100
	v_mul_f64_e32 v[24:25], v[2:3], v[22:23]
	v_mul_f64_e32 v[22:23], v[0:1], v[22:23]
	s_delay_alu instid0(VALU_DEP_2) | instskip(NEXT) | instid1(VALU_DEP_2)
	v_fma_f64 v[24:25], v[0:1], v[20:21], -v[24:25]
	v_fmac_f64_e32 v[22:23], v[2:3], v[20:21]
	s_wait_loadcnt 0x0
	s_delay_alu instid0(VALU_DEP_2) | instskip(NEXT) | instid1(VALU_DEP_2)
	v_add_f64_e64 v[16:17], v[16:17], -v[24:25]
	v_add_f64_e64 v[18:19], v[18:19], -v[22:23]
	scratch_store_b128 off, v[16:19], s27 offset:-8
	s_wait_xcnt 0x0
	s_add_co_i32 s27, s27, 16
	s_cmp_eq_u32 s47, 0
	s_cbranch_scc0 .LBB232_26
; %bb.27:                               ;   in Loop: Header=BB232_25 Depth=4
	s_add_co_i32 s26, s26, -1
	s_add_co_i32 s28, s28, -16
	s_cmp_le_i32 s26, s18
	s_cbranch_scc0 .LBB232_25
.LBB232_28:                             ;   in Loop: Header=BB232_22 Depth=3
	s_mov_b32 s47, 0
	s_mov_b32 s48, s45
	s_branch .LBB232_30
.LBB232_29:                             ;   in Loop: Header=BB232_30 Depth=4
	s_wait_xcnt 0x1
	s_mulk_i32 s28, 0x1d0
	s_addk_co_i32 s48, 0xfe40
	v_mov_b32_e32 v16, s28
	s_lshl_b32 s28, s47, 4
	s_add_co_i32 s47, s47, 1
	s_delay_alu instid0(SALU_CYCLE_1)
	s_cmp_eq_u32 s47, s42
	ds_load_b128 v[16:19], v16
	s_wait_loadcnt_dscnt 0x0
	s_wait_xcnt 0x0
	v_mul_f64_e32 v[20:21], v[18:19], v[2:3]
	v_mul_f64_e32 v[22:23], v[16:17], v[2:3]
	s_delay_alu instid0(VALU_DEP_2) | instskip(NEXT) | instid1(VALU_DEP_2)
	v_fma_f64 v[20:21], v[16:17], v[0:1], -v[20:21]
	v_fmac_f64_e32 v[22:23], v[18:19], v[0:1]
	v_lshl_add_u64 v[0:1], s[26:27], 4, v[4:5]
	scratch_store_b128 off, v[20:23], s28
	global_store_b128 v[0:1], v[20:23], off
	s_cbranch_scc1 .LBB232_21
.LBB232_30:                             ;   Parent Loop BB232_4 Depth=1
                                        ;     Parent Loop BB232_19 Depth=2
                                        ;       Parent Loop BB232_22 Depth=3
                                        ; =>      This Loop Header: Depth=4
                                        ;           Child Loop BB232_32 Depth 5
	s_cmp_lg_u32 s47, 0
	s_cbranch_scc0 .LBB232_34
; %bb.31:                               ;   in Loop: Header=BB232_30 Depth=4
	s_lshl_b32 s26, s47, 4
	s_mov_b32 s27, s35
	scratch_load_b128 v[0:3], off, s26
	s_mov_b32 s28, s48
	s_mov_b32 s29, s47
.LBB232_32:                             ;   Parent Loop BB232_4 Depth=1
                                        ;     Parent Loop BB232_19 Depth=2
                                        ;       Parent Loop BB232_22 Depth=3
                                        ;         Parent Loop BB232_30 Depth=4
                                        ; =>        This Inner Loop Header: Depth=5
	scratch_load_b128 v[16:19], off, s27 offset:-8
	v_mov_b32_e32 v20, s28
	s_add_co_i32 s29, s29, -1
	s_add_co_i32 s28, s28, -16
	s_wait_xcnt 0x0
	s_add_co_i32 s27, s27, 16
	s_cmp_eq_u32 s29, 0
	ds_load_b128 v[20:23], v20
	s_wait_loadcnt_dscnt 0x0
	v_mul_f64_e32 v[24:25], v[22:23], v[18:19]
	v_mul_f64_e32 v[18:19], v[20:21], v[18:19]
	s_delay_alu instid0(VALU_DEP_2) | instskip(NEXT) | instid1(VALU_DEP_2)
	v_fma_f64 v[20:21], v[20:21], v[16:17], -v[24:25]
	v_fmac_f64_e32 v[18:19], v[22:23], v[16:17]
	s_delay_alu instid0(VALU_DEP_2) | instskip(NEXT) | instid1(VALU_DEP_2)
	v_add_f64_e64 v[0:1], v[0:1], -v[20:21]
	v_add_f64_e64 v[2:3], v[2:3], -v[18:19]
	scratch_store_b128 off, v[0:3], s26
	s_cbranch_scc0 .LBB232_32
; %bb.33:                               ;   in Loop: Header=BB232_30 Depth=4
	s_sub_co_i32 s28, s18, s47
	s_delay_alu instid0(SALU_CYCLE_1)
	s_ashr_i32 s29, s28, 31
	s_wait_xcnt 0x0
	s_mov_b64 s[26:27], s[28:29]
	s_branch .LBB232_29
.LBB232_34:                             ;   in Loop: Header=BB232_30 Depth=4
                                        ; implicit-def: $vgpr0_vgpr1
                                        ; implicit-def: $sgpr28
                                        ; implicit-def: $sgpr26_sgpr27
	s_cbranch_execz .LBB232_29
; %bb.35:                               ;   in Loop: Header=BB232_30 Depth=4
	scratch_load_b128 v[0:3], off, off
	s_mov_b64 s[26:27], s[18:19]
	s_mov_b32 s28, s18
	s_branch .LBB232_29
.LBB232_36:                             ;   in Loop: Header=BB232_4 Depth=1
	s_mov_b32 s18, 0
.LBB232_37:                             ;   in Loop: Header=BB232_4 Depth=1
	s_delay_alu instid0(SALU_CYCLE_1)
	s_and_b32 vcc_lo, exec_lo, s18
	s_cbranch_vccz .LBB232_2
; %bb.38:                               ;   in Loop: Header=BB232_4 Depth=1
	v_add_nc_u64_e32 v[6:7], s[16:17], v[14:15]
	s_mov_b32 s16, 0
	s_mov_b32 s21, 0
	s_branch .LBB232_40
.LBB232_39:                             ;   in Loop: Header=BB232_40 Depth=2
	s_cmp_lt_i32 s16, s30
	s_cselect_b32 s17, -1, 0
	s_add_co_i32 s18, s21, 1
	s_cmp_lt_u32 s21, 2
	s_wait_xcnt 0x0
	s_mov_b32 s21, s18
	s_cselect_b32 s19, -1, 0
	s_delay_alu instid0(SALU_CYCLE_1) | instskip(NEXT) | instid1(SALU_CYCLE_1)
	s_and_b32 s17, s17, s19
	s_and_not1_b32 vcc_lo, exec_lo, s17
	s_cbranch_vccnz .LBB232_2
.LBB232_40:                             ;   Parent Loop BB232_4 Depth=1
                                        ; =>  This Loop Header: Depth=2
                                        ;       Child Loop BB232_43 Depth 3
                                        ;         Child Loop BB232_44 Depth 4
                                        ;         Child Loop BB232_47 Depth 4
                                        ;           Child Loop BB232_48 Depth 5
                                        ;         Child Loop BB232_52 Depth 4
                                        ;           Child Loop BB232_54 Depth 5
	s_load_b32 s18, s[12:13], s21 offset:0x0 scale_offset
	s_wait_kmcnt 0x0
	s_add_co_i32 s28, s18, -1
	s_delay_alu instid0(SALU_CYCLE_1) | instskip(NEXT) | instid1(SALU_CYCLE_1)
	s_add_co_i32 s17, s28, s16
	s_cmp_ge_i32 s17, s30
	s_cbranch_scc1 .LBB232_39
; %bb.41:                               ;   in Loop: Header=BB232_40 Depth=2
	s_ashr_i32 s17, s16, 31
	s_ashr_i32 s19, s18, 31
	v_lshl_add_u64 v[16:17], s[16:17], 4, v[6:7]
	s_max_i32 s29, s18, 1
	s_lshl_b64 s[26:27], s[18:19], 4
	s_lshl_b32 s17, s16, 4
	s_lshl_b32 s19, s18, 4
	s_mul_i32 s41, s16, 0x1d0
	s_mul_i32 s42, s18, 0x1d0
	s_branch .LBB232_43
.LBB232_42:                             ;   in Loop: Header=BB232_43 Depth=3
	v_add_nc_u64_e32 v[16:17], s[26:27], v[16:17]
	s_add_co_i32 s16, s16, s18
	s_add_co_i32 s17, s17, s19
	s_add_co_i32 s22, s28, s16
	s_add_co_i32 s41, s41, s42
	s_cmp_ge_i32 s22, s30
	s_cbranch_scc1 .LBB232_39
.LBB232_43:                             ;   Parent Loop BB232_4 Depth=1
                                        ;     Parent Loop BB232_40 Depth=2
                                        ; =>    This Loop Header: Depth=3
                                        ;         Child Loop BB232_44 Depth 4
                                        ;         Child Loop BB232_47 Depth 4
                                        ;           Child Loop BB232_48 Depth 5
                                        ;         Child Loop BB232_52 Depth 4
                                        ;           Child Loop BB232_54 Depth 5
	s_wait_xcnt 0x0
	v_mov_b64_e32 v[0:1], v[16:17]
	s_mov_b32 s22, 8
	s_mov_b32 s43, s29
.LBB232_44:                             ;   Parent Loop BB232_4 Depth=1
                                        ;     Parent Loop BB232_40 Depth=2
                                        ;       Parent Loop BB232_43 Depth=3
                                        ; =>      This Inner Loop Header: Depth=4
	global_load_b128 v[18:21], v[0:1], off offset:-8
	s_wait_xcnt 0x0
	v_add_nc_u64_e32 v[0:1], 16, v[0:1]
	s_add_co_i32 s43, s43, -1
	s_mov_b32 s44, s22
	s_add_co_i32 s22, s22, 16
	s_cmp_eq_u32 s43, 0
	s_wait_loadcnt 0x0
	v_mul_f64_e32 v[2:3], s[6:7], v[20:21]
	v_mul_f64_e32 v[22:23], s[4:5], v[20:21]
	s_delay_alu instid0(VALU_DEP_2) | instskip(NEXT) | instid1(VALU_DEP_2)
	v_fma_f64 v[20:21], s[4:5], v[18:19], -v[2:3]
	v_fmac_f64_e32 v[22:23], s[6:7], v[18:19]
	scratch_store_b128 off, v[20:23], s44 offset:-8
	s_cbranch_scc0 .LBB232_44
; %bb.45:                               ;   in Loop: Header=BB232_43 Depth=3
	s_cmp_lt_i32 s16, 1
	s_cbranch_scc1 .LBB232_50
; %bb.46:                               ;   in Loop: Header=BB232_43 Depth=3
	s_mov_b32 s22, 0
	s_mov_b32 s43, s17
.LBB232_47:                             ;   Parent Loop BB232_4 Depth=1
                                        ;     Parent Loop BB232_40 Depth=2
                                        ;       Parent Loop BB232_43 Depth=3
                                        ; =>      This Loop Header: Depth=4
                                        ;           Child Loop BB232_48 Depth 5
	v_lshl_add_u64 v[0:1], s[22:23], 4, v[4:5]
	s_wait_xcnt 0x0
	s_mov_b32 s44, s35
	s_mov_b32 s45, s43
	;; [unrolled: 1-line block ×3, first 2 shown]
	global_load_b128 v[0:3], v[0:1], off
.LBB232_48:                             ;   Parent Loop BB232_4 Depth=1
                                        ;     Parent Loop BB232_40 Depth=2
                                        ;       Parent Loop BB232_43 Depth=3
                                        ;         Parent Loop BB232_47 Depth=4
                                        ; =>        This Inner Loop Header: Depth=5
	scratch_load_b128 v[18:21], off, s44 offset:-8
	v_mov_b32_e32 v22, s45
	s_add_co_i32 s46, s46, -1
	s_add_co_i32 s45, s45, 16
	ds_load_b128 v[22:25], v22
	s_wait_loadcnt_dscnt 0x100
	v_mul_f64_e32 v[26:27], v[2:3], v[24:25]
	v_mul_f64_e32 v[24:25], v[0:1], v[24:25]
	s_delay_alu instid0(VALU_DEP_2) | instskip(NEXT) | instid1(VALU_DEP_2)
	v_fma_f64 v[26:27], v[0:1], v[22:23], -v[26:27]
	v_fmac_f64_e32 v[24:25], v[2:3], v[22:23]
	s_wait_loadcnt 0x0
	s_delay_alu instid0(VALU_DEP_2) | instskip(NEXT) | instid1(VALU_DEP_2)
	v_add_f64_e64 v[18:19], v[18:19], -v[26:27]
	v_add_f64_e64 v[20:21], v[20:21], -v[24:25]
	scratch_store_b128 off, v[18:21], s44 offset:-8
	s_wait_xcnt 0x0
	s_add_co_i32 s44, s44, 16
	s_cmp_eq_u32 s46, 0
	s_cbranch_scc0 .LBB232_48
; %bb.49:                               ;   in Loop: Header=BB232_47 Depth=4
	s_add_co_i32 s22, s22, 1
	s_addk_co_i32 s43, 0x1c0
	s_cmp_eq_u32 s22, s16
	s_cbranch_scc0 .LBB232_47
.LBB232_50:                             ;   in Loop: Header=BB232_43 Depth=3
	s_mov_b32 s22, 0
	s_mov_b32 s43, s41
	s_branch .LBB232_52
.LBB232_51:                             ;   in Loop: Header=BB232_52 Depth=4
	s_add_co_i32 s44, s22, s16
	s_lshl_b32 s46, s22, 4
	s_mul_i32 s45, s44, 0x1d0
	s_add_co_i32 s22, s22, 1
	v_mov_b32_e32 v18, s45
	s_ashr_i32 s45, s44, 31
	s_add_co_i32 s43, s43, 16
	s_cmp_eq_u32 s22, s29
	ds_load_b128 v[18:21], v18
	s_wait_loadcnt_dscnt 0x0
	v_mul_f64_e32 v[22:23], v[20:21], v[2:3]
	v_mul_f64_e32 v[24:25], v[18:19], v[2:3]
	s_delay_alu instid0(VALU_DEP_2) | instskip(NEXT) | instid1(VALU_DEP_2)
	v_fma_f64 v[22:23], v[18:19], v[0:1], -v[22:23]
	v_fmac_f64_e32 v[24:25], v[20:21], v[0:1]
	v_lshl_add_u64 v[0:1], s[44:45], 4, v[4:5]
	scratch_store_b128 off, v[22:25], s46
	global_store_b128 v[0:1], v[22:25], off
	s_cbranch_scc1 .LBB232_42
.LBB232_52:                             ;   Parent Loop BB232_4 Depth=1
                                        ;     Parent Loop BB232_40 Depth=2
                                        ;       Parent Loop BB232_43 Depth=3
                                        ; =>      This Loop Header: Depth=4
                                        ;           Child Loop BB232_54 Depth 5
	s_cmp_lg_u32 s22, 0
	s_cbranch_scc0 .LBB232_56
; %bb.53:                               ;   in Loop: Header=BB232_52 Depth=4
	s_wait_xcnt 0x0
	s_lshl_b32 s44, s22, 4
	s_mov_b32 s45, s35
	scratch_load_b128 v[0:3], off, s44
	s_mov_b32 s46, s43
	s_mov_b32 s47, s22
.LBB232_54:                             ;   Parent Loop BB232_4 Depth=1
                                        ;     Parent Loop BB232_40 Depth=2
                                        ;       Parent Loop BB232_43 Depth=3
                                        ;         Parent Loop BB232_52 Depth=4
                                        ; =>        This Inner Loop Header: Depth=5
	scratch_load_b128 v[18:21], off, s45 offset:-8
	v_mov_b32_e32 v22, s46
	s_add_co_i32 s47, s47, -1
	s_addk_co_i32 s46, 0x1c0
	s_wait_xcnt 0x0
	s_add_co_i32 s45, s45, 16
	s_cmp_eq_u32 s47, 0
	ds_load_b128 v[22:25], v22
	s_wait_loadcnt_dscnt 0x0
	v_mul_f64_e32 v[26:27], v[24:25], v[20:21]
	v_mul_f64_e32 v[20:21], v[22:23], v[20:21]
	s_delay_alu instid0(VALU_DEP_2) | instskip(NEXT) | instid1(VALU_DEP_2)
	v_fma_f64 v[22:23], v[22:23], v[18:19], -v[26:27]
	v_fmac_f64_e32 v[20:21], v[24:25], v[18:19]
	s_delay_alu instid0(VALU_DEP_2) | instskip(NEXT) | instid1(VALU_DEP_2)
	v_add_f64_e64 v[0:1], v[0:1], -v[22:23]
	v_add_f64_e64 v[2:3], v[2:3], -v[20:21]
	scratch_store_b128 off, v[0:3], s44
	s_cbranch_scc0 .LBB232_54
; %bb.55:                               ;   in Loop: Header=BB232_52 Depth=4
	s_wait_xcnt 0x0
	s_branch .LBB232_51
.LBB232_56:                             ;   in Loop: Header=BB232_52 Depth=4
	s_wait_xcnt 0x0
                                        ; implicit-def: $vgpr0_vgpr1
	s_cbranch_execz .LBB232_51
; %bb.57:                               ;   in Loop: Header=BB232_52 Depth=4
	scratch_load_b128 v[0:3], off, off
	s_branch .LBB232_51
.LBB232_58:
	s_or_b32 exec_lo, exec_lo, s37
	s_and_saveexec_b32 s0, s38
	s_delay_alu instid0(SALU_CYCLE_1)
	s_xor_b32 s0, exec_lo, s0
.LBB232_59:
	s_endpgm
	.section	.rodata,"a",@progbits
	.p2align	6, 0x0
	.amdhsa_kernel _ZL30rocblas_trsm_small_left_deviceILi28ELi28ELb1E19rocblas_complex_numIdES1_PKS1_PS1_Ev13rocblas_fill_18rocblas_operation_17rocblas_diagonal_iiT3_T4_lilT5_lili
		.amdhsa_group_segment_fixed_size 12544
		.amdhsa_private_segment_fixed_size 464
		.amdhsa_kernarg_size 368
		.amdhsa_user_sgpr_count 2
		.amdhsa_user_sgpr_dispatch_ptr 0
		.amdhsa_user_sgpr_queue_ptr 0
		.amdhsa_user_sgpr_kernarg_segment_ptr 1
		.amdhsa_user_sgpr_dispatch_id 0
		.amdhsa_user_sgpr_kernarg_preload_length 0
		.amdhsa_user_sgpr_kernarg_preload_offset 0
		.amdhsa_user_sgpr_private_segment_size 0
		.amdhsa_wavefront_size32 1
		.amdhsa_uses_dynamic_stack 0
		.amdhsa_enable_private_segment 1
		.amdhsa_system_sgpr_workgroup_id_x 1
		.amdhsa_system_sgpr_workgroup_id_y 0
		.amdhsa_system_sgpr_workgroup_id_z 1
		.amdhsa_system_sgpr_workgroup_info 0
		.amdhsa_system_vgpr_workitem_id 0
		.amdhsa_next_free_vgpr 129
		.amdhsa_next_free_sgpr 49
		.amdhsa_named_barrier_count 0
		.amdhsa_reserve_vcc 1
		.amdhsa_float_round_mode_32 0
		.amdhsa_float_round_mode_16_64 0
		.amdhsa_float_denorm_mode_32 3
		.amdhsa_float_denorm_mode_16_64 3
		.amdhsa_fp16_overflow 0
		.amdhsa_memory_ordered 1
		.amdhsa_forward_progress 1
		.amdhsa_inst_pref_size 22
		.amdhsa_round_robin_scheduling 0
		.amdhsa_exception_fp_ieee_invalid_op 0
		.amdhsa_exception_fp_denorm_src 0
		.amdhsa_exception_fp_ieee_div_zero 0
		.amdhsa_exception_fp_ieee_overflow 0
		.amdhsa_exception_fp_ieee_underflow 0
		.amdhsa_exception_fp_ieee_inexact 0
		.amdhsa_exception_int_div_zero 0
	.end_amdhsa_kernel
	.section	.text._ZL30rocblas_trsm_small_left_deviceILi28ELi28ELb1E19rocblas_complex_numIdES1_PKS1_PS1_Ev13rocblas_fill_18rocblas_operation_17rocblas_diagonal_iiT3_T4_lilT5_lili,"axG",@progbits,_ZL30rocblas_trsm_small_left_deviceILi28ELi28ELb1E19rocblas_complex_numIdES1_PKS1_PS1_Ev13rocblas_fill_18rocblas_operation_17rocblas_diagonal_iiT3_T4_lilT5_lili,comdat
.Lfunc_end232:
	.size	_ZL30rocblas_trsm_small_left_deviceILi28ELi28ELb1E19rocblas_complex_numIdES1_PKS1_PS1_Ev13rocblas_fill_18rocblas_operation_17rocblas_diagonal_iiT3_T4_lilT5_lili, .Lfunc_end232-_ZL30rocblas_trsm_small_left_deviceILi28ELi28ELb1E19rocblas_complex_numIdES1_PKS1_PS1_Ev13rocblas_fill_18rocblas_operation_17rocblas_diagonal_iiT3_T4_lilT5_lili
                                        ; -- End function
	.set _ZL30rocblas_trsm_small_left_deviceILi28ELi28ELb1E19rocblas_complex_numIdES1_PKS1_PS1_Ev13rocblas_fill_18rocblas_operation_17rocblas_diagonal_iiT3_T4_lilT5_lili.num_vgpr, 28
	.set _ZL30rocblas_trsm_small_left_deviceILi28ELi28ELb1E19rocblas_complex_numIdES1_PKS1_PS1_Ev13rocblas_fill_18rocblas_operation_17rocblas_diagonal_iiT3_T4_lilT5_lili.num_agpr, 0
	.set _ZL30rocblas_trsm_small_left_deviceILi28ELi28ELb1E19rocblas_complex_numIdES1_PKS1_PS1_Ev13rocblas_fill_18rocblas_operation_17rocblas_diagonal_iiT3_T4_lilT5_lili.numbered_sgpr, 49
	.set _ZL30rocblas_trsm_small_left_deviceILi28ELi28ELb1E19rocblas_complex_numIdES1_PKS1_PS1_Ev13rocblas_fill_18rocblas_operation_17rocblas_diagonal_iiT3_T4_lilT5_lili.num_named_barrier, 0
	.set _ZL30rocblas_trsm_small_left_deviceILi28ELi28ELb1E19rocblas_complex_numIdES1_PKS1_PS1_Ev13rocblas_fill_18rocblas_operation_17rocblas_diagonal_iiT3_T4_lilT5_lili.private_seg_size, 464
	.set _ZL30rocblas_trsm_small_left_deviceILi28ELi28ELb1E19rocblas_complex_numIdES1_PKS1_PS1_Ev13rocblas_fill_18rocblas_operation_17rocblas_diagonal_iiT3_T4_lilT5_lili.uses_vcc, 1
	.set _ZL30rocblas_trsm_small_left_deviceILi28ELi28ELb1E19rocblas_complex_numIdES1_PKS1_PS1_Ev13rocblas_fill_18rocblas_operation_17rocblas_diagonal_iiT3_T4_lilT5_lili.uses_flat_scratch, 0
	.set _ZL30rocblas_trsm_small_left_deviceILi28ELi28ELb1E19rocblas_complex_numIdES1_PKS1_PS1_Ev13rocblas_fill_18rocblas_operation_17rocblas_diagonal_iiT3_T4_lilT5_lili.has_dyn_sized_stack, 0
	.set _ZL30rocblas_trsm_small_left_deviceILi28ELi28ELb1E19rocblas_complex_numIdES1_PKS1_PS1_Ev13rocblas_fill_18rocblas_operation_17rocblas_diagonal_iiT3_T4_lilT5_lili.has_recursion, 0
	.set _ZL30rocblas_trsm_small_left_deviceILi28ELi28ELb1E19rocblas_complex_numIdES1_PKS1_PS1_Ev13rocblas_fill_18rocblas_operation_17rocblas_diagonal_iiT3_T4_lilT5_lili.has_indirect_call, 0
	.section	.AMDGPU.csdata,"",@progbits
; Kernel info:
; codeLenInByte = 2696
; TotalNumSgprs: 51
; NumVgprs: 28
; ScratchSize: 464
; MemoryBound: 0
; FloatMode: 240
; IeeeMode: 1
; LDSByteSize: 12544 bytes/workgroup (compile time only)
; SGPRBlocks: 0
; VGPRBlocks: 8
; NumSGPRsForWavesPerEU: 51
; NumVGPRsForWavesPerEU: 129
; NamedBarCnt: 0
; Occupancy: 7
; WaveLimiterHint : 0
; COMPUTE_PGM_RSRC2:SCRATCH_EN: 1
; COMPUTE_PGM_RSRC2:USER_SGPR: 2
; COMPUTE_PGM_RSRC2:TRAP_HANDLER: 0
; COMPUTE_PGM_RSRC2:TGID_X_EN: 1
; COMPUTE_PGM_RSRC2:TGID_Y_EN: 0
; COMPUTE_PGM_RSRC2:TGID_Z_EN: 1
; COMPUTE_PGM_RSRC2:TIDIG_COMP_CNT: 0
	.section	.text._ZL31rocblas_trsm_small_right_deviceI19rocblas_complex_numIdES1_PKS1_PS1_Li28EEv13rocblas_fill_18rocblas_operation_17rocblas_diagonal_iiT0_T1_lilT2_lili,"axG",@progbits,_ZL31rocblas_trsm_small_right_deviceI19rocblas_complex_numIdES1_PKS1_PS1_Li28EEv13rocblas_fill_18rocblas_operation_17rocblas_diagonal_iiT0_T1_lilT2_lili,comdat
	.globl	_ZL31rocblas_trsm_small_right_deviceI19rocblas_complex_numIdES1_PKS1_PS1_Li28EEv13rocblas_fill_18rocblas_operation_17rocblas_diagonal_iiT0_T1_lilT2_lili ; -- Begin function _ZL31rocblas_trsm_small_right_deviceI19rocblas_complex_numIdES1_PKS1_PS1_Li28EEv13rocblas_fill_18rocblas_operation_17rocblas_diagonal_iiT0_T1_lilT2_lili
	.p2align	8
	.type	_ZL31rocblas_trsm_small_right_deviceI19rocblas_complex_numIdES1_PKS1_PS1_Li28EEv13rocblas_fill_18rocblas_operation_17rocblas_diagonal_iiT0_T1_lilT2_lili,@function
_ZL31rocblas_trsm_small_right_deviceI19rocblas_complex_numIdES1_PKS1_PS1_Li28EEv13rocblas_fill_18rocblas_operation_17rocblas_diagonal_iiT0_T1_lilT2_lili: ; @_ZL31rocblas_trsm_small_right_deviceI19rocblas_complex_numIdES1_PKS1_PS1_Li28EEv13rocblas_fill_18rocblas_operation_17rocblas_diagonal_iiT0_T1_lilT2_lili
; %bb.0:
	s_load_b32 s23, s[0:1], 0x68
	s_bfe_u32 s2, ttmp6, 0x40014
	s_lshr_b32 s3, ttmp7, 16
	s_add_co_i32 s2, s2, 1
	s_bfe_u32 s4, ttmp6, 0x40008
	s_mul_i32 s2, s3, s2
	s_getreg_b32 s31, hwreg(HW_REG_IB_STS2, 6, 4)
	s_add_co_i32 s4, s4, s2
	s_cmp_eq_u32 s31, 0
	s_cselect_b32 s2, s3, s4
	s_mov_b32 s3, 0
	s_wait_kmcnt 0x0
	s_cmp_ge_u32 s2, s23
	s_cbranch_scc1 .LBB233_146
; %bb.1:
	s_clause 0x7
	s_load_b32 s24, s[0:1], 0x38
	s_load_b96 s[20:22], s[0:1], 0x50
	s_load_b128 s[12:15], s[0:1], 0x0
	s_load_b32 s28, s[0:1], 0x10
	s_load_b32 s30, s[0:1], 0x70
	s_load_b64 s[26:27], s[0:1], 0x60
	s_load_b256 s[4:11], s[0:1], 0x18
	s_load_b128 s[16:19], s[0:1], 0x40
	v_dual_lshlrev_b32 v28, 4, v0 :: v_dual_mov_b32 v2, 0
	v_mul_u32_u24_e32 v3, 0x1c0, v0
	s_delay_alu instid0(VALU_DEP_2)
	v_dual_mov_b32 v29, v2 :: v_dual_add_nc_u32 v34, 0x3100, v28
	s_wait_kmcnt 0x0
	s_ashr_i32 s25, s24, 31
	s_ashr_i32 s37, s22, 31
	s_cmp_lg_u32 s12, 0x7a
	s_mov_b32 s36, s22
	s_cselect_b32 s33, -1, 0
	s_cmp_eq_u32 s13, 0x71
	s_cselect_b32 s0, -1, 0
	s_bfe_u32 s1, ttmp6, 0x4000c
	s_min_i32 s29, s28, 28
	s_add_co_i32 s1, s1, 1
	s_and_b32 s34, ttmp6, 15
	s_mul_i32 s1, ttmp9, s1
	s_add_co_i32 s35, s30, -1
	s_add_co_i32 s30, s29, -1
	s_add_co_i32 s34, s34, s1
	s_cmp_eq_u32 s31, 0
	s_mul_i32 s39, s29, 0x1c0
	s_cselect_b32 s34, ttmp9, s34
	v_add3_u32 v35, s39, v28, 0x2f40
	s_mul_i32 s1, s34, 0xffffffe4
	s_mul_i32 s38, s29, 0x1d0
	s_add_co_i32 s15, s15, s1
	s_cmp_ge_u32 s34, s35
	v_cmp_gt_i32_e64 s1, s29, v0
	s_cselect_b32 s15, s15, 28
	s_ashr_i32 s35, s34, 31
	s_cmp_eq_u32 s14, 0x84
	v_cmp_gt_i32_e32 vcc_lo, s15, v0
	s_cselect_b32 s22, -1, 0
	s_cmp_gt_i32 s28, 0
	s_cselect_b32 s14, -1, 0
	s_cmp_lg_u32 s13, 0x6f
	s_cselect_b32 s13, -1, 0
	s_cmp_lg_u32 s12, 0x79
	s_cselect_b32 s12, -1, 0
	s_or_b32 s31, s33, s13
	s_or_b32 s33, s12, s13
	s_cmp_gt_i32 s28, 3
	v_cndmask_b32_e64 v36, 0, 1, s12
	s_mul_u64 s[12:13], s[34:35], 0x1c0
	s_cselect_b32 s34, -1, 0
	s_and_b32 s35, vcc_lo, s14
	s_lshl_b64 s[14:15], s[20:21], 4
	s_lshl_b64 s[10:11], s[10:11], 4
	s_add_nc_u64 s[12:13], s[12:13], s[14:15]
	s_add_nc_u64 s[8:9], s[8:9], s[10:11]
	;; [unrolled: 1-line block ×3, first 2 shown]
	v_add_nc_u64_e32 v[4:5], s[8:9], v[28:29]
	v_add_nc_u64_e32 v[0:1], s[10:11], v[28:29]
	v_add_nc_u32_e32 v29, v28, v3
	v_mov_b32_e32 v3, 0x3ff00000
	s_lshl_b32 s21, s29, 4
	s_lshl_b64 s[8:9], s[16:17], 4
	s_lshl_b64 s[10:11], s[24:25], 4
	v_add_nc_u64_e32 v[30:31], 8, v[4:5]
	v_add_nc_u64_e32 v[32:33], 8, v[0:1]
	s_lshl_b64 s[12:13], s[26:27], 4
	s_lshl_b64 s[14:15], s[36:37], 4
	s_add_co_i32 s18, s38, 0xfffffe00
	s_add_co_i32 s19, s39, 0xfffffe40
	;; [unrolled: 1-line block ×3, first 2 shown]
	s_add_co_i32 s21, s21, -16
	s_branch .LBB233_3
.LBB233_2:                              ;   in Loop: Header=BB233_3 Depth=1
	s_or_b32 exec_lo, exec_lo, s24
	s_add_co_i32 s2, s2, 0x10000
	s_delay_alu instid0(SALU_CYCLE_1)
	s_cmp_lt_u32 s2, s23
	s_cbranch_scc0 .LBB233_146
.LBB233_3:                              ; =>This Loop Header: Depth=1
                                        ;     Child Loop BB233_5 Depth 2
                                        ;     Child Loop BB233_10 Depth 2
                                        ;     Child Loop BB233_16 Depth 2
                                        ;       Child Loop BB233_17 Depth 3
                                        ;     Child Loop BB233_39 Depth 2
                                        ;       Child Loop BB233_40 Depth 3
                                        ;     Child Loop BB233_48 Depth 2
	;; [unrolled: 2-line block ×8, first 2 shown]
	s_and_saveexec_b32 s16, s1
	s_cbranch_execz .LBB233_8
; %bb.4:                                ;   in Loop: Header=BB233_3 Depth=1
	v_mad_nc_u64_u32 v[4:5], s8, s2, v[30:31]
	v_mov_b32_e32 v6, v28
	s_mov_b32 s17, s29
	s_delay_alu instid0(VALU_DEP_2)
	v_mad_u32 v5, s9, s2, v5
.LBB233_5:                              ;   Parent Loop BB233_3 Depth=1
                                        ; =>  This Inner Loop Header: Depth=2
	global_load_b128 v[8:11], v[4:5], off offset:-8
	s_wait_xcnt 0x0
	v_add_nc_u64_e32 v[4:5], s[10:11], v[4:5]
	s_add_co_i32 s17, s17, -1
	s_delay_alu instid0(SALU_CYCLE_1) | instskip(SKIP_2) | instid1(VALU_DEP_1)
	s_cmp_eq_u32 s17, 0
	s_wait_loadcnt 0x0
	v_xor_b32_e32 v7, 0x80000000, v11
	v_cndmask_b32_e64 v11, v11, v7, s0
	ds_store_b128 v6, v[8:11]
	v_add_nc_u32_e32 v6, 0x1c0, v6
	s_cbranch_scc0 .LBB233_5
; %bb.6:                                ;   in Loop: Header=BB233_3 Depth=1
	s_and_b32 vcc_lo, exec_lo, s22
	s_cbranch_vccz .LBB233_8
; %bb.7:                                ;   in Loop: Header=BB233_3 Depth=1
	v_dual_mov_b32 v4, v2 :: v_dual_mov_b32 v5, v2
	ds_store_b128 v29, v[2:5]
.LBB233_8:                              ;   in Loop: Header=BB233_3 Depth=1
	s_or_b32 exec_lo, exec_lo, s16
	s_mul_u64 s[16:17], s[12:13], s[2:3]
	s_and_saveexec_b32 s24, s35
	s_cbranch_execz .LBB233_11
; %bb.9:                                ;   in Loop: Header=BB233_3 Depth=1
	v_add_nc_u64_e32 v[4:5], s[16:17], v[32:33]
	v_mov_b32_e32 v6, v34
	s_mov_b32 s25, s28
.LBB233_10:                             ;   Parent Loop BB233_3 Depth=1
                                        ; =>  This Inner Loop Header: Depth=2
	global_load_b128 v[8:11], v[4:5], off offset:-8
	s_wait_xcnt 0x0
	v_add_nc_u64_e32 v[4:5], s[14:15], v[4:5]
	s_add_co_i32 s25, s25, -1
	s_delay_alu instid0(SALU_CYCLE_1) | instskip(SKIP_3) | instid1(VALU_DEP_2)
	s_cmp_lg_u32 s25, 0
	s_wait_loadcnt 0x0
	v_mul_f64_e32 v[14:15], s[6:7], v[10:11]
	v_mul_f64_e32 v[12:13], s[4:5], v[10:11]
	v_fma_f64 v[10:11], s[4:5], v[8:9], -v[14:15]
	s_delay_alu instid0(VALU_DEP_2)
	v_fmac_f64_e32 v[12:13], s[6:7], v[8:9]
	ds_store_b128 v6, v[10:13]
	v_add_nc_u32_e32 v6, 0x1c0, v6
	s_cbranch_scc1 .LBB233_10
.LBB233_11:                             ;   in Loop: Header=BB233_3 Depth=1
	s_or_b32 exec_lo, exec_lo, s24
	s_delay_alu instid0(SALU_CYCLE_1)
	s_and_b32 vcc_lo, exec_lo, s33
	s_mov_b32 s24, -1
	s_wait_dscnt 0x0
	; wave barrier
	s_cbranch_vccz .LBB233_111
; %bb.12:                               ;   in Loop: Header=BB233_3 Depth=1
	s_and_b32 vcc_lo, exec_lo, s31
	s_cbranch_vccz .LBB233_79
; %bb.13:                               ;   in Loop: Header=BB233_3 Depth=1
	v_cmp_ne_u32_e32 vcc_lo, 1, v36
	s_cbranch_vccnz .LBB233_46
; %bb.14:                               ;   in Loop: Header=BB233_3 Depth=1
	s_and_not1_b32 vcc_lo, exec_lo, s34
	s_mov_b32 s26, 0
	s_cbranch_vccnz .LBB233_36
; %bb.15:                               ;   in Loop: Header=BB233_3 Depth=1
	s_mov_b32 s24, 0
	s_mov_b32 s25, 0
.LBB233_16:                             ;   Parent Loop BB233_3 Depth=1
                                        ; =>  This Loop Header: Depth=2
                                        ;       Child Loop BB233_17 Depth 3
	s_delay_alu instid0(SALU_CYCLE_1) | instskip(SKIP_3) | instid1(SALU_CYCLE_1)
	v_mad_u32 v38, 0x1c0, s25, v34
	s_or_b32 s26, s25, 3
	s_cmp_eq_u32 s25, 0
	s_mulk_i32 s26, 0x1c0
	v_dual_mov_b32 v12, v34 :: v_dual_add_nc_u32 v37, s26, v34
	s_mov_b32 s26, s24
	s_mov_b32 s27, s25
	ds_load_b128 v[20:23], v38
	ds_load_b128 v[16:19], v38 offset:448
	ds_load_b128 v[8:11], v38 offset:896
	ds_load_b128 v[4:7], v37
	s_cbranch_scc1 .LBB233_18
.LBB233_17:                             ;   Parent Loop BB233_3 Depth=1
                                        ;     Parent Loop BB233_16 Depth=2
                                        ; =>    This Inner Loop Header: Depth=3
	v_mov_b32_e32 v13, s26
	s_add_co_i32 s27, s27, -1
	s_addk_co_i32 s26, 0x1c0
	s_cmp_eq_u32 s27, 0
	ds_load_b128 v[24:27], v12
	ds_load_b128 v[40:43], v13
	ds_load_b128 v[44:47], v13 offset:16
	ds_load_b128 v[48:51], v13 offset:32
	;; [unrolled: 1-line block ×3, first 2 shown]
	v_add_nc_u32_e32 v12, 0x1c0, v12
	s_wait_dscnt 0x3
	v_mul_f64_e32 v[14:15], v[26:27], v[42:43]
	v_mul_f64_e32 v[42:43], v[24:25], v[42:43]
	s_wait_dscnt 0x2
	v_mul_f64_e32 v[56:57], v[26:27], v[46:47]
	v_mul_f64_e32 v[46:47], v[24:25], v[46:47]
	;; [unrolled: 3-line block ×4, first 2 shown]
	v_fma_f64 v[14:15], v[24:25], v[40:41], -v[14:15]
	v_fmac_f64_e32 v[42:43], v[26:27], v[40:41]
	v_fma_f64 v[40:41], v[24:25], v[44:45], -v[56:57]
	v_fmac_f64_e32 v[46:47], v[26:27], v[44:45]
	;; [unrolled: 2-line block ×4, first 2 shown]
	v_add_f64_e64 v[20:21], v[20:21], -v[14:15]
	v_add_f64_e64 v[22:23], v[22:23], -v[42:43]
	;; [unrolled: 1-line block ×8, first 2 shown]
	s_cbranch_scc0 .LBB233_17
.LBB233_18:                             ;   in Loop: Header=BB233_16 Depth=2
	s_lshl_b32 s26, s25, 4
	s_mul_i32 s27, s25, 0x1c0
	s_delay_alu instid0(SALU_CYCLE_1) | instskip(NEXT) | instid1(SALU_CYCLE_1)
	s_add_co_i32 s27, s26, s27
	v_mov_b32_e32 v12, s27
	ds_load_b128 v[24:27], v12
                                        ; implicit-def: $vgpr14_vgpr15
	s_wait_dscnt 0x0
	v_cmp_ngt_f64_e64 s36, |v[24:25]|, |v[26:27]|
	s_and_b32 vcc_lo, exec_lo, s36
	s_mov_b32 s36, -1
	s_cbranch_vccz .LBB233_20
; %bb.19:                               ;   in Loop: Header=BB233_16 Depth=2
	v_div_scale_f64 v[12:13], null, v[26:27], v[26:27], v[24:25]
	v_div_scale_f64 v[42:43], vcc_lo, v[24:25], v[26:27], v[24:25]
	s_mov_b32 s36, 0
	v_rcp_f64_e32 v[14:15], v[12:13]
	v_nop
	s_delay_alu instid0(TRANS32_DEP_1) | instskip(NEXT) | instid1(VALU_DEP_1)
	v_fma_f64 v[40:41], -v[12:13], v[14:15], 1.0
	v_fmac_f64_e32 v[14:15], v[14:15], v[40:41]
	s_delay_alu instid0(VALU_DEP_1) | instskip(NEXT) | instid1(VALU_DEP_1)
	v_fma_f64 v[40:41], -v[12:13], v[14:15], 1.0
	v_fmac_f64_e32 v[14:15], v[14:15], v[40:41]
	s_delay_alu instid0(VALU_DEP_1) | instskip(NEXT) | instid1(VALU_DEP_1)
	v_mul_f64_e32 v[40:41], v[42:43], v[14:15]
	v_fma_f64 v[12:13], -v[12:13], v[40:41], v[42:43]
	s_delay_alu instid0(VALU_DEP_1) | instskip(NEXT) | instid1(VALU_DEP_1)
	v_div_fmas_f64 v[12:13], v[12:13], v[14:15], v[40:41]
	v_div_fixup_f64 v[12:13], v[12:13], v[26:27], v[24:25]
	s_delay_alu instid0(VALU_DEP_1) | instskip(NEXT) | instid1(VALU_DEP_1)
	v_fma_f64 v[14:15], v[24:25], v[12:13], v[26:27]
	v_div_scale_f64 v[40:41], null, v[14:15], v[14:15], 1.0
	v_div_scale_f64 v[46:47], vcc_lo, 1.0, v[14:15], 1.0
	s_delay_alu instid0(VALU_DEP_2) | instskip(SKIP_1) | instid1(TRANS32_DEP_1)
	v_rcp_f64_e32 v[42:43], v[40:41]
	v_nop
	v_fma_f64 v[44:45], -v[40:41], v[42:43], 1.0
	s_delay_alu instid0(VALU_DEP_1) | instskip(NEXT) | instid1(VALU_DEP_1)
	v_fmac_f64_e32 v[42:43], v[42:43], v[44:45]
	v_fma_f64 v[44:45], -v[40:41], v[42:43], 1.0
	s_delay_alu instid0(VALU_DEP_1) | instskip(NEXT) | instid1(VALU_DEP_1)
	v_fmac_f64_e32 v[42:43], v[42:43], v[44:45]
	v_mul_f64_e32 v[44:45], v[46:47], v[42:43]
	s_delay_alu instid0(VALU_DEP_1) | instskip(NEXT) | instid1(VALU_DEP_1)
	v_fma_f64 v[40:41], -v[40:41], v[44:45], v[46:47]
	v_div_fmas_f64 v[40:41], v[40:41], v[42:43], v[44:45]
	v_fma_f64 v[42:43], v[20:21], v[12:13], v[22:23]
	s_delay_alu instid0(VALU_DEP_2) | instskip(SKIP_1) | instid1(VALU_DEP_2)
	v_div_fixup_f64 v[14:15], v[40:41], v[14:15], 1.0
	v_fma_f64 v[40:41], v[22:23], v[12:13], -v[20:21]
	v_mul_f64_e32 v[12:13], v[42:43], v[14:15]
	s_delay_alu instid0(VALU_DEP_2)
	v_mul_f64_e32 v[14:15], v[40:41], v[14:15]
.LBB233_20:                             ;   in Loop: Header=BB233_16 Depth=2
	s_and_not1_b32 vcc_lo, exec_lo, s36
	s_cbranch_vccnz .LBB233_22
; %bb.21:                               ;   in Loop: Header=BB233_16 Depth=2
	v_div_scale_f64 v[12:13], null, v[24:25], v[24:25], v[26:27]
	v_div_scale_f64 v[42:43], vcc_lo, v[26:27], v[24:25], v[26:27]
	s_delay_alu instid0(VALU_DEP_2) | instskip(SKIP_1) | instid1(TRANS32_DEP_1)
	v_rcp_f64_e32 v[14:15], v[12:13]
	v_nop
	v_fma_f64 v[40:41], -v[12:13], v[14:15], 1.0
	s_delay_alu instid0(VALU_DEP_1) | instskip(NEXT) | instid1(VALU_DEP_1)
	v_fmac_f64_e32 v[14:15], v[14:15], v[40:41]
	v_fma_f64 v[40:41], -v[12:13], v[14:15], 1.0
	s_delay_alu instid0(VALU_DEP_1) | instskip(NEXT) | instid1(VALU_DEP_1)
	v_fmac_f64_e32 v[14:15], v[14:15], v[40:41]
	v_mul_f64_e32 v[40:41], v[42:43], v[14:15]
	s_delay_alu instid0(VALU_DEP_1) | instskip(NEXT) | instid1(VALU_DEP_1)
	v_fma_f64 v[12:13], -v[12:13], v[40:41], v[42:43]
	v_div_fmas_f64 v[12:13], v[12:13], v[14:15], v[40:41]
	s_delay_alu instid0(VALU_DEP_1) | instskip(NEXT) | instid1(VALU_DEP_1)
	v_div_fixup_f64 v[12:13], v[12:13], v[24:25], v[26:27]
	v_fmac_f64_e32 v[24:25], v[26:27], v[12:13]
	s_delay_alu instid0(VALU_DEP_1) | instskip(SKIP_1) | instid1(VALU_DEP_2)
	v_div_scale_f64 v[14:15], null, v[24:25], v[24:25], 1.0
	v_div_scale_f64 v[42:43], vcc_lo, 1.0, v[24:25], 1.0
	v_rcp_f64_e32 v[26:27], v[14:15]
	v_nop
	s_delay_alu instid0(TRANS32_DEP_1) | instskip(NEXT) | instid1(VALU_DEP_1)
	v_fma_f64 v[40:41], -v[14:15], v[26:27], 1.0
	v_fmac_f64_e32 v[26:27], v[26:27], v[40:41]
	s_delay_alu instid0(VALU_DEP_1) | instskip(NEXT) | instid1(VALU_DEP_1)
	v_fma_f64 v[40:41], -v[14:15], v[26:27], 1.0
	v_fmac_f64_e32 v[26:27], v[26:27], v[40:41]
	s_delay_alu instid0(VALU_DEP_1) | instskip(NEXT) | instid1(VALU_DEP_1)
	v_mul_f64_e32 v[40:41], v[42:43], v[26:27]
	v_fma_f64 v[14:15], -v[14:15], v[40:41], v[42:43]
	s_delay_alu instid0(VALU_DEP_1) | instskip(SKIP_2) | instid1(VALU_DEP_3)
	v_div_fmas_f64 v[14:15], v[14:15], v[26:27], v[40:41]
	v_fma_f64 v[26:27], v[22:23], v[12:13], v[20:21]
	v_fma_f64 v[20:21], -v[20:21], v[12:13], v[22:23]
	v_div_fixup_f64 v[14:15], v[14:15], v[24:25], 1.0
	s_delay_alu instid0(VALU_DEP_1) | instskip(NEXT) | instid1(VALU_DEP_3)
	v_mul_f64_e32 v[12:13], v[26:27], v[14:15]
	v_mul_f64_e32 v[14:15], v[20:21], v[14:15]
.LBB233_22:                             ;   in Loop: Header=BB233_16 Depth=2
	v_mov_b32_e32 v20, s27
	ds_load_b128 v[24:27], v20 offset:16
	ds_load_b128 v[20:23], v20 offset:464
	ds_store_b128 v38, v[12:15]
	s_wait_dscnt 0x2
	v_mul_f64_e32 v[40:41], v[14:15], v[26:27]
	v_mul_f64_e32 v[26:27], v[12:13], v[26:27]
	s_wait_dscnt 0x1
	v_cmp_ngt_f64_e64 s36, |v[20:21]|, |v[22:23]|
	s_delay_alu instid0(VALU_DEP_3) | instskip(NEXT) | instid1(VALU_DEP_3)
	v_fma_f64 v[40:41], v[12:13], v[24:25], -v[40:41]
	v_fmac_f64_e32 v[26:27], v[14:15], v[24:25]
	s_and_b32 vcc_lo, exec_lo, s36
	s_mov_b32 s36, -1
	s_delay_alu instid0(VALU_DEP_2) | instskip(NEXT) | instid1(VALU_DEP_2)
	v_add_f64_e64 v[24:25], v[16:17], -v[40:41]
	v_add_f64_e64 v[26:27], v[18:19], -v[26:27]
                                        ; implicit-def: $vgpr18_vgpr19
	s_cbranch_vccz .LBB233_24
; %bb.23:                               ;   in Loop: Header=BB233_16 Depth=2
	v_div_scale_f64 v[16:17], null, v[22:23], v[22:23], v[20:21]
	v_div_scale_f64 v[42:43], vcc_lo, v[20:21], v[22:23], v[20:21]
	s_mov_b32 s36, 0
	v_rcp_f64_e32 v[18:19], v[16:17]
	v_nop
	s_delay_alu instid0(TRANS32_DEP_1) | instskip(NEXT) | instid1(VALU_DEP_1)
	v_fma_f64 v[40:41], -v[16:17], v[18:19], 1.0
	v_fmac_f64_e32 v[18:19], v[18:19], v[40:41]
	s_delay_alu instid0(VALU_DEP_1) | instskip(NEXT) | instid1(VALU_DEP_1)
	v_fma_f64 v[40:41], -v[16:17], v[18:19], 1.0
	v_fmac_f64_e32 v[18:19], v[18:19], v[40:41]
	s_delay_alu instid0(VALU_DEP_1) | instskip(NEXT) | instid1(VALU_DEP_1)
	v_mul_f64_e32 v[40:41], v[42:43], v[18:19]
	v_fma_f64 v[16:17], -v[16:17], v[40:41], v[42:43]
	s_delay_alu instid0(VALU_DEP_1) | instskip(NEXT) | instid1(VALU_DEP_1)
	v_div_fmas_f64 v[16:17], v[16:17], v[18:19], v[40:41]
	v_div_fixup_f64 v[16:17], v[16:17], v[22:23], v[20:21]
	s_delay_alu instid0(VALU_DEP_1) | instskip(NEXT) | instid1(VALU_DEP_1)
	v_fma_f64 v[18:19], v[20:21], v[16:17], v[22:23]
	v_div_scale_f64 v[40:41], null, v[18:19], v[18:19], 1.0
	v_div_scale_f64 v[46:47], vcc_lo, 1.0, v[18:19], 1.0
	s_delay_alu instid0(VALU_DEP_2) | instskip(SKIP_1) | instid1(TRANS32_DEP_1)
	v_rcp_f64_e32 v[42:43], v[40:41]
	v_nop
	v_fma_f64 v[44:45], -v[40:41], v[42:43], 1.0
	s_delay_alu instid0(VALU_DEP_1) | instskip(NEXT) | instid1(VALU_DEP_1)
	v_fmac_f64_e32 v[42:43], v[42:43], v[44:45]
	v_fma_f64 v[44:45], -v[40:41], v[42:43], 1.0
	s_delay_alu instid0(VALU_DEP_1) | instskip(NEXT) | instid1(VALU_DEP_1)
	v_fmac_f64_e32 v[42:43], v[42:43], v[44:45]
	v_mul_f64_e32 v[44:45], v[46:47], v[42:43]
	s_delay_alu instid0(VALU_DEP_1) | instskip(NEXT) | instid1(VALU_DEP_1)
	v_fma_f64 v[40:41], -v[40:41], v[44:45], v[46:47]
	v_div_fmas_f64 v[40:41], v[40:41], v[42:43], v[44:45]
	v_fma_f64 v[42:43], v[16:17], v[24:25], v[26:27]
	s_delay_alu instid0(VALU_DEP_2) | instskip(SKIP_1) | instid1(VALU_DEP_2)
	v_div_fixup_f64 v[18:19], v[40:41], v[18:19], 1.0
	v_fma_f64 v[40:41], v[16:17], v[26:27], -v[24:25]
	v_mul_f64_e32 v[16:17], v[42:43], v[18:19]
	s_delay_alu instid0(VALU_DEP_2)
	v_mul_f64_e32 v[18:19], v[40:41], v[18:19]
.LBB233_24:                             ;   in Loop: Header=BB233_16 Depth=2
	s_and_not1_b32 vcc_lo, exec_lo, s36
	s_cbranch_vccnz .LBB233_26
; %bb.25:                               ;   in Loop: Header=BB233_16 Depth=2
	v_div_scale_f64 v[16:17], null, v[20:21], v[20:21], v[22:23]
	v_div_scale_f64 v[42:43], vcc_lo, v[22:23], v[20:21], v[22:23]
	s_delay_alu instid0(VALU_DEP_2) | instskip(SKIP_1) | instid1(TRANS32_DEP_1)
	v_rcp_f64_e32 v[18:19], v[16:17]
	v_nop
	v_fma_f64 v[40:41], -v[16:17], v[18:19], 1.0
	s_delay_alu instid0(VALU_DEP_1) | instskip(NEXT) | instid1(VALU_DEP_1)
	v_fmac_f64_e32 v[18:19], v[18:19], v[40:41]
	v_fma_f64 v[40:41], -v[16:17], v[18:19], 1.0
	s_delay_alu instid0(VALU_DEP_1) | instskip(NEXT) | instid1(VALU_DEP_1)
	v_fmac_f64_e32 v[18:19], v[18:19], v[40:41]
	v_mul_f64_e32 v[40:41], v[42:43], v[18:19]
	s_delay_alu instid0(VALU_DEP_1) | instskip(NEXT) | instid1(VALU_DEP_1)
	v_fma_f64 v[16:17], -v[16:17], v[40:41], v[42:43]
	v_div_fmas_f64 v[16:17], v[16:17], v[18:19], v[40:41]
	s_delay_alu instid0(VALU_DEP_1) | instskip(NEXT) | instid1(VALU_DEP_1)
	v_div_fixup_f64 v[16:17], v[16:17], v[20:21], v[22:23]
	v_fmac_f64_e32 v[20:21], v[22:23], v[16:17]
	s_delay_alu instid0(VALU_DEP_1) | instskip(SKIP_1) | instid1(VALU_DEP_2)
	v_div_scale_f64 v[18:19], null, v[20:21], v[20:21], 1.0
	v_div_scale_f64 v[42:43], vcc_lo, 1.0, v[20:21], 1.0
	v_rcp_f64_e32 v[22:23], v[18:19]
	v_nop
	s_delay_alu instid0(TRANS32_DEP_1) | instskip(NEXT) | instid1(VALU_DEP_1)
	v_fma_f64 v[40:41], -v[18:19], v[22:23], 1.0
	v_fmac_f64_e32 v[22:23], v[22:23], v[40:41]
	s_delay_alu instid0(VALU_DEP_1) | instskip(NEXT) | instid1(VALU_DEP_1)
	v_fma_f64 v[40:41], -v[18:19], v[22:23], 1.0
	v_fmac_f64_e32 v[22:23], v[22:23], v[40:41]
	s_delay_alu instid0(VALU_DEP_1) | instskip(NEXT) | instid1(VALU_DEP_1)
	v_mul_f64_e32 v[40:41], v[42:43], v[22:23]
	v_fma_f64 v[18:19], -v[18:19], v[40:41], v[42:43]
	s_delay_alu instid0(VALU_DEP_1) | instskip(SKIP_1) | instid1(VALU_DEP_2)
	v_div_fmas_f64 v[18:19], v[18:19], v[22:23], v[40:41]
	v_fma_f64 v[22:23], v[16:17], v[26:27], v[24:25]
	v_div_fixup_f64 v[18:19], v[18:19], v[20:21], 1.0
	v_fma_f64 v[20:21], -v[16:17], v[24:25], v[26:27]
	s_delay_alu instid0(VALU_DEP_2) | instskip(NEXT) | instid1(VALU_DEP_2)
	v_mul_f64_e32 v[16:17], v[22:23], v[18:19]
	v_mul_f64_e32 v[18:19], v[20:21], v[18:19]
.LBB233_26:                             ;   in Loop: Header=BB233_16 Depth=2
	v_mov_b32_e32 v20, s27
	s_add_co_i32 s36, s27, 0x1d0
	s_or_b32 s37, s26, 16
	ds_store_b128 v38, v[16:19] offset:448
	s_sub_co_i32 s37, s36, s37
	ds_load_b128 v[24:27], v20 offset:32
	s_add_co_i32 s37, s37, s26
	s_delay_alu instid0(SALU_CYCLE_1)
	v_mov_b32_e32 v39, s37
	ds_load_b128 v[40:43], v39 offset:32
	s_wait_dscnt 0x1
	v_mul_f64_e32 v[44:45], v[14:15], v[26:27]
	v_mul_f64_e32 v[26:27], v[12:13], v[26:27]
	ds_load_b128 v[20:23], v20 offset:928
	s_wait_dscnt 0x1
	v_mul_f64_e32 v[46:47], v[18:19], v[42:43]
	v_mul_f64_e32 v[42:43], v[16:17], v[42:43]
	s_wait_dscnt 0x0
	v_cmp_ngt_f64_e64 s38, |v[20:21]|, |v[22:23]|
	v_fma_f64 v[44:45], v[12:13], v[24:25], -v[44:45]
	v_fmac_f64_e32 v[26:27], v[14:15], v[24:25]
	v_fma_f64 v[24:25], v[16:17], v[40:41], -v[46:47]
	v_fmac_f64_e32 v[42:43], v[18:19], v[40:41]
	s_and_b32 vcc_lo, exec_lo, s38
	s_mov_b32 s38, -1
	s_delay_alu instid0(VALU_DEP_4) | instskip(NEXT) | instid1(VALU_DEP_4)
	v_add_f64_e64 v[8:9], v[8:9], -v[44:45]
	v_add_f64_e64 v[10:11], v[10:11], -v[26:27]
	s_delay_alu instid0(VALU_DEP_2) | instskip(NEXT) | instid1(VALU_DEP_2)
	v_add_f64_e64 v[8:9], v[8:9], -v[24:25]
	v_add_f64_e64 v[10:11], v[10:11], -v[42:43]
                                        ; implicit-def: $vgpr26_vgpr27
	s_cbranch_vccz .LBB233_28
; %bb.27:                               ;   in Loop: Header=BB233_16 Depth=2
	v_div_scale_f64 v[24:25], null, v[22:23], v[22:23], v[20:21]
	v_div_scale_f64 v[42:43], vcc_lo, v[20:21], v[22:23], v[20:21]
	s_mov_b32 s38, 0
	v_rcp_f64_e32 v[26:27], v[24:25]
	v_nop
	s_delay_alu instid0(TRANS32_DEP_1) | instskip(NEXT) | instid1(VALU_DEP_1)
	v_fma_f64 v[40:41], -v[24:25], v[26:27], 1.0
	v_fmac_f64_e32 v[26:27], v[26:27], v[40:41]
	s_delay_alu instid0(VALU_DEP_1) | instskip(NEXT) | instid1(VALU_DEP_1)
	v_fma_f64 v[40:41], -v[24:25], v[26:27], 1.0
	v_fmac_f64_e32 v[26:27], v[26:27], v[40:41]
	s_delay_alu instid0(VALU_DEP_1) | instskip(NEXT) | instid1(VALU_DEP_1)
	v_mul_f64_e32 v[40:41], v[42:43], v[26:27]
	v_fma_f64 v[24:25], -v[24:25], v[40:41], v[42:43]
	s_delay_alu instid0(VALU_DEP_1) | instskip(NEXT) | instid1(VALU_DEP_1)
	v_div_fmas_f64 v[24:25], v[24:25], v[26:27], v[40:41]
	v_div_fixup_f64 v[24:25], v[24:25], v[22:23], v[20:21]
	s_delay_alu instid0(VALU_DEP_1) | instskip(NEXT) | instid1(VALU_DEP_1)
	v_fma_f64 v[26:27], v[20:21], v[24:25], v[22:23]
	v_div_scale_f64 v[40:41], null, v[26:27], v[26:27], 1.0
	v_div_scale_f64 v[46:47], vcc_lo, 1.0, v[26:27], 1.0
	s_delay_alu instid0(VALU_DEP_2) | instskip(SKIP_1) | instid1(TRANS32_DEP_1)
	v_rcp_f64_e32 v[42:43], v[40:41]
	v_nop
	v_fma_f64 v[44:45], -v[40:41], v[42:43], 1.0
	s_delay_alu instid0(VALU_DEP_1) | instskip(NEXT) | instid1(VALU_DEP_1)
	v_fmac_f64_e32 v[42:43], v[42:43], v[44:45]
	v_fma_f64 v[44:45], -v[40:41], v[42:43], 1.0
	s_delay_alu instid0(VALU_DEP_1) | instskip(NEXT) | instid1(VALU_DEP_1)
	v_fmac_f64_e32 v[42:43], v[42:43], v[44:45]
	v_mul_f64_e32 v[44:45], v[46:47], v[42:43]
	s_delay_alu instid0(VALU_DEP_1) | instskip(NEXT) | instid1(VALU_DEP_1)
	v_fma_f64 v[40:41], -v[40:41], v[44:45], v[46:47]
	v_div_fmas_f64 v[40:41], v[40:41], v[42:43], v[44:45]
	v_fma_f64 v[42:43], v[24:25], v[8:9], v[10:11]
	s_delay_alu instid0(VALU_DEP_2) | instskip(SKIP_1) | instid1(VALU_DEP_2)
	v_div_fixup_f64 v[26:27], v[40:41], v[26:27], 1.0
	v_fma_f64 v[40:41], v[24:25], v[10:11], -v[8:9]
	v_mul_f64_e32 v[24:25], v[42:43], v[26:27]
	s_delay_alu instid0(VALU_DEP_2)
	v_mul_f64_e32 v[26:27], v[40:41], v[26:27]
.LBB233_28:                             ;   in Loop: Header=BB233_16 Depth=2
	s_and_not1_b32 vcc_lo, exec_lo, s38
	s_cbranch_vccnz .LBB233_30
; %bb.29:                               ;   in Loop: Header=BB233_16 Depth=2
	v_div_scale_f64 v[24:25], null, v[20:21], v[20:21], v[22:23]
	v_div_scale_f64 v[42:43], vcc_lo, v[22:23], v[20:21], v[22:23]
	s_delay_alu instid0(VALU_DEP_2) | instskip(SKIP_1) | instid1(TRANS32_DEP_1)
	v_rcp_f64_e32 v[26:27], v[24:25]
	v_nop
	v_fma_f64 v[40:41], -v[24:25], v[26:27], 1.0
	s_delay_alu instid0(VALU_DEP_1) | instskip(NEXT) | instid1(VALU_DEP_1)
	v_fmac_f64_e32 v[26:27], v[26:27], v[40:41]
	v_fma_f64 v[40:41], -v[24:25], v[26:27], 1.0
	s_delay_alu instid0(VALU_DEP_1) | instskip(NEXT) | instid1(VALU_DEP_1)
	v_fmac_f64_e32 v[26:27], v[26:27], v[40:41]
	v_mul_f64_e32 v[40:41], v[42:43], v[26:27]
	s_delay_alu instid0(VALU_DEP_1) | instskip(NEXT) | instid1(VALU_DEP_1)
	v_fma_f64 v[24:25], -v[24:25], v[40:41], v[42:43]
	v_div_fmas_f64 v[24:25], v[24:25], v[26:27], v[40:41]
	s_delay_alu instid0(VALU_DEP_1) | instskip(NEXT) | instid1(VALU_DEP_1)
	v_div_fixup_f64 v[24:25], v[24:25], v[20:21], v[22:23]
	v_fmac_f64_e32 v[20:21], v[22:23], v[24:25]
	s_delay_alu instid0(VALU_DEP_1) | instskip(SKIP_1) | instid1(VALU_DEP_2)
	v_div_scale_f64 v[22:23], null, v[20:21], v[20:21], 1.0
	v_div_scale_f64 v[42:43], vcc_lo, 1.0, v[20:21], 1.0
	v_rcp_f64_e32 v[26:27], v[22:23]
	v_nop
	s_delay_alu instid0(TRANS32_DEP_1) | instskip(NEXT) | instid1(VALU_DEP_1)
	v_fma_f64 v[40:41], -v[22:23], v[26:27], 1.0
	v_fmac_f64_e32 v[26:27], v[26:27], v[40:41]
	s_delay_alu instid0(VALU_DEP_1) | instskip(NEXT) | instid1(VALU_DEP_1)
	v_fma_f64 v[40:41], -v[22:23], v[26:27], 1.0
	v_fmac_f64_e32 v[26:27], v[26:27], v[40:41]
	s_delay_alu instid0(VALU_DEP_1) | instskip(NEXT) | instid1(VALU_DEP_1)
	v_mul_f64_e32 v[40:41], v[42:43], v[26:27]
	v_fma_f64 v[22:23], -v[22:23], v[40:41], v[42:43]
	s_delay_alu instid0(VALU_DEP_1) | instskip(SKIP_2) | instid1(VALU_DEP_3)
	v_div_fmas_f64 v[22:23], v[22:23], v[26:27], v[40:41]
	v_fma_f64 v[26:27], v[24:25], v[10:11], v[8:9]
	v_fma_f64 v[8:9], -v[24:25], v[8:9], v[10:11]
	v_div_fixup_f64 v[20:21], v[22:23], v[20:21], 1.0
	s_delay_alu instid0(VALU_DEP_1) | instskip(NEXT) | instid1(VALU_DEP_3)
	v_mul_f64_e32 v[24:25], v[26:27], v[20:21]
	v_mul_f64_e32 v[26:27], v[8:9], v[20:21]
.LBB233_30:                             ;   in Loop: Header=BB233_16 Depth=2
	v_mov_b32_e32 v8, s27
	s_or_b32 s27, s26, 32
	ds_load_b128 v[20:23], v8 offset:48
	ds_load_b128 v[8:11], v8 offset:1392
	s_sub_co_i32 s27, s36, s27
	ds_store_b128 v38, v[24:27] offset:896
	s_add_co_i32 s26, s27, s26
	v_mov_b32_e32 v39, s37
	ds_load_b128 v[40:43], v39 offset:48
	s_wait_dscnt 0x3
	v_dual_mul_f64 v[48:49], v[14:15], v[22:23] :: v_dual_mov_b32 v39, s26
	v_mul_f64_e32 v[22:23], v[12:13], v[22:23]
	s_wait_dscnt 0x2
	v_cmp_ngt_f64_e64 s26, |v[8:9]|, |v[10:11]|
	s_wait_dscnt 0x0
	v_mul_f64_e32 v[50:51], v[18:19], v[42:43]
	v_mul_f64_e32 v[42:43], v[16:17], v[42:43]
	ds_load_b128 v[44:47], v39 offset:512
	v_fma_f64 v[12:13], v[12:13], v[20:21], -v[48:49]
	v_fmac_f64_e32 v[22:23], v[14:15], v[20:21]
	s_and_b32 vcc_lo, exec_lo, s26
	s_mov_b32 s26, -1
	s_wait_dscnt 0x0
	v_mul_f64_e32 v[14:15], v[26:27], v[46:47]
	v_mul_f64_e32 v[20:21], v[24:25], v[46:47]
	v_fma_f64 v[16:17], v[16:17], v[40:41], -v[50:51]
	v_fmac_f64_e32 v[42:43], v[18:19], v[40:41]
	v_add_f64_e64 v[4:5], v[4:5], -v[12:13]
	v_add_f64_e64 v[6:7], v[6:7], -v[22:23]
	v_fma_f64 v[12:13], v[24:25], v[44:45], -v[14:15]
	v_fmac_f64_e32 v[20:21], v[26:27], v[44:45]
	s_delay_alu instid0(VALU_DEP_4) | instskip(NEXT) | instid1(VALU_DEP_4)
	v_add_f64_e64 v[4:5], v[4:5], -v[16:17]
	v_add_f64_e64 v[6:7], v[6:7], -v[42:43]
	s_delay_alu instid0(VALU_DEP_2) | instskip(NEXT) | instid1(VALU_DEP_2)
	v_add_f64_e64 v[12:13], v[4:5], -v[12:13]
	v_add_f64_e64 v[14:15], v[6:7], -v[20:21]
                                        ; implicit-def: $vgpr6_vgpr7
	s_cbranch_vccz .LBB233_32
; %bb.31:                               ;   in Loop: Header=BB233_16 Depth=2
	v_div_scale_f64 v[4:5], null, v[10:11], v[10:11], v[8:9]
	v_div_scale_f64 v[18:19], vcc_lo, v[8:9], v[10:11], v[8:9]
	s_mov_b32 s26, 0
	v_rcp_f64_e32 v[6:7], v[4:5]
	v_nop
	s_delay_alu instid0(TRANS32_DEP_1) | instskip(NEXT) | instid1(VALU_DEP_1)
	v_fma_f64 v[16:17], -v[4:5], v[6:7], 1.0
	v_fmac_f64_e32 v[6:7], v[6:7], v[16:17]
	s_delay_alu instid0(VALU_DEP_1) | instskip(NEXT) | instid1(VALU_DEP_1)
	v_fma_f64 v[16:17], -v[4:5], v[6:7], 1.0
	v_fmac_f64_e32 v[6:7], v[6:7], v[16:17]
	s_delay_alu instid0(VALU_DEP_1) | instskip(NEXT) | instid1(VALU_DEP_1)
	v_mul_f64_e32 v[16:17], v[18:19], v[6:7]
	v_fma_f64 v[4:5], -v[4:5], v[16:17], v[18:19]
	s_delay_alu instid0(VALU_DEP_1) | instskip(NEXT) | instid1(VALU_DEP_1)
	v_div_fmas_f64 v[4:5], v[4:5], v[6:7], v[16:17]
	v_div_fixup_f64 v[4:5], v[4:5], v[10:11], v[8:9]
	s_delay_alu instid0(VALU_DEP_1) | instskip(NEXT) | instid1(VALU_DEP_1)
	v_fma_f64 v[6:7], v[8:9], v[4:5], v[10:11]
	v_div_scale_f64 v[16:17], null, v[6:7], v[6:7], 1.0
	v_div_scale_f64 v[22:23], vcc_lo, 1.0, v[6:7], 1.0
	s_delay_alu instid0(VALU_DEP_2) | instskip(SKIP_1) | instid1(TRANS32_DEP_1)
	v_rcp_f64_e32 v[18:19], v[16:17]
	v_nop
	v_fma_f64 v[20:21], -v[16:17], v[18:19], 1.0
	s_delay_alu instid0(VALU_DEP_1) | instskip(NEXT) | instid1(VALU_DEP_1)
	v_fmac_f64_e32 v[18:19], v[18:19], v[20:21]
	v_fma_f64 v[20:21], -v[16:17], v[18:19], 1.0
	s_delay_alu instid0(VALU_DEP_1) | instskip(NEXT) | instid1(VALU_DEP_1)
	v_fmac_f64_e32 v[18:19], v[18:19], v[20:21]
	v_mul_f64_e32 v[20:21], v[22:23], v[18:19]
	s_delay_alu instid0(VALU_DEP_1) | instskip(NEXT) | instid1(VALU_DEP_1)
	v_fma_f64 v[16:17], -v[16:17], v[20:21], v[22:23]
	v_div_fmas_f64 v[16:17], v[16:17], v[18:19], v[20:21]
	v_fma_f64 v[18:19], v[4:5], v[12:13], v[14:15]
	s_delay_alu instid0(VALU_DEP_2) | instskip(SKIP_1) | instid1(VALU_DEP_2)
	v_div_fixup_f64 v[6:7], v[16:17], v[6:7], 1.0
	v_fma_f64 v[16:17], v[4:5], v[14:15], -v[12:13]
	v_mul_f64_e32 v[4:5], v[18:19], v[6:7]
	s_delay_alu instid0(VALU_DEP_2)
	v_mul_f64_e32 v[6:7], v[16:17], v[6:7]
.LBB233_32:                             ;   in Loop: Header=BB233_16 Depth=2
	s_and_not1_b32 vcc_lo, exec_lo, s26
	s_cbranch_vccnz .LBB233_34
; %bb.33:                               ;   in Loop: Header=BB233_16 Depth=2
	v_div_scale_f64 v[4:5], null, v[8:9], v[8:9], v[10:11]
	v_div_scale_f64 v[18:19], vcc_lo, v[10:11], v[8:9], v[10:11]
	s_delay_alu instid0(VALU_DEP_2) | instskip(SKIP_1) | instid1(TRANS32_DEP_1)
	v_rcp_f64_e32 v[6:7], v[4:5]
	v_nop
	v_fma_f64 v[16:17], -v[4:5], v[6:7], 1.0
	s_delay_alu instid0(VALU_DEP_1) | instskip(NEXT) | instid1(VALU_DEP_1)
	v_fmac_f64_e32 v[6:7], v[6:7], v[16:17]
	v_fma_f64 v[16:17], -v[4:5], v[6:7], 1.0
	s_delay_alu instid0(VALU_DEP_1) | instskip(NEXT) | instid1(VALU_DEP_1)
	v_fmac_f64_e32 v[6:7], v[6:7], v[16:17]
	v_mul_f64_e32 v[16:17], v[18:19], v[6:7]
	s_delay_alu instid0(VALU_DEP_1) | instskip(NEXT) | instid1(VALU_DEP_1)
	v_fma_f64 v[4:5], -v[4:5], v[16:17], v[18:19]
	v_div_fmas_f64 v[4:5], v[4:5], v[6:7], v[16:17]
	s_delay_alu instid0(VALU_DEP_1) | instskip(NEXT) | instid1(VALU_DEP_1)
	v_div_fixup_f64 v[4:5], v[4:5], v[8:9], v[10:11]
	v_fmac_f64_e32 v[8:9], v[10:11], v[4:5]
	s_delay_alu instid0(VALU_DEP_1) | instskip(SKIP_1) | instid1(VALU_DEP_2)
	v_div_scale_f64 v[6:7], null, v[8:9], v[8:9], 1.0
	v_div_scale_f64 v[18:19], vcc_lo, 1.0, v[8:9], 1.0
	v_rcp_f64_e32 v[10:11], v[6:7]
	v_nop
	s_delay_alu instid0(TRANS32_DEP_1) | instskip(NEXT) | instid1(VALU_DEP_1)
	v_fma_f64 v[16:17], -v[6:7], v[10:11], 1.0
	v_fmac_f64_e32 v[10:11], v[10:11], v[16:17]
	s_delay_alu instid0(VALU_DEP_1) | instskip(NEXT) | instid1(VALU_DEP_1)
	v_fma_f64 v[16:17], -v[6:7], v[10:11], 1.0
	v_fmac_f64_e32 v[10:11], v[10:11], v[16:17]
	s_delay_alu instid0(VALU_DEP_1) | instskip(NEXT) | instid1(VALU_DEP_1)
	v_mul_f64_e32 v[16:17], v[18:19], v[10:11]
	v_fma_f64 v[6:7], -v[6:7], v[16:17], v[18:19]
	s_delay_alu instid0(VALU_DEP_1) | instskip(SKIP_1) | instid1(VALU_DEP_2)
	v_div_fmas_f64 v[6:7], v[6:7], v[10:11], v[16:17]
	v_fma_f64 v[10:11], v[4:5], v[14:15], v[12:13]
	v_div_fixup_f64 v[6:7], v[6:7], v[8:9], 1.0
	v_fma_f64 v[8:9], -v[4:5], v[12:13], v[14:15]
	s_delay_alu instid0(VALU_DEP_2) | instskip(NEXT) | instid1(VALU_DEP_2)
	v_mul_f64_e32 v[4:5], v[10:11], v[6:7]
	v_mul_f64_e32 v[6:7], v[8:9], v[6:7]
.LBB233_34:                             ;   in Loop: Header=BB233_16 Depth=2
	s_add_co_i32 s26, s25, 4
	s_add_co_i32 s25, s25, 7
	;; [unrolled: 1-line block ×3, first 2 shown]
	s_cmp_ge_i32 s25, s29
	ds_store_b128 v37, v[4:7]
	s_cbranch_scc1 .LBB233_36
; %bb.35:                               ;   in Loop: Header=BB233_16 Depth=2
	s_mov_b32 s25, s26
	s_branch .LBB233_16
.LBB233_36:                             ;   in Loop: Header=BB233_3 Depth=1
	s_cmp_ge_i32 s26, s29
	s_cbranch_scc1 .LBB233_45
; %bb.37:                               ;   in Loop: Header=BB233_3 Depth=1
	s_lshl_b32 s24, s26, 4
	s_branch .LBB233_39
.LBB233_38:                             ;   in Loop: Header=BB233_39 Depth=2
	s_add_co_i32 s26, s26, 1
	s_add_co_i32 s24, s24, 16
	s_cmp_ge_i32 s26, s29
	ds_store_b128 v16, v[12:15]
	s_cbranch_scc1 .LBB233_45
.LBB233_39:                             ;   Parent Loop BB233_3 Depth=1
                                        ; =>  This Loop Header: Depth=2
                                        ;       Child Loop BB233_40 Depth 3
	s_mul_i32 s25, s26, 0x1c0
	s_cmp_eq_u32 s26, 0
	v_dual_add_nc_u32 v16, s25, v34 :: v_dual_mov_b32 v8, v34
	s_mov_b32 s27, s24
	s_mov_b32 s36, s26
	ds_load_b128 v[4:7], v16
	s_cbranch_scc1 .LBB233_41
.LBB233_40:                             ;   Parent Loop BB233_3 Depth=1
                                        ;     Parent Loop BB233_39 Depth=2
                                        ; =>    This Inner Loop Header: Depth=3
	v_mov_b32_e32 v9, s27
	s_add_co_i32 s36, s36, -1
	s_addk_co_i32 s27, 0x1c0
	s_cmp_eq_u32 s36, 0
	ds_load_b128 v[10:13], v8
	ds_load_b128 v[18:21], v9
	v_add_nc_u32_e32 v8, 0x1c0, v8
	s_wait_dscnt 0x0
	v_mul_f64_e32 v[14:15], v[20:21], v[12:13]
	v_mul_f64_e32 v[12:13], v[18:19], v[12:13]
	s_delay_alu instid0(VALU_DEP_2) | instskip(NEXT) | instid1(VALU_DEP_2)
	v_fma_f64 v[14:15], v[18:19], v[10:11], -v[14:15]
	v_fmac_f64_e32 v[12:13], v[20:21], v[10:11]
	s_delay_alu instid0(VALU_DEP_2) | instskip(NEXT) | instid1(VALU_DEP_2)
	v_add_f64_e64 v[4:5], v[4:5], -v[14:15]
	v_add_f64_e64 v[6:7], v[6:7], -v[12:13]
	s_cbranch_scc0 .LBB233_40
.LBB233_41:                             ;   in Loop: Header=BB233_39 Depth=2
	s_lshl_b32 s27, s26, 4
                                        ; implicit-def: $vgpr12_vgpr13
	s_delay_alu instid0(SALU_CYCLE_1) | instskip(NEXT) | instid1(SALU_CYCLE_1)
	s_add_co_i32 s25, s27, s25
	v_mov_b32_e32 v8, s25
	ds_load_b128 v[8:11], v8
	s_wait_dscnt 0x0
	v_cmp_ngt_f64_e64 s25, |v[8:9]|, |v[10:11]|
	s_and_b32 vcc_lo, exec_lo, s25
	s_mov_b32 s25, -1
	s_cbranch_vccz .LBB233_43
; %bb.42:                               ;   in Loop: Header=BB233_39 Depth=2
	v_div_scale_f64 v[12:13], null, v[10:11], v[10:11], v[8:9]
	v_div_scale_f64 v[20:21], vcc_lo, v[8:9], v[10:11], v[8:9]
	s_mov_b32 s25, 0
	v_rcp_f64_e32 v[14:15], v[12:13]
	v_nop
	s_delay_alu instid0(TRANS32_DEP_1) | instskip(NEXT) | instid1(VALU_DEP_1)
	v_fma_f64 v[18:19], -v[12:13], v[14:15], 1.0
	v_fmac_f64_e32 v[14:15], v[14:15], v[18:19]
	s_delay_alu instid0(VALU_DEP_1) | instskip(NEXT) | instid1(VALU_DEP_1)
	v_fma_f64 v[18:19], -v[12:13], v[14:15], 1.0
	v_fmac_f64_e32 v[14:15], v[14:15], v[18:19]
	s_delay_alu instid0(VALU_DEP_1) | instskip(NEXT) | instid1(VALU_DEP_1)
	v_mul_f64_e32 v[18:19], v[20:21], v[14:15]
	v_fma_f64 v[12:13], -v[12:13], v[18:19], v[20:21]
	s_delay_alu instid0(VALU_DEP_1) | instskip(NEXT) | instid1(VALU_DEP_1)
	v_div_fmas_f64 v[12:13], v[12:13], v[14:15], v[18:19]
	v_div_fixup_f64 v[12:13], v[12:13], v[10:11], v[8:9]
	s_delay_alu instid0(VALU_DEP_1) | instskip(NEXT) | instid1(VALU_DEP_1)
	v_fma_f64 v[14:15], v[8:9], v[12:13], v[10:11]
	v_div_scale_f64 v[18:19], null, v[14:15], v[14:15], 1.0
	v_div_scale_f64 v[24:25], vcc_lo, 1.0, v[14:15], 1.0
	s_delay_alu instid0(VALU_DEP_2) | instskip(SKIP_1) | instid1(TRANS32_DEP_1)
	v_rcp_f64_e32 v[20:21], v[18:19]
	v_nop
	v_fma_f64 v[22:23], -v[18:19], v[20:21], 1.0
	s_delay_alu instid0(VALU_DEP_1) | instskip(NEXT) | instid1(VALU_DEP_1)
	v_fmac_f64_e32 v[20:21], v[20:21], v[22:23]
	v_fma_f64 v[22:23], -v[18:19], v[20:21], 1.0
	s_delay_alu instid0(VALU_DEP_1) | instskip(NEXT) | instid1(VALU_DEP_1)
	v_fmac_f64_e32 v[20:21], v[20:21], v[22:23]
	v_mul_f64_e32 v[22:23], v[24:25], v[20:21]
	s_delay_alu instid0(VALU_DEP_1) | instskip(NEXT) | instid1(VALU_DEP_1)
	v_fma_f64 v[18:19], -v[18:19], v[22:23], v[24:25]
	v_div_fmas_f64 v[18:19], v[18:19], v[20:21], v[22:23]
	v_fma_f64 v[20:21], v[4:5], v[12:13], v[6:7]
	s_delay_alu instid0(VALU_DEP_2) | instskip(SKIP_1) | instid1(VALU_DEP_2)
	v_div_fixup_f64 v[14:15], v[18:19], v[14:15], 1.0
	v_fma_f64 v[18:19], v[6:7], v[12:13], -v[4:5]
	v_mul_f64_e32 v[12:13], v[20:21], v[14:15]
	s_delay_alu instid0(VALU_DEP_2)
	v_mul_f64_e32 v[14:15], v[18:19], v[14:15]
.LBB233_43:                             ;   in Loop: Header=BB233_39 Depth=2
	s_and_not1_b32 vcc_lo, exec_lo, s25
	s_cbranch_vccnz .LBB233_38
; %bb.44:                               ;   in Loop: Header=BB233_39 Depth=2
	v_div_scale_f64 v[12:13], null, v[8:9], v[8:9], v[10:11]
	v_div_scale_f64 v[20:21], vcc_lo, v[10:11], v[8:9], v[10:11]
	s_delay_alu instid0(VALU_DEP_2) | instskip(SKIP_1) | instid1(TRANS32_DEP_1)
	v_rcp_f64_e32 v[14:15], v[12:13]
	v_nop
	v_fma_f64 v[18:19], -v[12:13], v[14:15], 1.0
	s_delay_alu instid0(VALU_DEP_1) | instskip(NEXT) | instid1(VALU_DEP_1)
	v_fmac_f64_e32 v[14:15], v[14:15], v[18:19]
	v_fma_f64 v[18:19], -v[12:13], v[14:15], 1.0
	s_delay_alu instid0(VALU_DEP_1) | instskip(NEXT) | instid1(VALU_DEP_1)
	v_fmac_f64_e32 v[14:15], v[14:15], v[18:19]
	v_mul_f64_e32 v[18:19], v[20:21], v[14:15]
	s_delay_alu instid0(VALU_DEP_1) | instskip(NEXT) | instid1(VALU_DEP_1)
	v_fma_f64 v[12:13], -v[12:13], v[18:19], v[20:21]
	v_div_fmas_f64 v[12:13], v[12:13], v[14:15], v[18:19]
	s_delay_alu instid0(VALU_DEP_1) | instskip(NEXT) | instid1(VALU_DEP_1)
	v_div_fixup_f64 v[12:13], v[12:13], v[8:9], v[10:11]
	v_fmac_f64_e32 v[8:9], v[10:11], v[12:13]
	s_delay_alu instid0(VALU_DEP_1) | instskip(SKIP_1) | instid1(VALU_DEP_2)
	v_div_scale_f64 v[10:11], null, v[8:9], v[8:9], 1.0
	v_div_scale_f64 v[20:21], vcc_lo, 1.0, v[8:9], 1.0
	v_rcp_f64_e32 v[14:15], v[10:11]
	v_nop
	s_delay_alu instid0(TRANS32_DEP_1) | instskip(NEXT) | instid1(VALU_DEP_1)
	v_fma_f64 v[18:19], -v[10:11], v[14:15], 1.0
	v_fmac_f64_e32 v[14:15], v[14:15], v[18:19]
	s_delay_alu instid0(VALU_DEP_1) | instskip(NEXT) | instid1(VALU_DEP_1)
	v_fma_f64 v[18:19], -v[10:11], v[14:15], 1.0
	v_fmac_f64_e32 v[14:15], v[14:15], v[18:19]
	s_delay_alu instid0(VALU_DEP_1) | instskip(NEXT) | instid1(VALU_DEP_1)
	v_mul_f64_e32 v[18:19], v[20:21], v[14:15]
	v_fma_f64 v[10:11], -v[10:11], v[18:19], v[20:21]
	s_delay_alu instid0(VALU_DEP_1) | instskip(SKIP_2) | instid1(VALU_DEP_3)
	v_div_fmas_f64 v[10:11], v[10:11], v[14:15], v[18:19]
	v_fma_f64 v[14:15], v[6:7], v[12:13], v[4:5]
	v_fma_f64 v[4:5], -v[4:5], v[12:13], v[6:7]
	v_div_fixup_f64 v[8:9], v[10:11], v[8:9], 1.0
	s_delay_alu instid0(VALU_DEP_1) | instskip(NEXT) | instid1(VALU_DEP_3)
	v_mul_f64_e32 v[12:13], v[14:15], v[8:9]
	v_mul_f64_e32 v[14:15], v[4:5], v[8:9]
	s_branch .LBB233_38
.LBB233_45:                             ;   in Loop: Header=BB233_3 Depth=1
	s_mov_b32 s24, 0
.LBB233_46:                             ;   in Loop: Header=BB233_3 Depth=1
	s_delay_alu instid0(SALU_CYCLE_1)
	s_and_b32 vcc_lo, exec_lo, s24
	s_cbranch_vccz .LBB233_78
; %bb.47:                               ;   in Loop: Header=BB233_3 Depth=1
	s_mov_b32 s26, s30
	s_and_not1_b32 vcc_lo, exec_lo, s34
	s_mov_b32 s24, s18
	s_mov_b32 s25, s30
	s_cbranch_vccnz .LBB233_69
.LBB233_48:                             ;   Parent Loop BB233_3 Depth=1
                                        ; =>  This Loop Header: Depth=2
                                        ;       Child Loop BB233_49 Depth 3
	s_mul_i32 s27, s25, 0x1c0
	s_mov_b32 s36, s30
	s_add_co_i32 s26, s27, 0xfffffac0
	s_delay_alu instid0(SALU_CYCLE_1) | instskip(SKIP_2) | instid1(VALU_DEP_1)
	v_dual_add_nc_u32 v40, s27, v34 :: v_dual_add_nc_u32 v37, s26, v34
	s_cmp_le_i32 s30, s25
	s_mov_b32 s26, s24
	v_dual_mov_b32 v12, v35 :: v_dual_add_nc_u32 v39, 0xfffffe40, v40
	v_add_nc_u32_e32 v38, 0xfffffc80, v40
	ds_load_b128 v[20:23], v40
	ds_load_b128 v[16:19], v39
	;; [unrolled: 1-line block ×4, first 2 shown]
	s_cbranch_scc1 .LBB233_50
.LBB233_49:                             ;   Parent Loop BB233_3 Depth=1
                                        ;     Parent Loop BB233_48 Depth=2
                                        ; =>    This Inner Loop Header: Depth=3
	v_mov_b32_e32 v13, s26
	s_add_co_i32 s36, s36, -1
	s_addk_co_i32 s26, 0xfe40
	s_cmp_le_i32 s36, s25
	ds_load_b128 v[24:27], v12
	ds_load_b128 v[42:45], v13 offset:48
	ds_load_b128 v[46:49], v13 offset:32
	;; [unrolled: 1-line block ×3, first 2 shown]
	ds_load_b128 v[54:57], v13
	v_add_nc_u32_e32 v12, 0xfffffe40, v12
	s_wait_dscnt 0x3
	v_mul_f64_e32 v[14:15], v[26:27], v[44:45]
	v_mul_f64_e32 v[44:45], v[24:25], v[44:45]
	s_wait_dscnt 0x2
	v_mul_f64_e32 v[58:59], v[26:27], v[48:49]
	v_mul_f64_e32 v[48:49], v[24:25], v[48:49]
	;; [unrolled: 3-line block ×4, first 2 shown]
	v_fma_f64 v[14:15], v[24:25], v[42:43], -v[14:15]
	v_fmac_f64_e32 v[44:45], v[26:27], v[42:43]
	v_fma_f64 v[42:43], v[24:25], v[46:47], -v[58:59]
	v_fmac_f64_e32 v[48:49], v[26:27], v[46:47]
	;; [unrolled: 2-line block ×4, first 2 shown]
	v_add_f64_e64 v[20:21], v[20:21], -v[14:15]
	v_add_f64_e64 v[22:23], v[22:23], -v[44:45]
	;; [unrolled: 1-line block ×8, first 2 shown]
	s_cbranch_scc0 .LBB233_49
.LBB233_50:                             ;   in Loop: Header=BB233_48 Depth=2
	s_add_co_i32 s26, s25, -3
; %bb.51:                               ;   in Loop: Header=BB233_48 Depth=2
	s_lshl_b32 s36, s25, 4
	s_delay_alu instid0(SALU_CYCLE_1) | instskip(NEXT) | instid1(SALU_CYCLE_1)
	s_add_co_i32 s27, s36, s27
	v_mov_b32_e32 v12, s27
	ds_load_b128 v[24:27], v12
                                        ; implicit-def: $vgpr14_vgpr15
	s_wait_dscnt 0x0
	v_cmp_ngt_f64_e64 s36, |v[24:25]|, |v[26:27]|
	s_and_b32 vcc_lo, exec_lo, s36
	s_mov_b32 s36, -1
	s_cbranch_vccz .LBB233_53
; %bb.52:                               ;   in Loop: Header=BB233_48 Depth=2
	v_div_scale_f64 v[12:13], null, v[26:27], v[26:27], v[24:25]
	v_div_scale_f64 v[44:45], vcc_lo, v[24:25], v[26:27], v[24:25]
	s_mov_b32 s36, 0
	v_rcp_f64_e32 v[14:15], v[12:13]
	v_nop
	s_delay_alu instid0(TRANS32_DEP_1) | instskip(NEXT) | instid1(VALU_DEP_1)
	v_fma_f64 v[42:43], -v[12:13], v[14:15], 1.0
	v_fmac_f64_e32 v[14:15], v[14:15], v[42:43]
	s_delay_alu instid0(VALU_DEP_1) | instskip(NEXT) | instid1(VALU_DEP_1)
	v_fma_f64 v[42:43], -v[12:13], v[14:15], 1.0
	v_fmac_f64_e32 v[14:15], v[14:15], v[42:43]
	s_delay_alu instid0(VALU_DEP_1) | instskip(NEXT) | instid1(VALU_DEP_1)
	v_mul_f64_e32 v[42:43], v[44:45], v[14:15]
	v_fma_f64 v[12:13], -v[12:13], v[42:43], v[44:45]
	s_delay_alu instid0(VALU_DEP_1) | instskip(NEXT) | instid1(VALU_DEP_1)
	v_div_fmas_f64 v[12:13], v[12:13], v[14:15], v[42:43]
	v_div_fixup_f64 v[12:13], v[12:13], v[26:27], v[24:25]
	s_delay_alu instid0(VALU_DEP_1) | instskip(NEXT) | instid1(VALU_DEP_1)
	v_fma_f64 v[14:15], v[24:25], v[12:13], v[26:27]
	v_div_scale_f64 v[42:43], null, v[14:15], v[14:15], 1.0
	v_div_scale_f64 v[48:49], vcc_lo, 1.0, v[14:15], 1.0
	s_delay_alu instid0(VALU_DEP_2) | instskip(SKIP_1) | instid1(TRANS32_DEP_1)
	v_rcp_f64_e32 v[44:45], v[42:43]
	v_nop
	v_fma_f64 v[46:47], -v[42:43], v[44:45], 1.0
	s_delay_alu instid0(VALU_DEP_1) | instskip(NEXT) | instid1(VALU_DEP_1)
	v_fmac_f64_e32 v[44:45], v[44:45], v[46:47]
	v_fma_f64 v[46:47], -v[42:43], v[44:45], 1.0
	s_delay_alu instid0(VALU_DEP_1) | instskip(NEXT) | instid1(VALU_DEP_1)
	v_fmac_f64_e32 v[44:45], v[44:45], v[46:47]
	v_mul_f64_e32 v[46:47], v[48:49], v[44:45]
	s_delay_alu instid0(VALU_DEP_1) | instskip(NEXT) | instid1(VALU_DEP_1)
	v_fma_f64 v[42:43], -v[42:43], v[46:47], v[48:49]
	v_div_fmas_f64 v[42:43], v[42:43], v[44:45], v[46:47]
	v_fma_f64 v[44:45], v[20:21], v[12:13], v[22:23]
	s_delay_alu instid0(VALU_DEP_2) | instskip(SKIP_1) | instid1(VALU_DEP_2)
	v_div_fixup_f64 v[14:15], v[42:43], v[14:15], 1.0
	v_fma_f64 v[42:43], v[22:23], v[12:13], -v[20:21]
	v_mul_f64_e32 v[12:13], v[44:45], v[14:15]
	s_delay_alu instid0(VALU_DEP_2)
	v_mul_f64_e32 v[14:15], v[42:43], v[14:15]
.LBB233_53:                             ;   in Loop: Header=BB233_48 Depth=2
	s_and_not1_b32 vcc_lo, exec_lo, s36
	s_cbranch_vccnz .LBB233_55
; %bb.54:                               ;   in Loop: Header=BB233_48 Depth=2
	v_div_scale_f64 v[12:13], null, v[24:25], v[24:25], v[26:27]
	v_div_scale_f64 v[44:45], vcc_lo, v[26:27], v[24:25], v[26:27]
	s_delay_alu instid0(VALU_DEP_2) | instskip(SKIP_1) | instid1(TRANS32_DEP_1)
	v_rcp_f64_e32 v[14:15], v[12:13]
	v_nop
	v_fma_f64 v[42:43], -v[12:13], v[14:15], 1.0
	s_delay_alu instid0(VALU_DEP_1) | instskip(NEXT) | instid1(VALU_DEP_1)
	v_fmac_f64_e32 v[14:15], v[14:15], v[42:43]
	v_fma_f64 v[42:43], -v[12:13], v[14:15], 1.0
	s_delay_alu instid0(VALU_DEP_1) | instskip(NEXT) | instid1(VALU_DEP_1)
	v_fmac_f64_e32 v[14:15], v[14:15], v[42:43]
	v_mul_f64_e32 v[42:43], v[44:45], v[14:15]
	s_delay_alu instid0(VALU_DEP_1) | instskip(NEXT) | instid1(VALU_DEP_1)
	v_fma_f64 v[12:13], -v[12:13], v[42:43], v[44:45]
	v_div_fmas_f64 v[12:13], v[12:13], v[14:15], v[42:43]
	s_delay_alu instid0(VALU_DEP_1) | instskip(NEXT) | instid1(VALU_DEP_1)
	v_div_fixup_f64 v[12:13], v[12:13], v[24:25], v[26:27]
	v_fmac_f64_e32 v[24:25], v[26:27], v[12:13]
	s_delay_alu instid0(VALU_DEP_1) | instskip(SKIP_1) | instid1(VALU_DEP_2)
	v_div_scale_f64 v[14:15], null, v[24:25], v[24:25], 1.0
	v_div_scale_f64 v[44:45], vcc_lo, 1.0, v[24:25], 1.0
	v_rcp_f64_e32 v[26:27], v[14:15]
	v_nop
	s_delay_alu instid0(TRANS32_DEP_1) | instskip(NEXT) | instid1(VALU_DEP_1)
	v_fma_f64 v[42:43], -v[14:15], v[26:27], 1.0
	v_fmac_f64_e32 v[26:27], v[26:27], v[42:43]
	s_delay_alu instid0(VALU_DEP_1) | instskip(NEXT) | instid1(VALU_DEP_1)
	v_fma_f64 v[42:43], -v[14:15], v[26:27], 1.0
	v_fmac_f64_e32 v[26:27], v[26:27], v[42:43]
	s_delay_alu instid0(VALU_DEP_1) | instskip(NEXT) | instid1(VALU_DEP_1)
	v_mul_f64_e32 v[42:43], v[44:45], v[26:27]
	v_fma_f64 v[14:15], -v[14:15], v[42:43], v[44:45]
	s_delay_alu instid0(VALU_DEP_1) | instskip(SKIP_2) | instid1(VALU_DEP_3)
	v_div_fmas_f64 v[14:15], v[14:15], v[26:27], v[42:43]
	v_fma_f64 v[26:27], v[22:23], v[12:13], v[20:21]
	v_fma_f64 v[20:21], -v[20:21], v[12:13], v[22:23]
	v_div_fixup_f64 v[14:15], v[14:15], v[24:25], 1.0
	s_delay_alu instid0(VALU_DEP_1) | instskip(NEXT) | instid1(VALU_DEP_3)
	v_mul_f64_e32 v[12:13], v[26:27], v[14:15]
	v_mul_f64_e32 v[14:15], v[20:21], v[14:15]
.LBB233_55:                             ;   in Loop: Header=BB233_48 Depth=2
	s_add_co_i32 s36, s27, -16
	s_add_co_i32 s37, s27, 0xfffffe30
	v_mov_b32_e32 v20, s36
	ds_store_b128 v40, v[12:15]
	ds_load_b128 v[24:27], v20
	s_wait_dscnt 0x0
	v_dual_mul_f64 v[42:43], v[14:15], v[26:27] :: v_dual_mov_b32 v20, s37
	v_mul_f64_e32 v[26:27], v[12:13], v[26:27]
	ds_load_b128 v[20:23], v20
	s_wait_dscnt 0x0
	v_cmp_ngt_f64_e64 s36, |v[20:21]|, |v[22:23]|
	v_fma_f64 v[42:43], v[12:13], v[24:25], -v[42:43]
	v_fmac_f64_e32 v[26:27], v[14:15], v[24:25]
	s_and_b32 vcc_lo, exec_lo, s36
	s_mov_b32 s36, -1
	s_delay_alu instid0(VALU_DEP_2) | instskip(NEXT) | instid1(VALU_DEP_2)
	v_add_f64_e64 v[24:25], v[16:17], -v[42:43]
	v_add_f64_e64 v[26:27], v[18:19], -v[26:27]
                                        ; implicit-def: $vgpr18_vgpr19
	s_cbranch_vccz .LBB233_57
; %bb.56:                               ;   in Loop: Header=BB233_48 Depth=2
	v_div_scale_f64 v[16:17], null, v[22:23], v[22:23], v[20:21]
	v_div_scale_f64 v[42:43], vcc_lo, v[20:21], v[22:23], v[20:21]
	s_mov_b32 s36, 0
	v_rcp_f64_e32 v[18:19], v[16:17]
	v_nop
	s_delay_alu instid0(TRANS32_DEP_1) | instskip(NEXT) | instid1(VALU_DEP_1)
	v_fma_f64 v[40:41], -v[16:17], v[18:19], 1.0
	v_fmac_f64_e32 v[18:19], v[18:19], v[40:41]
	s_delay_alu instid0(VALU_DEP_1) | instskip(NEXT) | instid1(VALU_DEP_1)
	v_fma_f64 v[40:41], -v[16:17], v[18:19], 1.0
	v_fmac_f64_e32 v[18:19], v[18:19], v[40:41]
	s_delay_alu instid0(VALU_DEP_1) | instskip(NEXT) | instid1(VALU_DEP_1)
	v_mul_f64_e32 v[40:41], v[42:43], v[18:19]
	v_fma_f64 v[16:17], -v[16:17], v[40:41], v[42:43]
	s_delay_alu instid0(VALU_DEP_1) | instskip(NEXT) | instid1(VALU_DEP_1)
	v_div_fmas_f64 v[16:17], v[16:17], v[18:19], v[40:41]
	v_div_fixup_f64 v[16:17], v[16:17], v[22:23], v[20:21]
	s_delay_alu instid0(VALU_DEP_1) | instskip(NEXT) | instid1(VALU_DEP_1)
	v_fma_f64 v[18:19], v[20:21], v[16:17], v[22:23]
	v_div_scale_f64 v[40:41], null, v[18:19], v[18:19], 1.0
	v_div_scale_f64 v[46:47], vcc_lo, 1.0, v[18:19], 1.0
	s_delay_alu instid0(VALU_DEP_2) | instskip(SKIP_1) | instid1(TRANS32_DEP_1)
	v_rcp_f64_e32 v[42:43], v[40:41]
	v_nop
	v_fma_f64 v[44:45], -v[40:41], v[42:43], 1.0
	s_delay_alu instid0(VALU_DEP_1) | instskip(NEXT) | instid1(VALU_DEP_1)
	v_fmac_f64_e32 v[42:43], v[42:43], v[44:45]
	v_fma_f64 v[44:45], -v[40:41], v[42:43], 1.0
	s_delay_alu instid0(VALU_DEP_1) | instskip(NEXT) | instid1(VALU_DEP_1)
	v_fmac_f64_e32 v[42:43], v[42:43], v[44:45]
	v_mul_f64_e32 v[44:45], v[46:47], v[42:43]
	s_delay_alu instid0(VALU_DEP_1) | instskip(NEXT) | instid1(VALU_DEP_1)
	v_fma_f64 v[40:41], -v[40:41], v[44:45], v[46:47]
	v_div_fmas_f64 v[40:41], v[40:41], v[42:43], v[44:45]
	v_fma_f64 v[42:43], v[16:17], v[24:25], v[26:27]
	s_delay_alu instid0(VALU_DEP_2) | instskip(SKIP_1) | instid1(VALU_DEP_2)
	v_div_fixup_f64 v[18:19], v[40:41], v[18:19], 1.0
	v_fma_f64 v[40:41], v[16:17], v[26:27], -v[24:25]
	v_mul_f64_e32 v[16:17], v[42:43], v[18:19]
	s_delay_alu instid0(VALU_DEP_2)
	v_mul_f64_e32 v[18:19], v[40:41], v[18:19]
.LBB233_57:                             ;   in Loop: Header=BB233_48 Depth=2
	s_and_not1_b32 vcc_lo, exec_lo, s36
	s_cbranch_vccnz .LBB233_59
; %bb.58:                               ;   in Loop: Header=BB233_48 Depth=2
	v_div_scale_f64 v[16:17], null, v[20:21], v[20:21], v[22:23]
	v_div_scale_f64 v[42:43], vcc_lo, v[22:23], v[20:21], v[22:23]
	s_delay_alu instid0(VALU_DEP_2) | instskip(SKIP_1) | instid1(TRANS32_DEP_1)
	v_rcp_f64_e32 v[18:19], v[16:17]
	v_nop
	v_fma_f64 v[40:41], -v[16:17], v[18:19], 1.0
	s_delay_alu instid0(VALU_DEP_1) | instskip(NEXT) | instid1(VALU_DEP_1)
	v_fmac_f64_e32 v[18:19], v[18:19], v[40:41]
	v_fma_f64 v[40:41], -v[16:17], v[18:19], 1.0
	s_delay_alu instid0(VALU_DEP_1) | instskip(NEXT) | instid1(VALU_DEP_1)
	v_fmac_f64_e32 v[18:19], v[18:19], v[40:41]
	v_mul_f64_e32 v[40:41], v[42:43], v[18:19]
	s_delay_alu instid0(VALU_DEP_1) | instskip(NEXT) | instid1(VALU_DEP_1)
	v_fma_f64 v[16:17], -v[16:17], v[40:41], v[42:43]
	v_div_fmas_f64 v[16:17], v[16:17], v[18:19], v[40:41]
	s_delay_alu instid0(VALU_DEP_1) | instskip(NEXT) | instid1(VALU_DEP_1)
	v_div_fixup_f64 v[16:17], v[16:17], v[20:21], v[22:23]
	v_fmac_f64_e32 v[20:21], v[22:23], v[16:17]
	s_delay_alu instid0(VALU_DEP_1) | instskip(SKIP_1) | instid1(VALU_DEP_2)
	v_div_scale_f64 v[18:19], null, v[20:21], v[20:21], 1.0
	v_div_scale_f64 v[42:43], vcc_lo, 1.0, v[20:21], 1.0
	v_rcp_f64_e32 v[22:23], v[18:19]
	v_nop
	s_delay_alu instid0(TRANS32_DEP_1) | instskip(NEXT) | instid1(VALU_DEP_1)
	v_fma_f64 v[40:41], -v[18:19], v[22:23], 1.0
	v_fmac_f64_e32 v[22:23], v[22:23], v[40:41]
	s_delay_alu instid0(VALU_DEP_1) | instskip(NEXT) | instid1(VALU_DEP_1)
	v_fma_f64 v[40:41], -v[18:19], v[22:23], 1.0
	v_fmac_f64_e32 v[22:23], v[22:23], v[40:41]
	s_delay_alu instid0(VALU_DEP_1) | instskip(NEXT) | instid1(VALU_DEP_1)
	v_mul_f64_e32 v[40:41], v[42:43], v[22:23]
	v_fma_f64 v[18:19], -v[18:19], v[40:41], v[42:43]
	s_delay_alu instid0(VALU_DEP_1) | instskip(SKIP_1) | instid1(VALU_DEP_2)
	v_div_fmas_f64 v[18:19], v[18:19], v[22:23], v[40:41]
	v_fma_f64 v[22:23], v[16:17], v[26:27], v[24:25]
	v_div_fixup_f64 v[18:19], v[18:19], v[20:21], 1.0
	v_fma_f64 v[20:21], -v[16:17], v[24:25], v[26:27]
	s_delay_alu instid0(VALU_DEP_2) | instskip(NEXT) | instid1(VALU_DEP_2)
	v_mul_f64_e32 v[16:17], v[22:23], v[18:19]
	v_mul_f64_e32 v[18:19], v[20:21], v[18:19]
.LBB233_59:                             ;   in Loop: Header=BB233_48 Depth=2
	s_sub_co_i32 s36, s27, 32
	s_add_co_i32 s38, s25, -2
	v_mov_b32_e32 v20, s36
	s_add_co_i32 s36, s25, -1
	ds_store_b128 v39, v[16:19]
	s_lshl_b32 s39, s36, 4
	s_lshl_b32 s36, s38, 4
	s_sub_co_i32 s38, s37, s39
	s_delay_alu instid0(SALU_CYCLE_1) | instskip(NEXT) | instid1(SALU_CYCLE_1)
	s_add_co_i32 s37, s38, s36
	v_mov_b32_e32 v24, s37
	ds_load_b128 v[20:23], v20
	s_add_co_i32 s37, s27, 0xfffffc60
	ds_load_b128 v[24:27], v24
	s_wait_dscnt 0x1
	v_mul_f64_e32 v[40:41], v[14:15], v[22:23]
	v_mul_f64_e32 v[22:23], v[12:13], v[22:23]
	s_wait_dscnt 0x0
	v_mul_f64_e32 v[42:43], v[18:19], v[26:27]
	v_mul_f64_e32 v[26:27], v[16:17], v[26:27]
	s_delay_alu instid0(VALU_DEP_4) | instskip(NEXT) | instid1(VALU_DEP_4)
	v_fma_f64 v[40:41], v[12:13], v[20:21], -v[40:41]
	v_fmac_f64_e32 v[22:23], v[14:15], v[20:21]
	s_delay_alu instid0(VALU_DEP_4) | instskip(NEXT) | instid1(VALU_DEP_4)
	v_fma_f64 v[20:21], v[16:17], v[24:25], -v[42:43]
	v_fmac_f64_e32 v[26:27], v[18:19], v[24:25]
	s_delay_alu instid0(VALU_DEP_4) | instskip(NEXT) | instid1(VALU_DEP_4)
	v_add_f64_e64 v[24:25], v[8:9], -v[40:41]
	v_dual_add_f64 v[22:23], v[10:11], -v[22:23] :: v_dual_mov_b32 v8, s37
	ds_load_b128 v[8:11], v8
	s_wait_dscnt 0x0
	v_cmp_ngt_f64_e64 s39, |v[8:9]|, |v[10:11]|
	v_add_f64_e64 v[24:25], v[24:25], -v[20:21]
	v_add_f64_e64 v[26:27], v[22:23], -v[26:27]
                                        ; implicit-def: $vgpr22_vgpr23
	s_and_b32 vcc_lo, exec_lo, s39
	s_mov_b32 s39, -1
	s_cbranch_vccz .LBB233_61
; %bb.60:                               ;   in Loop: Header=BB233_48 Depth=2
	v_div_scale_f64 v[20:21], null, v[10:11], v[10:11], v[8:9]
	v_div_scale_f64 v[42:43], vcc_lo, v[8:9], v[10:11], v[8:9]
	s_mov_b32 s39, 0
	v_rcp_f64_e32 v[22:23], v[20:21]
	v_nop
	s_delay_alu instid0(TRANS32_DEP_1) | instskip(NEXT) | instid1(VALU_DEP_1)
	v_fma_f64 v[40:41], -v[20:21], v[22:23], 1.0
	v_fmac_f64_e32 v[22:23], v[22:23], v[40:41]
	s_delay_alu instid0(VALU_DEP_1) | instskip(NEXT) | instid1(VALU_DEP_1)
	v_fma_f64 v[40:41], -v[20:21], v[22:23], 1.0
	v_fmac_f64_e32 v[22:23], v[22:23], v[40:41]
	s_delay_alu instid0(VALU_DEP_1) | instskip(NEXT) | instid1(VALU_DEP_1)
	v_mul_f64_e32 v[40:41], v[42:43], v[22:23]
	v_fma_f64 v[20:21], -v[20:21], v[40:41], v[42:43]
	s_delay_alu instid0(VALU_DEP_1) | instskip(NEXT) | instid1(VALU_DEP_1)
	v_div_fmas_f64 v[20:21], v[20:21], v[22:23], v[40:41]
	v_div_fixup_f64 v[20:21], v[20:21], v[10:11], v[8:9]
	s_delay_alu instid0(VALU_DEP_1) | instskip(NEXT) | instid1(VALU_DEP_1)
	v_fma_f64 v[22:23], v[8:9], v[20:21], v[10:11]
	v_div_scale_f64 v[40:41], null, v[22:23], v[22:23], 1.0
	v_div_scale_f64 v[46:47], vcc_lo, 1.0, v[22:23], 1.0
	s_delay_alu instid0(VALU_DEP_2) | instskip(SKIP_1) | instid1(TRANS32_DEP_1)
	v_rcp_f64_e32 v[42:43], v[40:41]
	v_nop
	v_fma_f64 v[44:45], -v[40:41], v[42:43], 1.0
	s_delay_alu instid0(VALU_DEP_1) | instskip(NEXT) | instid1(VALU_DEP_1)
	v_fmac_f64_e32 v[42:43], v[42:43], v[44:45]
	v_fma_f64 v[44:45], -v[40:41], v[42:43], 1.0
	s_delay_alu instid0(VALU_DEP_1) | instskip(NEXT) | instid1(VALU_DEP_1)
	v_fmac_f64_e32 v[42:43], v[42:43], v[44:45]
	v_mul_f64_e32 v[44:45], v[46:47], v[42:43]
	s_delay_alu instid0(VALU_DEP_1) | instskip(NEXT) | instid1(VALU_DEP_1)
	v_fma_f64 v[40:41], -v[40:41], v[44:45], v[46:47]
	v_div_fmas_f64 v[40:41], v[40:41], v[42:43], v[44:45]
	v_fma_f64 v[42:43], v[20:21], v[24:25], v[26:27]
	s_delay_alu instid0(VALU_DEP_2) | instskip(SKIP_1) | instid1(VALU_DEP_2)
	v_div_fixup_f64 v[22:23], v[40:41], v[22:23], 1.0
	v_fma_f64 v[40:41], v[20:21], v[26:27], -v[24:25]
	v_mul_f64_e32 v[20:21], v[42:43], v[22:23]
	s_delay_alu instid0(VALU_DEP_2)
	v_mul_f64_e32 v[22:23], v[40:41], v[22:23]
.LBB233_61:                             ;   in Loop: Header=BB233_48 Depth=2
	s_and_not1_b32 vcc_lo, exec_lo, s39
	s_cbranch_vccnz .LBB233_63
; %bb.62:                               ;   in Loop: Header=BB233_48 Depth=2
	v_div_scale_f64 v[20:21], null, v[8:9], v[8:9], v[10:11]
	v_div_scale_f64 v[42:43], vcc_lo, v[10:11], v[8:9], v[10:11]
	s_delay_alu instid0(VALU_DEP_2) | instskip(SKIP_1) | instid1(TRANS32_DEP_1)
	v_rcp_f64_e32 v[22:23], v[20:21]
	v_nop
	v_fma_f64 v[40:41], -v[20:21], v[22:23], 1.0
	s_delay_alu instid0(VALU_DEP_1) | instskip(NEXT) | instid1(VALU_DEP_1)
	v_fmac_f64_e32 v[22:23], v[22:23], v[40:41]
	v_fma_f64 v[40:41], -v[20:21], v[22:23], 1.0
	s_delay_alu instid0(VALU_DEP_1) | instskip(NEXT) | instid1(VALU_DEP_1)
	v_fmac_f64_e32 v[22:23], v[22:23], v[40:41]
	v_mul_f64_e32 v[40:41], v[42:43], v[22:23]
	s_delay_alu instid0(VALU_DEP_1) | instskip(NEXT) | instid1(VALU_DEP_1)
	v_fma_f64 v[20:21], -v[20:21], v[40:41], v[42:43]
	v_div_fmas_f64 v[20:21], v[20:21], v[22:23], v[40:41]
	s_delay_alu instid0(VALU_DEP_1) | instskip(NEXT) | instid1(VALU_DEP_1)
	v_div_fixup_f64 v[20:21], v[20:21], v[8:9], v[10:11]
	v_fmac_f64_e32 v[8:9], v[10:11], v[20:21]
	s_delay_alu instid0(VALU_DEP_1) | instskip(SKIP_1) | instid1(VALU_DEP_2)
	v_div_scale_f64 v[10:11], null, v[8:9], v[8:9], 1.0
	v_div_scale_f64 v[42:43], vcc_lo, 1.0, v[8:9], 1.0
	v_rcp_f64_e32 v[22:23], v[10:11]
	v_nop
	s_delay_alu instid0(TRANS32_DEP_1) | instskip(NEXT) | instid1(VALU_DEP_1)
	v_fma_f64 v[40:41], -v[10:11], v[22:23], 1.0
	v_fmac_f64_e32 v[22:23], v[22:23], v[40:41]
	s_delay_alu instid0(VALU_DEP_1) | instskip(NEXT) | instid1(VALU_DEP_1)
	v_fma_f64 v[40:41], -v[10:11], v[22:23], 1.0
	v_fmac_f64_e32 v[22:23], v[22:23], v[40:41]
	s_delay_alu instid0(VALU_DEP_1) | instskip(NEXT) | instid1(VALU_DEP_1)
	v_mul_f64_e32 v[40:41], v[42:43], v[22:23]
	v_fma_f64 v[10:11], -v[10:11], v[40:41], v[42:43]
	s_delay_alu instid0(VALU_DEP_1) | instskip(SKIP_1) | instid1(VALU_DEP_2)
	v_div_fmas_f64 v[10:11], v[10:11], v[22:23], v[40:41]
	v_fma_f64 v[22:23], v[20:21], v[26:27], v[24:25]
	v_div_fixup_f64 v[8:9], v[10:11], v[8:9], 1.0
	v_fma_f64 v[10:11], -v[20:21], v[24:25], v[26:27]
	s_delay_alu instid0(VALU_DEP_2) | instskip(NEXT) | instid1(VALU_DEP_2)
	v_mul_f64_e32 v[20:21], v[22:23], v[8:9]
	v_mul_f64_e32 v[22:23], v[10:11], v[8:9]
.LBB233_63:                             ;   in Loop: Header=BB233_48 Depth=2
	s_sub_co_i32 s27, s27, 48
	s_lshl_b32 s26, s26, 4
	v_mov_b32_e32 v8, s27
	s_add_co_i32 s27, s38, s26
	ds_store_b128 v38, v[20:23]
	v_mov_b32_e32 v24, s27
	s_sub_co_i32 s27, s37, s36
	ds_load_b128 v[8:11], v8
	s_add_co_i32 s26, s27, s26
	ds_load_b128 v[24:27], v24
	s_wait_dscnt 0x1
	v_mul_f64_e32 v[40:41], v[14:15], v[10:11]
	v_mul_f64_e32 v[42:43], v[12:13], v[10:11]
	s_wait_dscnt 0x0
	v_mul_f64_e32 v[44:45], v[18:19], v[26:27]
	v_mul_f64_e32 v[26:27], v[16:17], v[26:27]
	s_delay_alu instid0(VALU_DEP_4) | instskip(NEXT) | instid1(VALU_DEP_4)
	v_fma_f64 v[40:41], v[12:13], v[8:9], -v[40:41]
	v_fmac_f64_e32 v[42:43], v[14:15], v[8:9]
	s_delay_alu instid0(VALU_DEP_4) | instskip(NEXT) | instid1(VALU_DEP_4)
	v_dual_fma_f64 v[16:17], v[16:17], v[24:25], -v[44:45] :: v_dual_mov_b32 v8, s26
	v_fmac_f64_e32 v[26:27], v[18:19], v[24:25]
	s_add_co_i32 s26, s37, 0xfffffe30
	ds_load_b128 v[12:15], v8
	v_mov_b32_e32 v8, s26
	ds_load_b128 v[8:11], v8
	s_wait_dscnt 0x1
	v_mul_f64_e32 v[46:47], v[22:23], v[14:15]
	v_mul_f64_e32 v[14:15], v[20:21], v[14:15]
	v_add_f64_e64 v[4:5], v[4:5], -v[40:41]
	v_add_f64_e64 v[6:7], v[6:7], -v[42:43]
	s_wait_dscnt 0x0
	v_cmp_ngt_f64_e64 s26, |v[8:9]|, |v[10:11]|
	v_fma_f64 v[18:19], v[20:21], v[12:13], -v[46:47]
	v_fmac_f64_e32 v[14:15], v[22:23], v[12:13]
	v_add_f64_e64 v[4:5], v[4:5], -v[16:17]
	v_add_f64_e64 v[6:7], v[6:7], -v[26:27]
	s_and_b32 vcc_lo, exec_lo, s26
	s_mov_b32 s26, -1
	s_delay_alu instid0(VALU_DEP_2) | instskip(NEXT) | instid1(VALU_DEP_2)
	v_add_f64_e64 v[12:13], v[4:5], -v[18:19]
	v_add_f64_e64 v[14:15], v[6:7], -v[14:15]
                                        ; implicit-def: $vgpr6_vgpr7
	s_cbranch_vccz .LBB233_65
; %bb.64:                               ;   in Loop: Header=BB233_48 Depth=2
	v_div_scale_f64 v[4:5], null, v[10:11], v[10:11], v[8:9]
	v_div_scale_f64 v[18:19], vcc_lo, v[8:9], v[10:11], v[8:9]
	s_mov_b32 s26, 0
	v_rcp_f64_e32 v[6:7], v[4:5]
	v_nop
	s_delay_alu instid0(TRANS32_DEP_1) | instskip(NEXT) | instid1(VALU_DEP_1)
	v_fma_f64 v[16:17], -v[4:5], v[6:7], 1.0
	v_fmac_f64_e32 v[6:7], v[6:7], v[16:17]
	s_delay_alu instid0(VALU_DEP_1) | instskip(NEXT) | instid1(VALU_DEP_1)
	v_fma_f64 v[16:17], -v[4:5], v[6:7], 1.0
	v_fmac_f64_e32 v[6:7], v[6:7], v[16:17]
	s_delay_alu instid0(VALU_DEP_1) | instskip(NEXT) | instid1(VALU_DEP_1)
	v_mul_f64_e32 v[16:17], v[18:19], v[6:7]
	v_fma_f64 v[4:5], -v[4:5], v[16:17], v[18:19]
	s_delay_alu instid0(VALU_DEP_1) | instskip(NEXT) | instid1(VALU_DEP_1)
	v_div_fmas_f64 v[4:5], v[4:5], v[6:7], v[16:17]
	v_div_fixup_f64 v[4:5], v[4:5], v[10:11], v[8:9]
	s_delay_alu instid0(VALU_DEP_1) | instskip(NEXT) | instid1(VALU_DEP_1)
	v_fma_f64 v[6:7], v[8:9], v[4:5], v[10:11]
	v_div_scale_f64 v[16:17], null, v[6:7], v[6:7], 1.0
	v_div_scale_f64 v[22:23], vcc_lo, 1.0, v[6:7], 1.0
	s_delay_alu instid0(VALU_DEP_2) | instskip(SKIP_1) | instid1(TRANS32_DEP_1)
	v_rcp_f64_e32 v[18:19], v[16:17]
	v_nop
	v_fma_f64 v[20:21], -v[16:17], v[18:19], 1.0
	s_delay_alu instid0(VALU_DEP_1) | instskip(NEXT) | instid1(VALU_DEP_1)
	v_fmac_f64_e32 v[18:19], v[18:19], v[20:21]
	v_fma_f64 v[20:21], -v[16:17], v[18:19], 1.0
	s_delay_alu instid0(VALU_DEP_1) | instskip(NEXT) | instid1(VALU_DEP_1)
	v_fmac_f64_e32 v[18:19], v[18:19], v[20:21]
	v_mul_f64_e32 v[20:21], v[22:23], v[18:19]
	s_delay_alu instid0(VALU_DEP_1) | instskip(NEXT) | instid1(VALU_DEP_1)
	v_fma_f64 v[16:17], -v[16:17], v[20:21], v[22:23]
	v_div_fmas_f64 v[16:17], v[16:17], v[18:19], v[20:21]
	v_fma_f64 v[18:19], v[4:5], v[12:13], v[14:15]
	s_delay_alu instid0(VALU_DEP_2) | instskip(SKIP_1) | instid1(VALU_DEP_2)
	v_div_fixup_f64 v[6:7], v[16:17], v[6:7], 1.0
	v_fma_f64 v[16:17], v[4:5], v[14:15], -v[12:13]
	v_mul_f64_e32 v[4:5], v[18:19], v[6:7]
	s_delay_alu instid0(VALU_DEP_2)
	v_mul_f64_e32 v[6:7], v[16:17], v[6:7]
.LBB233_65:                             ;   in Loop: Header=BB233_48 Depth=2
	s_and_not1_b32 vcc_lo, exec_lo, s26
	s_cbranch_vccnz .LBB233_67
; %bb.66:                               ;   in Loop: Header=BB233_48 Depth=2
	v_div_scale_f64 v[4:5], null, v[8:9], v[8:9], v[10:11]
	v_div_scale_f64 v[18:19], vcc_lo, v[10:11], v[8:9], v[10:11]
	s_delay_alu instid0(VALU_DEP_2) | instskip(SKIP_1) | instid1(TRANS32_DEP_1)
	v_rcp_f64_e32 v[6:7], v[4:5]
	v_nop
	v_fma_f64 v[16:17], -v[4:5], v[6:7], 1.0
	s_delay_alu instid0(VALU_DEP_1) | instskip(NEXT) | instid1(VALU_DEP_1)
	v_fmac_f64_e32 v[6:7], v[6:7], v[16:17]
	v_fma_f64 v[16:17], -v[4:5], v[6:7], 1.0
	s_delay_alu instid0(VALU_DEP_1) | instskip(NEXT) | instid1(VALU_DEP_1)
	v_fmac_f64_e32 v[6:7], v[6:7], v[16:17]
	v_mul_f64_e32 v[16:17], v[18:19], v[6:7]
	s_delay_alu instid0(VALU_DEP_1) | instskip(NEXT) | instid1(VALU_DEP_1)
	v_fma_f64 v[4:5], -v[4:5], v[16:17], v[18:19]
	v_div_fmas_f64 v[4:5], v[4:5], v[6:7], v[16:17]
	s_delay_alu instid0(VALU_DEP_1) | instskip(NEXT) | instid1(VALU_DEP_1)
	v_div_fixup_f64 v[4:5], v[4:5], v[8:9], v[10:11]
	v_fmac_f64_e32 v[8:9], v[10:11], v[4:5]
	s_delay_alu instid0(VALU_DEP_1) | instskip(SKIP_1) | instid1(VALU_DEP_2)
	v_div_scale_f64 v[6:7], null, v[8:9], v[8:9], 1.0
	v_div_scale_f64 v[18:19], vcc_lo, 1.0, v[8:9], 1.0
	v_rcp_f64_e32 v[10:11], v[6:7]
	v_nop
	s_delay_alu instid0(TRANS32_DEP_1) | instskip(NEXT) | instid1(VALU_DEP_1)
	v_fma_f64 v[16:17], -v[6:7], v[10:11], 1.0
	v_fmac_f64_e32 v[10:11], v[10:11], v[16:17]
	s_delay_alu instid0(VALU_DEP_1) | instskip(NEXT) | instid1(VALU_DEP_1)
	v_fma_f64 v[16:17], -v[6:7], v[10:11], 1.0
	v_fmac_f64_e32 v[10:11], v[10:11], v[16:17]
	s_delay_alu instid0(VALU_DEP_1) | instskip(NEXT) | instid1(VALU_DEP_1)
	v_mul_f64_e32 v[16:17], v[18:19], v[10:11]
	v_fma_f64 v[6:7], -v[6:7], v[16:17], v[18:19]
	s_delay_alu instid0(VALU_DEP_1) | instskip(SKIP_1) | instid1(VALU_DEP_2)
	v_div_fmas_f64 v[6:7], v[6:7], v[10:11], v[16:17]
	v_fma_f64 v[10:11], v[4:5], v[14:15], v[12:13]
	v_div_fixup_f64 v[6:7], v[6:7], v[8:9], 1.0
	v_fma_f64 v[8:9], -v[4:5], v[12:13], v[14:15]
	s_delay_alu instid0(VALU_DEP_2) | instskip(NEXT) | instid1(VALU_DEP_2)
	v_mul_f64_e32 v[4:5], v[10:11], v[6:7]
	v_mul_f64_e32 v[6:7], v[8:9], v[6:7]
.LBB233_67:                             ;   in Loop: Header=BB233_48 Depth=2
	s_add_co_i32 s26, s25, -4
	s_sub_co_i32 s24, s24, 64
	s_cmp_lt_i32 s25, 7
	ds_store_b128 v37, v[4:7]
	s_cbranch_scc1 .LBB233_69
; %bb.68:                               ;   in Loop: Header=BB233_48 Depth=2
	s_mov_b32 s25, s26
	s_branch .LBB233_48
.LBB233_69:                             ;   in Loop: Header=BB233_3 Depth=1
	s_cmp_lt_i32 s26, 0
	s_cbranch_scc1 .LBB233_78
; %bb.70:                               ;   in Loop: Header=BB233_3 Depth=1
	s_lshl_b32 s24, s26, 4
	s_delay_alu instid0(SALU_CYCLE_1)
	s_add_co_i32 s24, s19, s24
	s_branch .LBB233_72
.LBB233_71:                             ;   in Loop: Header=BB233_72 Depth=2
	s_add_co_i32 s25, s26, -1
	s_add_co_i32 s24, s24, -16
	s_cmp_lt_i32 s26, 1
	s_mov_b32 s26, s25
	ds_store_b128 v16, v[12:15]
	s_cbranch_scc1 .LBB233_78
.LBB233_72:                             ;   Parent Loop BB233_3 Depth=1
                                        ; =>  This Loop Header: Depth=2
                                        ;       Child Loop BB233_73 Depth 3
	s_mul_i32 s25, s26, 0x1c0
	s_cmp_le_i32 s30, s26
	v_dual_add_nc_u32 v16, s25, v34 :: v_dual_mov_b32 v8, v35
	s_mov_b32 s27, s24
	s_mov_b32 s36, s30
	ds_load_b128 v[4:7], v16
	s_cbranch_scc1 .LBB233_74
.LBB233_73:                             ;   Parent Loop BB233_3 Depth=1
                                        ;     Parent Loop BB233_72 Depth=2
                                        ; =>    This Inner Loop Header: Depth=3
	v_mov_b32_e32 v9, s27
	s_add_co_i32 s36, s36, -1
	s_addk_co_i32 s27, 0xfe40
	s_cmp_le_i32 s36, s26
	ds_load_b128 v[10:13], v8
	ds_load_b128 v[18:21], v9
	v_add_nc_u32_e32 v8, 0xfffffe40, v8
	s_wait_dscnt 0x0
	v_mul_f64_e32 v[14:15], v[20:21], v[12:13]
	v_mul_f64_e32 v[12:13], v[18:19], v[12:13]
	s_delay_alu instid0(VALU_DEP_2) | instskip(NEXT) | instid1(VALU_DEP_2)
	v_fma_f64 v[14:15], v[18:19], v[10:11], -v[14:15]
	v_fmac_f64_e32 v[12:13], v[20:21], v[10:11]
	s_delay_alu instid0(VALU_DEP_2) | instskip(NEXT) | instid1(VALU_DEP_2)
	v_add_f64_e64 v[4:5], v[4:5], -v[14:15]
	v_add_f64_e64 v[6:7], v[6:7], -v[12:13]
	s_cbranch_scc0 .LBB233_73
.LBB233_74:                             ;   in Loop: Header=BB233_72 Depth=2
	s_lshl_b32 s27, s26, 4
                                        ; implicit-def: $vgpr12_vgpr13
	s_delay_alu instid0(SALU_CYCLE_1) | instskip(NEXT) | instid1(SALU_CYCLE_1)
	s_add_co_i32 s25, s27, s25
	v_mov_b32_e32 v8, s25
	ds_load_b128 v[8:11], v8
	s_wait_dscnt 0x0
	v_cmp_ngt_f64_e64 s25, |v[8:9]|, |v[10:11]|
	s_and_b32 vcc_lo, exec_lo, s25
	s_mov_b32 s25, -1
	s_cbranch_vccz .LBB233_76
; %bb.75:                               ;   in Loop: Header=BB233_72 Depth=2
	v_div_scale_f64 v[12:13], null, v[10:11], v[10:11], v[8:9]
	v_div_scale_f64 v[20:21], vcc_lo, v[8:9], v[10:11], v[8:9]
	s_mov_b32 s25, 0
	v_rcp_f64_e32 v[14:15], v[12:13]
	v_nop
	s_delay_alu instid0(TRANS32_DEP_1) | instskip(NEXT) | instid1(VALU_DEP_1)
	v_fma_f64 v[18:19], -v[12:13], v[14:15], 1.0
	v_fmac_f64_e32 v[14:15], v[14:15], v[18:19]
	s_delay_alu instid0(VALU_DEP_1) | instskip(NEXT) | instid1(VALU_DEP_1)
	v_fma_f64 v[18:19], -v[12:13], v[14:15], 1.0
	v_fmac_f64_e32 v[14:15], v[14:15], v[18:19]
	s_delay_alu instid0(VALU_DEP_1) | instskip(NEXT) | instid1(VALU_DEP_1)
	v_mul_f64_e32 v[18:19], v[20:21], v[14:15]
	v_fma_f64 v[12:13], -v[12:13], v[18:19], v[20:21]
	s_delay_alu instid0(VALU_DEP_1) | instskip(NEXT) | instid1(VALU_DEP_1)
	v_div_fmas_f64 v[12:13], v[12:13], v[14:15], v[18:19]
	v_div_fixup_f64 v[12:13], v[12:13], v[10:11], v[8:9]
	s_delay_alu instid0(VALU_DEP_1) | instskip(NEXT) | instid1(VALU_DEP_1)
	v_fma_f64 v[14:15], v[8:9], v[12:13], v[10:11]
	v_div_scale_f64 v[18:19], null, v[14:15], v[14:15], 1.0
	v_div_scale_f64 v[24:25], vcc_lo, 1.0, v[14:15], 1.0
	s_delay_alu instid0(VALU_DEP_2) | instskip(SKIP_1) | instid1(TRANS32_DEP_1)
	v_rcp_f64_e32 v[20:21], v[18:19]
	v_nop
	v_fma_f64 v[22:23], -v[18:19], v[20:21], 1.0
	s_delay_alu instid0(VALU_DEP_1) | instskip(NEXT) | instid1(VALU_DEP_1)
	v_fmac_f64_e32 v[20:21], v[20:21], v[22:23]
	v_fma_f64 v[22:23], -v[18:19], v[20:21], 1.0
	s_delay_alu instid0(VALU_DEP_1) | instskip(NEXT) | instid1(VALU_DEP_1)
	v_fmac_f64_e32 v[20:21], v[20:21], v[22:23]
	v_mul_f64_e32 v[22:23], v[24:25], v[20:21]
	s_delay_alu instid0(VALU_DEP_1) | instskip(NEXT) | instid1(VALU_DEP_1)
	v_fma_f64 v[18:19], -v[18:19], v[22:23], v[24:25]
	v_div_fmas_f64 v[18:19], v[18:19], v[20:21], v[22:23]
	v_fma_f64 v[20:21], v[4:5], v[12:13], v[6:7]
	s_delay_alu instid0(VALU_DEP_2) | instskip(SKIP_1) | instid1(VALU_DEP_2)
	v_div_fixup_f64 v[14:15], v[18:19], v[14:15], 1.0
	v_fma_f64 v[18:19], v[6:7], v[12:13], -v[4:5]
	v_mul_f64_e32 v[12:13], v[20:21], v[14:15]
	s_delay_alu instid0(VALU_DEP_2)
	v_mul_f64_e32 v[14:15], v[18:19], v[14:15]
.LBB233_76:                             ;   in Loop: Header=BB233_72 Depth=2
	s_and_not1_b32 vcc_lo, exec_lo, s25
	s_cbranch_vccnz .LBB233_71
; %bb.77:                               ;   in Loop: Header=BB233_72 Depth=2
	v_div_scale_f64 v[12:13], null, v[8:9], v[8:9], v[10:11]
	v_div_scale_f64 v[20:21], vcc_lo, v[10:11], v[8:9], v[10:11]
	s_delay_alu instid0(VALU_DEP_2) | instskip(SKIP_1) | instid1(TRANS32_DEP_1)
	v_rcp_f64_e32 v[14:15], v[12:13]
	v_nop
	v_fma_f64 v[18:19], -v[12:13], v[14:15], 1.0
	s_delay_alu instid0(VALU_DEP_1) | instskip(NEXT) | instid1(VALU_DEP_1)
	v_fmac_f64_e32 v[14:15], v[14:15], v[18:19]
	v_fma_f64 v[18:19], -v[12:13], v[14:15], 1.0
	s_delay_alu instid0(VALU_DEP_1) | instskip(NEXT) | instid1(VALU_DEP_1)
	v_fmac_f64_e32 v[14:15], v[14:15], v[18:19]
	v_mul_f64_e32 v[18:19], v[20:21], v[14:15]
	s_delay_alu instid0(VALU_DEP_1) | instskip(NEXT) | instid1(VALU_DEP_1)
	v_fma_f64 v[12:13], -v[12:13], v[18:19], v[20:21]
	v_div_fmas_f64 v[12:13], v[12:13], v[14:15], v[18:19]
	s_delay_alu instid0(VALU_DEP_1) | instskip(NEXT) | instid1(VALU_DEP_1)
	v_div_fixup_f64 v[12:13], v[12:13], v[8:9], v[10:11]
	v_fmac_f64_e32 v[8:9], v[10:11], v[12:13]
	s_delay_alu instid0(VALU_DEP_1) | instskip(SKIP_1) | instid1(VALU_DEP_2)
	v_div_scale_f64 v[10:11], null, v[8:9], v[8:9], 1.0
	v_div_scale_f64 v[20:21], vcc_lo, 1.0, v[8:9], 1.0
	v_rcp_f64_e32 v[14:15], v[10:11]
	v_nop
	s_delay_alu instid0(TRANS32_DEP_1) | instskip(NEXT) | instid1(VALU_DEP_1)
	v_fma_f64 v[18:19], -v[10:11], v[14:15], 1.0
	v_fmac_f64_e32 v[14:15], v[14:15], v[18:19]
	s_delay_alu instid0(VALU_DEP_1) | instskip(NEXT) | instid1(VALU_DEP_1)
	v_fma_f64 v[18:19], -v[10:11], v[14:15], 1.0
	v_fmac_f64_e32 v[14:15], v[14:15], v[18:19]
	s_delay_alu instid0(VALU_DEP_1) | instskip(NEXT) | instid1(VALU_DEP_1)
	v_mul_f64_e32 v[18:19], v[20:21], v[14:15]
	v_fma_f64 v[10:11], -v[10:11], v[18:19], v[20:21]
	s_delay_alu instid0(VALU_DEP_1) | instskip(SKIP_2) | instid1(VALU_DEP_3)
	v_div_fmas_f64 v[10:11], v[10:11], v[14:15], v[18:19]
	v_fma_f64 v[14:15], v[6:7], v[12:13], v[4:5]
	v_fma_f64 v[4:5], -v[4:5], v[12:13], v[6:7]
	v_div_fixup_f64 v[8:9], v[10:11], v[8:9], 1.0
	s_delay_alu instid0(VALU_DEP_1) | instskip(NEXT) | instid1(VALU_DEP_3)
	v_mul_f64_e32 v[12:13], v[14:15], v[8:9]
	v_mul_f64_e32 v[14:15], v[4:5], v[8:9]
	s_branch .LBB233_71
.LBB233_78:                             ;   in Loop: Header=BB233_3 Depth=1
	s_mov_b32 s24, 0
.LBB233_79:                             ;   in Loop: Header=BB233_3 Depth=1
	s_delay_alu instid0(SALU_CYCLE_1)
	s_and_not1_b32 vcc_lo, exec_lo, s24
	s_cbranch_vccnz .LBB233_110
; %bb.80:                               ;   in Loop: Header=BB233_3 Depth=1
	s_mov_b32 s26, s30
	s_and_not1_b32 vcc_lo, exec_lo, s34
	s_mov_b32 s24, s20
	s_mov_b32 s25, s30
	s_cbranch_vccnz .LBB233_101
.LBB233_81:                             ;   Parent Loop BB233_3 Depth=1
                                        ; =>  This Loop Header: Depth=2
                                        ;       Child Loop BB233_82 Depth 3
	s_mul_i32 s26, s25, 28
	s_cmp_le_i32 s30, s25
	v_lshl_add_u32 v40, s26, 4, v34
	s_mov_b32 s27, s24
	s_mov_b32 s36, s30
	s_delay_alu instid0(VALU_DEP_1)
	v_dual_mov_b32 v12, v35 :: v_dual_add_nc_u32 v39, 0xfffffe40, v40
	v_add_nc_u32_e32 v38, 0xfffffc80, v40
	v_add_nc_u32_e32 v37, 0xfffffac0, v40
	ds_load_b128 v[20:23], v40
	ds_load_b128 v[16:19], v39
	;; [unrolled: 1-line block ×4, first 2 shown]
	s_cbranch_scc1 .LBB233_83
.LBB233_82:                             ;   Parent Loop BB233_3 Depth=1
                                        ;     Parent Loop BB233_81 Depth=2
                                        ; =>    This Inner Loop Header: Depth=3
	v_mov_b32_e32 v13, s27
	s_add_co_i32 s36, s36, -1
	s_add_co_i32 s27, s27, -16
	s_cmp_le_i32 s36, s25
	ds_load_b128 v[24:27], v12
	ds_load_b128 v[42:45], v13 offset:1344
	ds_load_b128 v[46:49], v13 offset:896
	;; [unrolled: 1-line block ×3, first 2 shown]
	ds_load_b128 v[54:57], v13
	v_add_nc_u32_e32 v12, 0xfffffe40, v12
	s_wait_dscnt 0x3
	v_mul_f64_e32 v[14:15], v[26:27], v[44:45]
	v_mul_f64_e32 v[44:45], v[24:25], v[44:45]
	s_wait_dscnt 0x2
	v_mul_f64_e32 v[58:59], v[26:27], v[48:49]
	v_mul_f64_e32 v[48:49], v[24:25], v[48:49]
	;; [unrolled: 3-line block ×4, first 2 shown]
	v_fma_f64 v[14:15], v[24:25], v[42:43], -v[14:15]
	v_fmac_f64_e32 v[44:45], v[26:27], v[42:43]
	v_fma_f64 v[42:43], v[24:25], v[46:47], -v[58:59]
	v_fmac_f64_e32 v[48:49], v[26:27], v[46:47]
	;; [unrolled: 2-line block ×4, first 2 shown]
	v_add_f64_e64 v[20:21], v[20:21], -v[14:15]
	v_add_f64_e64 v[22:23], v[22:23], -v[44:45]
	;; [unrolled: 1-line block ×8, first 2 shown]
	s_cbranch_scc0 .LBB233_82
.LBB233_83:                             ;   in Loop: Header=BB233_81 Depth=2
	s_mul_i32 s27, s25, 0x1d0
	s_delay_alu instid0(SALU_CYCLE_1)
	v_mov_b32_e32 v12, s27
	ds_load_b128 v[24:27], v12
                                        ; implicit-def: $vgpr14_vgpr15
	s_wait_dscnt 0x0
	v_cmp_ngt_f64_e64 s27, |v[24:25]|, |v[26:27]|
	s_and_b32 vcc_lo, exec_lo, s27
	s_mov_b32 s27, -1
	s_cbranch_vccz .LBB233_85
; %bb.84:                               ;   in Loop: Header=BB233_81 Depth=2
	v_div_scale_f64 v[12:13], null, v[26:27], v[26:27], v[24:25]
	v_div_scale_f64 v[44:45], vcc_lo, v[24:25], v[26:27], v[24:25]
	s_mov_b32 s27, 0
	v_rcp_f64_e32 v[14:15], v[12:13]
	v_nop
	s_delay_alu instid0(TRANS32_DEP_1) | instskip(NEXT) | instid1(VALU_DEP_1)
	v_fma_f64 v[42:43], -v[12:13], v[14:15], 1.0
	v_fmac_f64_e32 v[14:15], v[14:15], v[42:43]
	s_delay_alu instid0(VALU_DEP_1) | instskip(NEXT) | instid1(VALU_DEP_1)
	v_fma_f64 v[42:43], -v[12:13], v[14:15], 1.0
	v_fmac_f64_e32 v[14:15], v[14:15], v[42:43]
	s_delay_alu instid0(VALU_DEP_1) | instskip(NEXT) | instid1(VALU_DEP_1)
	v_mul_f64_e32 v[42:43], v[44:45], v[14:15]
	v_fma_f64 v[12:13], -v[12:13], v[42:43], v[44:45]
	s_delay_alu instid0(VALU_DEP_1) | instskip(NEXT) | instid1(VALU_DEP_1)
	v_div_fmas_f64 v[12:13], v[12:13], v[14:15], v[42:43]
	v_div_fixup_f64 v[12:13], v[12:13], v[26:27], v[24:25]
	s_delay_alu instid0(VALU_DEP_1) | instskip(NEXT) | instid1(VALU_DEP_1)
	v_fma_f64 v[14:15], v[24:25], v[12:13], v[26:27]
	v_div_scale_f64 v[42:43], null, v[14:15], v[14:15], 1.0
	v_div_scale_f64 v[48:49], vcc_lo, 1.0, v[14:15], 1.0
	s_delay_alu instid0(VALU_DEP_2) | instskip(SKIP_1) | instid1(TRANS32_DEP_1)
	v_rcp_f64_e32 v[44:45], v[42:43]
	v_nop
	v_fma_f64 v[46:47], -v[42:43], v[44:45], 1.0
	s_delay_alu instid0(VALU_DEP_1) | instskip(NEXT) | instid1(VALU_DEP_1)
	v_fmac_f64_e32 v[44:45], v[44:45], v[46:47]
	v_fma_f64 v[46:47], -v[42:43], v[44:45], 1.0
	s_delay_alu instid0(VALU_DEP_1) | instskip(NEXT) | instid1(VALU_DEP_1)
	v_fmac_f64_e32 v[44:45], v[44:45], v[46:47]
	v_mul_f64_e32 v[46:47], v[48:49], v[44:45]
	s_delay_alu instid0(VALU_DEP_1) | instskip(NEXT) | instid1(VALU_DEP_1)
	v_fma_f64 v[42:43], -v[42:43], v[46:47], v[48:49]
	v_div_fmas_f64 v[42:43], v[42:43], v[44:45], v[46:47]
	v_fma_f64 v[44:45], v[20:21], v[12:13], v[22:23]
	s_delay_alu instid0(VALU_DEP_2) | instskip(SKIP_1) | instid1(VALU_DEP_2)
	v_div_fixup_f64 v[14:15], v[42:43], v[14:15], 1.0
	v_fma_f64 v[42:43], v[22:23], v[12:13], -v[20:21]
	v_mul_f64_e32 v[12:13], v[44:45], v[14:15]
	s_delay_alu instid0(VALU_DEP_2)
	v_mul_f64_e32 v[14:15], v[42:43], v[14:15]
.LBB233_85:                             ;   in Loop: Header=BB233_81 Depth=2
	s_and_not1_b32 vcc_lo, exec_lo, s27
	s_cbranch_vccnz .LBB233_87
; %bb.86:                               ;   in Loop: Header=BB233_81 Depth=2
	v_div_scale_f64 v[12:13], null, v[24:25], v[24:25], v[26:27]
	v_div_scale_f64 v[44:45], vcc_lo, v[26:27], v[24:25], v[26:27]
	s_delay_alu instid0(VALU_DEP_2) | instskip(SKIP_1) | instid1(TRANS32_DEP_1)
	v_rcp_f64_e32 v[14:15], v[12:13]
	v_nop
	v_fma_f64 v[42:43], -v[12:13], v[14:15], 1.0
	s_delay_alu instid0(VALU_DEP_1) | instskip(NEXT) | instid1(VALU_DEP_1)
	v_fmac_f64_e32 v[14:15], v[14:15], v[42:43]
	v_fma_f64 v[42:43], -v[12:13], v[14:15], 1.0
	s_delay_alu instid0(VALU_DEP_1) | instskip(NEXT) | instid1(VALU_DEP_1)
	v_fmac_f64_e32 v[14:15], v[14:15], v[42:43]
	v_mul_f64_e32 v[42:43], v[44:45], v[14:15]
	s_delay_alu instid0(VALU_DEP_1) | instskip(NEXT) | instid1(VALU_DEP_1)
	v_fma_f64 v[12:13], -v[12:13], v[42:43], v[44:45]
	v_div_fmas_f64 v[12:13], v[12:13], v[14:15], v[42:43]
	s_delay_alu instid0(VALU_DEP_1) | instskip(NEXT) | instid1(VALU_DEP_1)
	v_div_fixup_f64 v[12:13], v[12:13], v[24:25], v[26:27]
	v_fmac_f64_e32 v[24:25], v[26:27], v[12:13]
	s_delay_alu instid0(VALU_DEP_1) | instskip(SKIP_1) | instid1(VALU_DEP_2)
	v_div_scale_f64 v[14:15], null, v[24:25], v[24:25], 1.0
	v_div_scale_f64 v[44:45], vcc_lo, 1.0, v[24:25], 1.0
	v_rcp_f64_e32 v[26:27], v[14:15]
	v_nop
	s_delay_alu instid0(TRANS32_DEP_1) | instskip(NEXT) | instid1(VALU_DEP_1)
	v_fma_f64 v[42:43], -v[14:15], v[26:27], 1.0
	v_fmac_f64_e32 v[26:27], v[26:27], v[42:43]
	s_delay_alu instid0(VALU_DEP_1) | instskip(NEXT) | instid1(VALU_DEP_1)
	v_fma_f64 v[42:43], -v[14:15], v[26:27], 1.0
	v_fmac_f64_e32 v[26:27], v[26:27], v[42:43]
	s_delay_alu instid0(VALU_DEP_1) | instskip(NEXT) | instid1(VALU_DEP_1)
	v_mul_f64_e32 v[42:43], v[44:45], v[26:27]
	v_fma_f64 v[14:15], -v[14:15], v[42:43], v[44:45]
	s_delay_alu instid0(VALU_DEP_1) | instskip(SKIP_2) | instid1(VALU_DEP_3)
	v_div_fmas_f64 v[14:15], v[14:15], v[26:27], v[42:43]
	v_fma_f64 v[26:27], v[22:23], v[12:13], v[20:21]
	v_fma_f64 v[20:21], -v[20:21], v[12:13], v[22:23]
	v_div_fixup_f64 v[14:15], v[14:15], v[24:25], 1.0
	s_delay_alu instid0(VALU_DEP_1) | instskip(NEXT) | instid1(VALU_DEP_3)
	v_mul_f64_e32 v[12:13], v[26:27], v[14:15]
	v_mul_f64_e32 v[14:15], v[20:21], v[14:15]
.LBB233_87:                             ;   in Loop: Header=BB233_81 Depth=2
	s_lshl_b32 s27, s26, 4
	s_lshl_b32 s26, s25, 4
	s_addk_co_i32 s27, 0xfe40
	ds_store_b128 v40, v[12:15]
	s_add_co_i32 s36, s27, s26
	s_delay_alu instid0(SALU_CYCLE_1)
	v_mov_b32_e32 v20, s36
	s_add_co_i32 s36, s36, -16
	ds_load_b128 v[24:27], v20
	s_wait_dscnt 0x0
	v_dual_mul_f64 v[42:43], v[14:15], v[26:27] :: v_dual_mov_b32 v20, s36
	v_mul_f64_e32 v[26:27], v[12:13], v[26:27]
	ds_load_b128 v[20:23], v20
	s_wait_dscnt 0x0
	v_cmp_ngt_f64_e64 s36, |v[20:21]|, |v[22:23]|
	v_fma_f64 v[42:43], v[12:13], v[24:25], -v[42:43]
	v_fmac_f64_e32 v[26:27], v[14:15], v[24:25]
	s_and_b32 vcc_lo, exec_lo, s36
	s_mov_b32 s36, -1
	s_delay_alu instid0(VALU_DEP_2) | instskip(NEXT) | instid1(VALU_DEP_2)
	v_add_f64_e64 v[24:25], v[16:17], -v[42:43]
	v_add_f64_e64 v[26:27], v[18:19], -v[26:27]
                                        ; implicit-def: $vgpr18_vgpr19
	s_cbranch_vccz .LBB233_89
; %bb.88:                               ;   in Loop: Header=BB233_81 Depth=2
	v_div_scale_f64 v[16:17], null, v[22:23], v[22:23], v[20:21]
	v_div_scale_f64 v[42:43], vcc_lo, v[20:21], v[22:23], v[20:21]
	s_mov_b32 s36, 0
	v_rcp_f64_e32 v[18:19], v[16:17]
	v_nop
	s_delay_alu instid0(TRANS32_DEP_1) | instskip(NEXT) | instid1(VALU_DEP_1)
	v_fma_f64 v[40:41], -v[16:17], v[18:19], 1.0
	v_fmac_f64_e32 v[18:19], v[18:19], v[40:41]
	s_delay_alu instid0(VALU_DEP_1) | instskip(NEXT) | instid1(VALU_DEP_1)
	v_fma_f64 v[40:41], -v[16:17], v[18:19], 1.0
	v_fmac_f64_e32 v[18:19], v[18:19], v[40:41]
	s_delay_alu instid0(VALU_DEP_1) | instskip(NEXT) | instid1(VALU_DEP_1)
	v_mul_f64_e32 v[40:41], v[42:43], v[18:19]
	v_fma_f64 v[16:17], -v[16:17], v[40:41], v[42:43]
	s_delay_alu instid0(VALU_DEP_1) | instskip(NEXT) | instid1(VALU_DEP_1)
	v_div_fmas_f64 v[16:17], v[16:17], v[18:19], v[40:41]
	v_div_fixup_f64 v[16:17], v[16:17], v[22:23], v[20:21]
	s_delay_alu instid0(VALU_DEP_1) | instskip(NEXT) | instid1(VALU_DEP_1)
	v_fma_f64 v[18:19], v[20:21], v[16:17], v[22:23]
	v_div_scale_f64 v[40:41], null, v[18:19], v[18:19], 1.0
	v_div_scale_f64 v[46:47], vcc_lo, 1.0, v[18:19], 1.0
	s_delay_alu instid0(VALU_DEP_2) | instskip(SKIP_1) | instid1(TRANS32_DEP_1)
	v_rcp_f64_e32 v[42:43], v[40:41]
	v_nop
	v_fma_f64 v[44:45], -v[40:41], v[42:43], 1.0
	s_delay_alu instid0(VALU_DEP_1) | instskip(NEXT) | instid1(VALU_DEP_1)
	v_fmac_f64_e32 v[42:43], v[42:43], v[44:45]
	v_fma_f64 v[44:45], -v[40:41], v[42:43], 1.0
	s_delay_alu instid0(VALU_DEP_1) | instskip(NEXT) | instid1(VALU_DEP_1)
	v_fmac_f64_e32 v[42:43], v[42:43], v[44:45]
	v_mul_f64_e32 v[44:45], v[46:47], v[42:43]
	s_delay_alu instid0(VALU_DEP_1) | instskip(NEXT) | instid1(VALU_DEP_1)
	v_fma_f64 v[40:41], -v[40:41], v[44:45], v[46:47]
	v_div_fmas_f64 v[40:41], v[40:41], v[42:43], v[44:45]
	v_fma_f64 v[42:43], v[16:17], v[24:25], v[26:27]
	s_delay_alu instid0(VALU_DEP_2) | instskip(SKIP_1) | instid1(VALU_DEP_2)
	v_div_fixup_f64 v[18:19], v[40:41], v[18:19], 1.0
	v_fma_f64 v[40:41], v[16:17], v[26:27], -v[24:25]
	v_mul_f64_e32 v[16:17], v[42:43], v[18:19]
	s_delay_alu instid0(VALU_DEP_2)
	v_mul_f64_e32 v[18:19], v[40:41], v[18:19]
.LBB233_89:                             ;   in Loop: Header=BB233_81 Depth=2
	s_and_not1_b32 vcc_lo, exec_lo, s36
	s_cbranch_vccnz .LBB233_91
; %bb.90:                               ;   in Loop: Header=BB233_81 Depth=2
	v_div_scale_f64 v[16:17], null, v[20:21], v[20:21], v[22:23]
	v_div_scale_f64 v[42:43], vcc_lo, v[22:23], v[20:21], v[22:23]
	s_delay_alu instid0(VALU_DEP_2) | instskip(SKIP_1) | instid1(TRANS32_DEP_1)
	v_rcp_f64_e32 v[18:19], v[16:17]
	v_nop
	v_fma_f64 v[40:41], -v[16:17], v[18:19], 1.0
	s_delay_alu instid0(VALU_DEP_1) | instskip(NEXT) | instid1(VALU_DEP_1)
	v_fmac_f64_e32 v[18:19], v[18:19], v[40:41]
	v_fma_f64 v[40:41], -v[16:17], v[18:19], 1.0
	s_delay_alu instid0(VALU_DEP_1) | instskip(NEXT) | instid1(VALU_DEP_1)
	v_fmac_f64_e32 v[18:19], v[18:19], v[40:41]
	v_mul_f64_e32 v[40:41], v[42:43], v[18:19]
	s_delay_alu instid0(VALU_DEP_1) | instskip(NEXT) | instid1(VALU_DEP_1)
	v_fma_f64 v[16:17], -v[16:17], v[40:41], v[42:43]
	v_div_fmas_f64 v[16:17], v[16:17], v[18:19], v[40:41]
	s_delay_alu instid0(VALU_DEP_1) | instskip(NEXT) | instid1(VALU_DEP_1)
	v_div_fixup_f64 v[16:17], v[16:17], v[20:21], v[22:23]
	v_fmac_f64_e32 v[20:21], v[22:23], v[16:17]
	s_delay_alu instid0(VALU_DEP_1) | instskip(SKIP_1) | instid1(VALU_DEP_2)
	v_div_scale_f64 v[18:19], null, v[20:21], v[20:21], 1.0
	v_div_scale_f64 v[42:43], vcc_lo, 1.0, v[20:21], 1.0
	v_rcp_f64_e32 v[22:23], v[18:19]
	v_nop
	s_delay_alu instid0(TRANS32_DEP_1) | instskip(NEXT) | instid1(VALU_DEP_1)
	v_fma_f64 v[40:41], -v[18:19], v[22:23], 1.0
	v_fmac_f64_e32 v[22:23], v[22:23], v[40:41]
	s_delay_alu instid0(VALU_DEP_1) | instskip(NEXT) | instid1(VALU_DEP_1)
	v_fma_f64 v[40:41], -v[18:19], v[22:23], 1.0
	v_fmac_f64_e32 v[22:23], v[22:23], v[40:41]
	s_delay_alu instid0(VALU_DEP_1) | instskip(NEXT) | instid1(VALU_DEP_1)
	v_mul_f64_e32 v[40:41], v[42:43], v[22:23]
	v_fma_f64 v[18:19], -v[18:19], v[40:41], v[42:43]
	s_delay_alu instid0(VALU_DEP_1) | instskip(SKIP_1) | instid1(VALU_DEP_2)
	v_div_fmas_f64 v[18:19], v[18:19], v[22:23], v[40:41]
	v_fma_f64 v[22:23], v[16:17], v[26:27], v[24:25]
	v_div_fixup_f64 v[18:19], v[18:19], v[20:21], 1.0
	v_fma_f64 v[20:21], -v[16:17], v[24:25], v[26:27]
	s_delay_alu instid0(VALU_DEP_2) | instskip(NEXT) | instid1(VALU_DEP_2)
	v_mul_f64_e32 v[16:17], v[22:23], v[18:19]
	v_mul_f64_e32 v[18:19], v[20:21], v[18:19]
.LBB233_91:                             ;   in Loop: Header=BB233_81 Depth=2
	s_addk_co_i32 s27, 0xfe40
	ds_store_b128 v39, v[16:19]
	s_add_co_i32 s26, s27, s26
	s_delay_alu instid0(SALU_CYCLE_1) | instskip(NEXT) | instid1(SALU_CYCLE_1)
	s_add_co_i32 s27, s26, -16
	v_dual_mov_b32 v20, s26 :: v_dual_mov_b32 v24, s27
	s_sub_co_i32 s27, s26, 32
	ds_load_b128 v[20:23], v20
	ds_load_b128 v[24:27], v24
	s_wait_dscnt 0x1
	v_mul_f64_e32 v[40:41], v[14:15], v[22:23]
	v_mul_f64_e32 v[22:23], v[12:13], v[22:23]
	s_wait_dscnt 0x0
	v_mul_f64_e32 v[42:43], v[18:19], v[26:27]
	v_mul_f64_e32 v[26:27], v[16:17], v[26:27]
	s_delay_alu instid0(VALU_DEP_4) | instskip(NEXT) | instid1(VALU_DEP_4)
	v_fma_f64 v[40:41], v[12:13], v[20:21], -v[40:41]
	v_fmac_f64_e32 v[22:23], v[14:15], v[20:21]
	s_delay_alu instid0(VALU_DEP_4) | instskip(NEXT) | instid1(VALU_DEP_4)
	v_fma_f64 v[20:21], v[16:17], v[24:25], -v[42:43]
	v_fmac_f64_e32 v[26:27], v[18:19], v[24:25]
	s_delay_alu instid0(VALU_DEP_4) | instskip(NEXT) | instid1(VALU_DEP_4)
	v_add_f64_e64 v[24:25], v[8:9], -v[40:41]
	v_dual_add_f64 v[22:23], v[10:11], -v[22:23] :: v_dual_mov_b32 v8, s27
	ds_load_b128 v[8:11], v8
	s_wait_dscnt 0x0
	v_cmp_ngt_f64_e64 s27, |v[8:9]|, |v[10:11]|
	v_add_f64_e64 v[24:25], v[24:25], -v[20:21]
	v_add_f64_e64 v[26:27], v[22:23], -v[26:27]
                                        ; implicit-def: $vgpr22_vgpr23
	s_and_b32 vcc_lo, exec_lo, s27
	s_mov_b32 s27, -1
	s_cbranch_vccz .LBB233_93
; %bb.92:                               ;   in Loop: Header=BB233_81 Depth=2
	v_div_scale_f64 v[20:21], null, v[10:11], v[10:11], v[8:9]
	v_div_scale_f64 v[42:43], vcc_lo, v[8:9], v[10:11], v[8:9]
	s_mov_b32 s27, 0
	v_rcp_f64_e32 v[22:23], v[20:21]
	v_nop
	s_delay_alu instid0(TRANS32_DEP_1) | instskip(NEXT) | instid1(VALU_DEP_1)
	v_fma_f64 v[40:41], -v[20:21], v[22:23], 1.0
	v_fmac_f64_e32 v[22:23], v[22:23], v[40:41]
	s_delay_alu instid0(VALU_DEP_1) | instskip(NEXT) | instid1(VALU_DEP_1)
	v_fma_f64 v[40:41], -v[20:21], v[22:23], 1.0
	v_fmac_f64_e32 v[22:23], v[22:23], v[40:41]
	s_delay_alu instid0(VALU_DEP_1) | instskip(NEXT) | instid1(VALU_DEP_1)
	v_mul_f64_e32 v[40:41], v[42:43], v[22:23]
	v_fma_f64 v[20:21], -v[20:21], v[40:41], v[42:43]
	s_delay_alu instid0(VALU_DEP_1) | instskip(NEXT) | instid1(VALU_DEP_1)
	v_div_fmas_f64 v[20:21], v[20:21], v[22:23], v[40:41]
	v_div_fixup_f64 v[20:21], v[20:21], v[10:11], v[8:9]
	s_delay_alu instid0(VALU_DEP_1) | instskip(NEXT) | instid1(VALU_DEP_1)
	v_fma_f64 v[22:23], v[8:9], v[20:21], v[10:11]
	v_div_scale_f64 v[40:41], null, v[22:23], v[22:23], 1.0
	v_div_scale_f64 v[46:47], vcc_lo, 1.0, v[22:23], 1.0
	s_delay_alu instid0(VALU_DEP_2) | instskip(SKIP_1) | instid1(TRANS32_DEP_1)
	v_rcp_f64_e32 v[42:43], v[40:41]
	v_nop
	v_fma_f64 v[44:45], -v[40:41], v[42:43], 1.0
	s_delay_alu instid0(VALU_DEP_1) | instskip(NEXT) | instid1(VALU_DEP_1)
	v_fmac_f64_e32 v[42:43], v[42:43], v[44:45]
	v_fma_f64 v[44:45], -v[40:41], v[42:43], 1.0
	s_delay_alu instid0(VALU_DEP_1) | instskip(NEXT) | instid1(VALU_DEP_1)
	v_fmac_f64_e32 v[42:43], v[42:43], v[44:45]
	v_mul_f64_e32 v[44:45], v[46:47], v[42:43]
	s_delay_alu instid0(VALU_DEP_1) | instskip(NEXT) | instid1(VALU_DEP_1)
	v_fma_f64 v[40:41], -v[40:41], v[44:45], v[46:47]
	v_div_fmas_f64 v[40:41], v[40:41], v[42:43], v[44:45]
	v_fma_f64 v[42:43], v[20:21], v[24:25], v[26:27]
	s_delay_alu instid0(VALU_DEP_2) | instskip(SKIP_1) | instid1(VALU_DEP_2)
	v_div_fixup_f64 v[22:23], v[40:41], v[22:23], 1.0
	v_fma_f64 v[40:41], v[20:21], v[26:27], -v[24:25]
	v_mul_f64_e32 v[20:21], v[42:43], v[22:23]
	s_delay_alu instid0(VALU_DEP_2)
	v_mul_f64_e32 v[22:23], v[40:41], v[22:23]
.LBB233_93:                             ;   in Loop: Header=BB233_81 Depth=2
	s_and_not1_b32 vcc_lo, exec_lo, s27
	s_cbranch_vccnz .LBB233_95
; %bb.94:                               ;   in Loop: Header=BB233_81 Depth=2
	v_div_scale_f64 v[20:21], null, v[8:9], v[8:9], v[10:11]
	v_div_scale_f64 v[42:43], vcc_lo, v[10:11], v[8:9], v[10:11]
	s_delay_alu instid0(VALU_DEP_2) | instskip(SKIP_1) | instid1(TRANS32_DEP_1)
	v_rcp_f64_e32 v[22:23], v[20:21]
	v_nop
	v_fma_f64 v[40:41], -v[20:21], v[22:23], 1.0
	s_delay_alu instid0(VALU_DEP_1) | instskip(NEXT) | instid1(VALU_DEP_1)
	v_fmac_f64_e32 v[22:23], v[22:23], v[40:41]
	v_fma_f64 v[40:41], -v[20:21], v[22:23], 1.0
	s_delay_alu instid0(VALU_DEP_1) | instskip(NEXT) | instid1(VALU_DEP_1)
	v_fmac_f64_e32 v[22:23], v[22:23], v[40:41]
	v_mul_f64_e32 v[40:41], v[42:43], v[22:23]
	s_delay_alu instid0(VALU_DEP_1) | instskip(NEXT) | instid1(VALU_DEP_1)
	v_fma_f64 v[20:21], -v[20:21], v[40:41], v[42:43]
	v_div_fmas_f64 v[20:21], v[20:21], v[22:23], v[40:41]
	s_delay_alu instid0(VALU_DEP_1) | instskip(NEXT) | instid1(VALU_DEP_1)
	v_div_fixup_f64 v[20:21], v[20:21], v[8:9], v[10:11]
	v_fmac_f64_e32 v[8:9], v[10:11], v[20:21]
	s_delay_alu instid0(VALU_DEP_1) | instskip(SKIP_1) | instid1(VALU_DEP_2)
	v_div_scale_f64 v[10:11], null, v[8:9], v[8:9], 1.0
	v_div_scale_f64 v[42:43], vcc_lo, 1.0, v[8:9], 1.0
	v_rcp_f64_e32 v[22:23], v[10:11]
	v_nop
	s_delay_alu instid0(TRANS32_DEP_1) | instskip(NEXT) | instid1(VALU_DEP_1)
	v_fma_f64 v[40:41], -v[10:11], v[22:23], 1.0
	v_fmac_f64_e32 v[22:23], v[22:23], v[40:41]
	s_delay_alu instid0(VALU_DEP_1) | instskip(NEXT) | instid1(VALU_DEP_1)
	v_fma_f64 v[40:41], -v[10:11], v[22:23], 1.0
	v_fmac_f64_e32 v[22:23], v[22:23], v[40:41]
	s_delay_alu instid0(VALU_DEP_1) | instskip(NEXT) | instid1(VALU_DEP_1)
	v_mul_f64_e32 v[40:41], v[42:43], v[22:23]
	v_fma_f64 v[10:11], -v[10:11], v[40:41], v[42:43]
	s_delay_alu instid0(VALU_DEP_1) | instskip(SKIP_1) | instid1(VALU_DEP_2)
	v_div_fmas_f64 v[10:11], v[10:11], v[22:23], v[40:41]
	v_fma_f64 v[22:23], v[20:21], v[26:27], v[24:25]
	v_div_fixup_f64 v[8:9], v[10:11], v[8:9], 1.0
	v_fma_f64 v[10:11], -v[20:21], v[24:25], v[26:27]
	s_delay_alu instid0(VALU_DEP_2) | instskip(NEXT) | instid1(VALU_DEP_2)
	v_mul_f64_e32 v[20:21], v[22:23], v[8:9]
	v_mul_f64_e32 v[22:23], v[10:11], v[8:9]
.LBB233_95:                             ;   in Loop: Header=BB233_81 Depth=2
	s_add_co_i32 s27, s26, 0xfffffe40
	ds_store_b128 v38, v[20:23]
	v_mov_b32_e32 v8, s27
	s_add_co_i32 s27, s26, 0xfffffe30
	s_delay_alu instid0(SALU_CYCLE_1)
	v_mov_b32_e32 v24, s27
	s_add_co_i32 s27, s26, 0xfffffe20
	ds_load_b128 v[8:11], v8
	s_addk_co_i32 s26, 0xfe10
	ds_load_b128 v[24:27], v24
	s_wait_dscnt 0x1
	v_mul_f64_e32 v[40:41], v[14:15], v[10:11]
	v_mul_f64_e32 v[42:43], v[12:13], v[10:11]
	s_wait_dscnt 0x0
	v_mul_f64_e32 v[44:45], v[18:19], v[26:27]
	v_mul_f64_e32 v[26:27], v[16:17], v[26:27]
	s_delay_alu instid0(VALU_DEP_4) | instskip(NEXT) | instid1(VALU_DEP_4)
	v_fma_f64 v[40:41], v[12:13], v[8:9], -v[40:41]
	v_fmac_f64_e32 v[42:43], v[14:15], v[8:9]
	s_delay_alu instid0(VALU_DEP_4) | instskip(NEXT) | instid1(VALU_DEP_4)
	v_dual_fma_f64 v[16:17], v[16:17], v[24:25], -v[44:45] :: v_dual_mov_b32 v8, s27
	v_fmac_f64_e32 v[26:27], v[18:19], v[24:25]
	ds_load_b128 v[12:15], v8
	v_mov_b32_e32 v8, s26
	ds_load_b128 v[8:11], v8
	s_wait_dscnt 0x1
	v_mul_f64_e32 v[46:47], v[22:23], v[14:15]
	v_mul_f64_e32 v[14:15], v[20:21], v[14:15]
	v_add_f64_e64 v[4:5], v[4:5], -v[40:41]
	v_add_f64_e64 v[6:7], v[6:7], -v[42:43]
	s_wait_dscnt 0x0
	v_cmp_ngt_f64_e64 s26, |v[8:9]|, |v[10:11]|
	v_fma_f64 v[18:19], v[20:21], v[12:13], -v[46:47]
	v_fmac_f64_e32 v[14:15], v[22:23], v[12:13]
	v_add_f64_e64 v[4:5], v[4:5], -v[16:17]
	v_add_f64_e64 v[6:7], v[6:7], -v[26:27]
	s_and_b32 vcc_lo, exec_lo, s26
	s_mov_b32 s26, -1
	s_delay_alu instid0(VALU_DEP_2) | instskip(NEXT) | instid1(VALU_DEP_2)
	v_add_f64_e64 v[12:13], v[4:5], -v[18:19]
	v_add_f64_e64 v[14:15], v[6:7], -v[14:15]
                                        ; implicit-def: $vgpr6_vgpr7
	s_cbranch_vccz .LBB233_97
; %bb.96:                               ;   in Loop: Header=BB233_81 Depth=2
	v_div_scale_f64 v[4:5], null, v[10:11], v[10:11], v[8:9]
	v_div_scale_f64 v[18:19], vcc_lo, v[8:9], v[10:11], v[8:9]
	s_mov_b32 s26, 0
	v_rcp_f64_e32 v[6:7], v[4:5]
	v_nop
	s_delay_alu instid0(TRANS32_DEP_1) | instskip(NEXT) | instid1(VALU_DEP_1)
	v_fma_f64 v[16:17], -v[4:5], v[6:7], 1.0
	v_fmac_f64_e32 v[6:7], v[6:7], v[16:17]
	s_delay_alu instid0(VALU_DEP_1) | instskip(NEXT) | instid1(VALU_DEP_1)
	v_fma_f64 v[16:17], -v[4:5], v[6:7], 1.0
	v_fmac_f64_e32 v[6:7], v[6:7], v[16:17]
	s_delay_alu instid0(VALU_DEP_1) | instskip(NEXT) | instid1(VALU_DEP_1)
	v_mul_f64_e32 v[16:17], v[18:19], v[6:7]
	v_fma_f64 v[4:5], -v[4:5], v[16:17], v[18:19]
	s_delay_alu instid0(VALU_DEP_1) | instskip(NEXT) | instid1(VALU_DEP_1)
	v_div_fmas_f64 v[4:5], v[4:5], v[6:7], v[16:17]
	v_div_fixup_f64 v[4:5], v[4:5], v[10:11], v[8:9]
	s_delay_alu instid0(VALU_DEP_1) | instskip(NEXT) | instid1(VALU_DEP_1)
	v_fma_f64 v[6:7], v[8:9], v[4:5], v[10:11]
	v_div_scale_f64 v[16:17], null, v[6:7], v[6:7], 1.0
	v_div_scale_f64 v[22:23], vcc_lo, 1.0, v[6:7], 1.0
	s_delay_alu instid0(VALU_DEP_2) | instskip(SKIP_1) | instid1(TRANS32_DEP_1)
	v_rcp_f64_e32 v[18:19], v[16:17]
	v_nop
	v_fma_f64 v[20:21], -v[16:17], v[18:19], 1.0
	s_delay_alu instid0(VALU_DEP_1) | instskip(NEXT) | instid1(VALU_DEP_1)
	v_fmac_f64_e32 v[18:19], v[18:19], v[20:21]
	v_fma_f64 v[20:21], -v[16:17], v[18:19], 1.0
	s_delay_alu instid0(VALU_DEP_1) | instskip(NEXT) | instid1(VALU_DEP_1)
	v_fmac_f64_e32 v[18:19], v[18:19], v[20:21]
	v_mul_f64_e32 v[20:21], v[22:23], v[18:19]
	s_delay_alu instid0(VALU_DEP_1) | instskip(NEXT) | instid1(VALU_DEP_1)
	v_fma_f64 v[16:17], -v[16:17], v[20:21], v[22:23]
	v_div_fmas_f64 v[16:17], v[16:17], v[18:19], v[20:21]
	v_fma_f64 v[18:19], v[4:5], v[12:13], v[14:15]
	s_delay_alu instid0(VALU_DEP_2) | instskip(SKIP_1) | instid1(VALU_DEP_2)
	v_div_fixup_f64 v[6:7], v[16:17], v[6:7], 1.0
	v_fma_f64 v[16:17], v[4:5], v[14:15], -v[12:13]
	v_mul_f64_e32 v[4:5], v[18:19], v[6:7]
	s_delay_alu instid0(VALU_DEP_2)
	v_mul_f64_e32 v[6:7], v[16:17], v[6:7]
.LBB233_97:                             ;   in Loop: Header=BB233_81 Depth=2
	s_and_not1_b32 vcc_lo, exec_lo, s26
	s_cbranch_vccnz .LBB233_99
; %bb.98:                               ;   in Loop: Header=BB233_81 Depth=2
	v_div_scale_f64 v[4:5], null, v[8:9], v[8:9], v[10:11]
	v_div_scale_f64 v[18:19], vcc_lo, v[10:11], v[8:9], v[10:11]
	s_delay_alu instid0(VALU_DEP_2) | instskip(SKIP_1) | instid1(TRANS32_DEP_1)
	v_rcp_f64_e32 v[6:7], v[4:5]
	v_nop
	v_fma_f64 v[16:17], -v[4:5], v[6:7], 1.0
	s_delay_alu instid0(VALU_DEP_1) | instskip(NEXT) | instid1(VALU_DEP_1)
	v_fmac_f64_e32 v[6:7], v[6:7], v[16:17]
	v_fma_f64 v[16:17], -v[4:5], v[6:7], 1.0
	s_delay_alu instid0(VALU_DEP_1) | instskip(NEXT) | instid1(VALU_DEP_1)
	v_fmac_f64_e32 v[6:7], v[6:7], v[16:17]
	v_mul_f64_e32 v[16:17], v[18:19], v[6:7]
	s_delay_alu instid0(VALU_DEP_1) | instskip(NEXT) | instid1(VALU_DEP_1)
	v_fma_f64 v[4:5], -v[4:5], v[16:17], v[18:19]
	v_div_fmas_f64 v[4:5], v[4:5], v[6:7], v[16:17]
	s_delay_alu instid0(VALU_DEP_1) | instskip(NEXT) | instid1(VALU_DEP_1)
	v_div_fixup_f64 v[4:5], v[4:5], v[8:9], v[10:11]
	v_fmac_f64_e32 v[8:9], v[10:11], v[4:5]
	s_delay_alu instid0(VALU_DEP_1) | instskip(SKIP_1) | instid1(VALU_DEP_2)
	v_div_scale_f64 v[6:7], null, v[8:9], v[8:9], 1.0
	v_div_scale_f64 v[18:19], vcc_lo, 1.0, v[8:9], 1.0
	v_rcp_f64_e32 v[10:11], v[6:7]
	v_nop
	s_delay_alu instid0(TRANS32_DEP_1) | instskip(NEXT) | instid1(VALU_DEP_1)
	v_fma_f64 v[16:17], -v[6:7], v[10:11], 1.0
	v_fmac_f64_e32 v[10:11], v[10:11], v[16:17]
	s_delay_alu instid0(VALU_DEP_1) | instskip(NEXT) | instid1(VALU_DEP_1)
	v_fma_f64 v[16:17], -v[6:7], v[10:11], 1.0
	v_fmac_f64_e32 v[10:11], v[10:11], v[16:17]
	s_delay_alu instid0(VALU_DEP_1) | instskip(NEXT) | instid1(VALU_DEP_1)
	v_mul_f64_e32 v[16:17], v[18:19], v[10:11]
	v_fma_f64 v[6:7], -v[6:7], v[16:17], v[18:19]
	s_delay_alu instid0(VALU_DEP_1) | instskip(SKIP_1) | instid1(VALU_DEP_2)
	v_div_fmas_f64 v[6:7], v[6:7], v[10:11], v[16:17]
	v_fma_f64 v[10:11], v[4:5], v[14:15], v[12:13]
	v_div_fixup_f64 v[6:7], v[6:7], v[8:9], 1.0
	v_fma_f64 v[8:9], -v[4:5], v[12:13], v[14:15]
	s_delay_alu instid0(VALU_DEP_2) | instskip(NEXT) | instid1(VALU_DEP_2)
	v_mul_f64_e32 v[4:5], v[10:11], v[6:7]
	v_mul_f64_e32 v[6:7], v[8:9], v[6:7]
.LBB233_99:                             ;   in Loop: Header=BB233_81 Depth=2
	s_add_co_i32 s26, s25, -4
	s_addk_co_i32 s24, 0xf900
	s_cmp_lt_i32 s25, 7
	ds_store_b128 v37, v[4:7]
	s_cbranch_scc1 .LBB233_101
; %bb.100:                              ;   in Loop: Header=BB233_81 Depth=2
	s_mov_b32 s25, s26
	s_branch .LBB233_81
.LBB233_101:                            ;   in Loop: Header=BB233_3 Depth=1
	s_cmp_lt_i32 s26, 0
	s_cbranch_scc1 .LBB233_110
; %bb.102:                              ;   in Loop: Header=BB233_3 Depth=1
	s_mul_i32 s24, s26, 0x1c0
	s_delay_alu instid0(SALU_CYCLE_1)
	s_add_co_i32 s24, s21, s24
	s_branch .LBB233_104
.LBB233_103:                            ;   in Loop: Header=BB233_104 Depth=2
	v_sub_co_u32 v4, s25, s26, 1
	s_and_b32 vcc_lo, exec_lo, s25
	s_addk_co_i32 s24, 0xfe40
	ds_store_b128 v16, v[12:15]
	v_readfirstlane_b32 s26, v4
	s_cbranch_vccnz .LBB233_110
.LBB233_104:                            ;   Parent Loop BB233_3 Depth=1
                                        ; =>  This Loop Header: Depth=2
                                        ;       Child Loop BB233_105 Depth 3
	v_mad_u32 v16, 0x1c0, s26, v34
	v_mov_b32_e32 v8, v35
	s_cmp_le_i32 s30, s26
	s_mov_b32 s25, s24
	s_mov_b32 s27, s30
	ds_load_b128 v[4:7], v16
	s_cbranch_scc1 .LBB233_106
.LBB233_105:                            ;   Parent Loop BB233_3 Depth=1
                                        ;     Parent Loop BB233_104 Depth=2
                                        ; =>    This Inner Loop Header: Depth=3
	v_mov_b32_e32 v9, s25
	s_add_co_i32 s27, s27, -1
	s_add_co_i32 s25, s25, -16
	s_cmp_le_u32 s27, s26
	ds_load_b128 v[10:13], v8
	ds_load_b128 v[18:21], v9
	v_add_nc_u32_e32 v8, 0xfffffe40, v8
	s_wait_dscnt 0x0
	v_mul_f64_e32 v[14:15], v[20:21], v[12:13]
	v_mul_f64_e32 v[12:13], v[18:19], v[12:13]
	s_delay_alu instid0(VALU_DEP_2) | instskip(NEXT) | instid1(VALU_DEP_2)
	v_fma_f64 v[14:15], v[18:19], v[10:11], -v[14:15]
	v_fmac_f64_e32 v[12:13], v[20:21], v[10:11]
	s_delay_alu instid0(VALU_DEP_2) | instskip(NEXT) | instid1(VALU_DEP_2)
	v_add_f64_e64 v[4:5], v[4:5], -v[14:15]
	v_add_f64_e64 v[6:7], v[6:7], -v[12:13]
	s_cbranch_scc0 .LBB233_105
.LBB233_106:                            ;   in Loop: Header=BB233_104 Depth=2
	s_mul_i32 s25, s26, 0x1d0
                                        ; implicit-def: $vgpr12_vgpr13
	s_delay_alu instid0(SALU_CYCLE_1)
	v_mov_b32_e32 v8, s25
	ds_load_b128 v[8:11], v8
	s_wait_dscnt 0x0
	v_cmp_ngt_f64_e64 s25, |v[8:9]|, |v[10:11]|
	s_and_b32 vcc_lo, exec_lo, s25
	s_mov_b32 s25, -1
	s_cbranch_vccz .LBB233_108
; %bb.107:                              ;   in Loop: Header=BB233_104 Depth=2
	v_div_scale_f64 v[12:13], null, v[10:11], v[10:11], v[8:9]
	v_div_scale_f64 v[20:21], vcc_lo, v[8:9], v[10:11], v[8:9]
	s_mov_b32 s25, 0
	v_rcp_f64_e32 v[14:15], v[12:13]
	v_nop
	s_delay_alu instid0(TRANS32_DEP_1) | instskip(NEXT) | instid1(VALU_DEP_1)
	v_fma_f64 v[18:19], -v[12:13], v[14:15], 1.0
	v_fmac_f64_e32 v[14:15], v[14:15], v[18:19]
	s_delay_alu instid0(VALU_DEP_1) | instskip(NEXT) | instid1(VALU_DEP_1)
	v_fma_f64 v[18:19], -v[12:13], v[14:15], 1.0
	v_fmac_f64_e32 v[14:15], v[14:15], v[18:19]
	s_delay_alu instid0(VALU_DEP_1) | instskip(NEXT) | instid1(VALU_DEP_1)
	v_mul_f64_e32 v[18:19], v[20:21], v[14:15]
	v_fma_f64 v[12:13], -v[12:13], v[18:19], v[20:21]
	s_delay_alu instid0(VALU_DEP_1) | instskip(NEXT) | instid1(VALU_DEP_1)
	v_div_fmas_f64 v[12:13], v[12:13], v[14:15], v[18:19]
	v_div_fixup_f64 v[12:13], v[12:13], v[10:11], v[8:9]
	s_delay_alu instid0(VALU_DEP_1) | instskip(NEXT) | instid1(VALU_DEP_1)
	v_fma_f64 v[14:15], v[8:9], v[12:13], v[10:11]
	v_div_scale_f64 v[18:19], null, v[14:15], v[14:15], 1.0
	v_div_scale_f64 v[24:25], vcc_lo, 1.0, v[14:15], 1.0
	s_delay_alu instid0(VALU_DEP_2) | instskip(SKIP_1) | instid1(TRANS32_DEP_1)
	v_rcp_f64_e32 v[20:21], v[18:19]
	v_nop
	v_fma_f64 v[22:23], -v[18:19], v[20:21], 1.0
	s_delay_alu instid0(VALU_DEP_1) | instskip(NEXT) | instid1(VALU_DEP_1)
	v_fmac_f64_e32 v[20:21], v[20:21], v[22:23]
	v_fma_f64 v[22:23], -v[18:19], v[20:21], 1.0
	s_delay_alu instid0(VALU_DEP_1) | instskip(NEXT) | instid1(VALU_DEP_1)
	v_fmac_f64_e32 v[20:21], v[20:21], v[22:23]
	v_mul_f64_e32 v[22:23], v[24:25], v[20:21]
	s_delay_alu instid0(VALU_DEP_1) | instskip(NEXT) | instid1(VALU_DEP_1)
	v_fma_f64 v[18:19], -v[18:19], v[22:23], v[24:25]
	v_div_fmas_f64 v[18:19], v[18:19], v[20:21], v[22:23]
	v_fma_f64 v[20:21], v[4:5], v[12:13], v[6:7]
	s_delay_alu instid0(VALU_DEP_2) | instskip(SKIP_1) | instid1(VALU_DEP_2)
	v_div_fixup_f64 v[14:15], v[18:19], v[14:15], 1.0
	v_fma_f64 v[18:19], v[6:7], v[12:13], -v[4:5]
	v_mul_f64_e32 v[12:13], v[20:21], v[14:15]
	s_delay_alu instid0(VALU_DEP_2)
	v_mul_f64_e32 v[14:15], v[18:19], v[14:15]
.LBB233_108:                            ;   in Loop: Header=BB233_104 Depth=2
	s_and_not1_b32 vcc_lo, exec_lo, s25
	s_cbranch_vccnz .LBB233_103
; %bb.109:                              ;   in Loop: Header=BB233_104 Depth=2
	v_div_scale_f64 v[12:13], null, v[8:9], v[8:9], v[10:11]
	v_div_scale_f64 v[20:21], vcc_lo, v[10:11], v[8:9], v[10:11]
	s_delay_alu instid0(VALU_DEP_2) | instskip(SKIP_1) | instid1(TRANS32_DEP_1)
	v_rcp_f64_e32 v[14:15], v[12:13]
	v_nop
	v_fma_f64 v[18:19], -v[12:13], v[14:15], 1.0
	s_delay_alu instid0(VALU_DEP_1) | instskip(NEXT) | instid1(VALU_DEP_1)
	v_fmac_f64_e32 v[14:15], v[14:15], v[18:19]
	v_fma_f64 v[18:19], -v[12:13], v[14:15], 1.0
	s_delay_alu instid0(VALU_DEP_1) | instskip(NEXT) | instid1(VALU_DEP_1)
	v_fmac_f64_e32 v[14:15], v[14:15], v[18:19]
	v_mul_f64_e32 v[18:19], v[20:21], v[14:15]
	s_delay_alu instid0(VALU_DEP_1) | instskip(NEXT) | instid1(VALU_DEP_1)
	v_fma_f64 v[12:13], -v[12:13], v[18:19], v[20:21]
	v_div_fmas_f64 v[12:13], v[12:13], v[14:15], v[18:19]
	s_delay_alu instid0(VALU_DEP_1) | instskip(NEXT) | instid1(VALU_DEP_1)
	v_div_fixup_f64 v[12:13], v[12:13], v[8:9], v[10:11]
	v_fmac_f64_e32 v[8:9], v[10:11], v[12:13]
	s_delay_alu instid0(VALU_DEP_1) | instskip(SKIP_1) | instid1(VALU_DEP_2)
	v_div_scale_f64 v[10:11], null, v[8:9], v[8:9], 1.0
	v_div_scale_f64 v[20:21], vcc_lo, 1.0, v[8:9], 1.0
	v_rcp_f64_e32 v[14:15], v[10:11]
	v_nop
	s_delay_alu instid0(TRANS32_DEP_1) | instskip(NEXT) | instid1(VALU_DEP_1)
	v_fma_f64 v[18:19], -v[10:11], v[14:15], 1.0
	v_fmac_f64_e32 v[14:15], v[14:15], v[18:19]
	s_delay_alu instid0(VALU_DEP_1) | instskip(NEXT) | instid1(VALU_DEP_1)
	v_fma_f64 v[18:19], -v[10:11], v[14:15], 1.0
	v_fmac_f64_e32 v[14:15], v[14:15], v[18:19]
	s_delay_alu instid0(VALU_DEP_1) | instskip(NEXT) | instid1(VALU_DEP_1)
	v_mul_f64_e32 v[18:19], v[20:21], v[14:15]
	v_fma_f64 v[10:11], -v[10:11], v[18:19], v[20:21]
	s_delay_alu instid0(VALU_DEP_1) | instskip(SKIP_2) | instid1(VALU_DEP_3)
	v_div_fmas_f64 v[10:11], v[10:11], v[14:15], v[18:19]
	v_fma_f64 v[14:15], v[6:7], v[12:13], v[4:5]
	v_fma_f64 v[4:5], -v[4:5], v[12:13], v[6:7]
	v_div_fixup_f64 v[8:9], v[10:11], v[8:9], 1.0
	s_delay_alu instid0(VALU_DEP_1) | instskip(NEXT) | instid1(VALU_DEP_3)
	v_mul_f64_e32 v[12:13], v[14:15], v[8:9]
	v_mul_f64_e32 v[14:15], v[4:5], v[8:9]
	s_branch .LBB233_103
.LBB233_110:                            ;   in Loop: Header=BB233_3 Depth=1
	s_mov_b32 s24, 0
.LBB233_111:                            ;   in Loop: Header=BB233_3 Depth=1
	s_delay_alu instid0(SALU_CYCLE_1)
	s_and_not1_b32 vcc_lo, exec_lo, s24
	s_cbranch_vccnz .LBB233_143
; %bb.112:                              ;   in Loop: Header=BB233_3 Depth=1
	s_and_not1_b32 vcc_lo, exec_lo, s34
	s_mov_b32 s26, 0
	s_cbranch_vccnz .LBB233_134
; %bb.113:                              ;   in Loop: Header=BB233_3 Depth=1
	s_mov_b32 s24, 0
	s_mov_b32 s25, 0
.LBB233_114:                            ;   Parent Loop BB233_3 Depth=1
                                        ; =>  This Loop Header: Depth=2
                                        ;       Child Loop BB233_115 Depth 3
	s_delay_alu instid0(SALU_CYCLE_1)
	s_mul_i32 s26, s25, 28
	v_mov_b32_e32 v12, v34
	v_lshl_add_u32 v37, s26, 4, v34
	s_cmp_eq_u32 s25, 0
	s_mov_b32 s27, s24
	s_mov_b32 s36, s25
	ds_load_b128 v[20:23], v37
	ds_load_b128 v[16:19], v37 offset:448
	ds_load_b128 v[8:11], v37 offset:896
	;; [unrolled: 1-line block ×3, first 2 shown]
	s_cbranch_scc1 .LBB233_116
.LBB233_115:                            ;   Parent Loop BB233_3 Depth=1
                                        ;     Parent Loop BB233_114 Depth=2
                                        ; =>    This Inner Loop Header: Depth=3
	v_mov_b32_e32 v13, s27
	s_add_co_i32 s36, s36, -1
	s_add_co_i32 s27, s27, 16
	s_cmp_eq_u32 s36, 0
	ds_load_b128 v[24:27], v12
	ds_load_b128 v[38:41], v13
	ds_load_b128 v[42:45], v13 offset:448
	ds_load_b128 v[46:49], v13 offset:896
	;; [unrolled: 1-line block ×3, first 2 shown]
	v_add_nc_u32_e32 v12, 0x1c0, v12
	s_wait_dscnt 0x3
	v_mul_f64_e32 v[14:15], v[26:27], v[40:41]
	v_mul_f64_e32 v[40:41], v[24:25], v[40:41]
	s_wait_dscnt 0x2
	v_mul_f64_e32 v[54:55], v[26:27], v[44:45]
	v_mul_f64_e32 v[44:45], v[24:25], v[44:45]
	;; [unrolled: 3-line block ×4, first 2 shown]
	v_fma_f64 v[14:15], v[24:25], v[38:39], -v[14:15]
	v_fmac_f64_e32 v[40:41], v[26:27], v[38:39]
	v_fma_f64 v[38:39], v[24:25], v[42:43], -v[54:55]
	v_fmac_f64_e32 v[44:45], v[26:27], v[42:43]
	;; [unrolled: 2-line block ×4, first 2 shown]
	v_add_f64_e64 v[20:21], v[20:21], -v[14:15]
	v_add_f64_e64 v[22:23], v[22:23], -v[40:41]
	;; [unrolled: 1-line block ×8, first 2 shown]
	s_cbranch_scc0 .LBB233_115
.LBB233_116:                            ;   in Loop: Header=BB233_114 Depth=2
	s_mul_i32 s27, s25, 0x1d0
	s_delay_alu instid0(SALU_CYCLE_1)
	v_mov_b32_e32 v12, s27
	ds_load_b128 v[24:27], v12
                                        ; implicit-def: $vgpr14_vgpr15
	s_wait_dscnt 0x0
	v_cmp_ngt_f64_e64 s27, |v[24:25]|, |v[26:27]|
	s_and_b32 vcc_lo, exec_lo, s27
	s_mov_b32 s27, -1
	s_cbranch_vccz .LBB233_118
; %bb.117:                              ;   in Loop: Header=BB233_114 Depth=2
	v_div_scale_f64 v[12:13], null, v[26:27], v[26:27], v[24:25]
	v_div_scale_f64 v[40:41], vcc_lo, v[24:25], v[26:27], v[24:25]
	s_mov_b32 s27, 0
	v_rcp_f64_e32 v[14:15], v[12:13]
	v_nop
	s_delay_alu instid0(TRANS32_DEP_1) | instskip(NEXT) | instid1(VALU_DEP_1)
	v_fma_f64 v[38:39], -v[12:13], v[14:15], 1.0
	v_fmac_f64_e32 v[14:15], v[14:15], v[38:39]
	s_delay_alu instid0(VALU_DEP_1) | instskip(NEXT) | instid1(VALU_DEP_1)
	v_fma_f64 v[38:39], -v[12:13], v[14:15], 1.0
	v_fmac_f64_e32 v[14:15], v[14:15], v[38:39]
	s_delay_alu instid0(VALU_DEP_1) | instskip(NEXT) | instid1(VALU_DEP_1)
	v_mul_f64_e32 v[38:39], v[40:41], v[14:15]
	v_fma_f64 v[12:13], -v[12:13], v[38:39], v[40:41]
	s_delay_alu instid0(VALU_DEP_1) | instskip(NEXT) | instid1(VALU_DEP_1)
	v_div_fmas_f64 v[12:13], v[12:13], v[14:15], v[38:39]
	v_div_fixup_f64 v[12:13], v[12:13], v[26:27], v[24:25]
	s_delay_alu instid0(VALU_DEP_1) | instskip(NEXT) | instid1(VALU_DEP_1)
	v_fma_f64 v[14:15], v[24:25], v[12:13], v[26:27]
	v_div_scale_f64 v[38:39], null, v[14:15], v[14:15], 1.0
	v_div_scale_f64 v[44:45], vcc_lo, 1.0, v[14:15], 1.0
	s_delay_alu instid0(VALU_DEP_2) | instskip(SKIP_1) | instid1(TRANS32_DEP_1)
	v_rcp_f64_e32 v[40:41], v[38:39]
	v_nop
	v_fma_f64 v[42:43], -v[38:39], v[40:41], 1.0
	s_delay_alu instid0(VALU_DEP_1) | instskip(NEXT) | instid1(VALU_DEP_1)
	v_fmac_f64_e32 v[40:41], v[40:41], v[42:43]
	v_fma_f64 v[42:43], -v[38:39], v[40:41], 1.0
	s_delay_alu instid0(VALU_DEP_1) | instskip(NEXT) | instid1(VALU_DEP_1)
	v_fmac_f64_e32 v[40:41], v[40:41], v[42:43]
	v_mul_f64_e32 v[42:43], v[44:45], v[40:41]
	s_delay_alu instid0(VALU_DEP_1) | instskip(NEXT) | instid1(VALU_DEP_1)
	v_fma_f64 v[38:39], -v[38:39], v[42:43], v[44:45]
	v_div_fmas_f64 v[38:39], v[38:39], v[40:41], v[42:43]
	v_fma_f64 v[40:41], v[20:21], v[12:13], v[22:23]
	s_delay_alu instid0(VALU_DEP_2) | instskip(SKIP_1) | instid1(VALU_DEP_2)
	v_div_fixup_f64 v[14:15], v[38:39], v[14:15], 1.0
	v_fma_f64 v[38:39], v[22:23], v[12:13], -v[20:21]
	v_mul_f64_e32 v[12:13], v[40:41], v[14:15]
	s_delay_alu instid0(VALU_DEP_2)
	v_mul_f64_e32 v[14:15], v[38:39], v[14:15]
.LBB233_118:                            ;   in Loop: Header=BB233_114 Depth=2
	s_and_not1_b32 vcc_lo, exec_lo, s27
	s_cbranch_vccnz .LBB233_120
; %bb.119:                              ;   in Loop: Header=BB233_114 Depth=2
	v_div_scale_f64 v[12:13], null, v[24:25], v[24:25], v[26:27]
	v_div_scale_f64 v[40:41], vcc_lo, v[26:27], v[24:25], v[26:27]
	s_delay_alu instid0(VALU_DEP_2) | instskip(SKIP_1) | instid1(TRANS32_DEP_1)
	v_rcp_f64_e32 v[14:15], v[12:13]
	v_nop
	v_fma_f64 v[38:39], -v[12:13], v[14:15], 1.0
	s_delay_alu instid0(VALU_DEP_1) | instskip(NEXT) | instid1(VALU_DEP_1)
	v_fmac_f64_e32 v[14:15], v[14:15], v[38:39]
	v_fma_f64 v[38:39], -v[12:13], v[14:15], 1.0
	s_delay_alu instid0(VALU_DEP_1) | instskip(NEXT) | instid1(VALU_DEP_1)
	v_fmac_f64_e32 v[14:15], v[14:15], v[38:39]
	v_mul_f64_e32 v[38:39], v[40:41], v[14:15]
	s_delay_alu instid0(VALU_DEP_1) | instskip(NEXT) | instid1(VALU_DEP_1)
	v_fma_f64 v[12:13], -v[12:13], v[38:39], v[40:41]
	v_div_fmas_f64 v[12:13], v[12:13], v[14:15], v[38:39]
	s_delay_alu instid0(VALU_DEP_1) | instskip(NEXT) | instid1(VALU_DEP_1)
	v_div_fixup_f64 v[12:13], v[12:13], v[24:25], v[26:27]
	v_fmac_f64_e32 v[24:25], v[26:27], v[12:13]
	s_delay_alu instid0(VALU_DEP_1) | instskip(SKIP_1) | instid1(VALU_DEP_2)
	v_div_scale_f64 v[14:15], null, v[24:25], v[24:25], 1.0
	v_div_scale_f64 v[40:41], vcc_lo, 1.0, v[24:25], 1.0
	v_rcp_f64_e32 v[26:27], v[14:15]
	v_nop
	s_delay_alu instid0(TRANS32_DEP_1) | instskip(NEXT) | instid1(VALU_DEP_1)
	v_fma_f64 v[38:39], -v[14:15], v[26:27], 1.0
	v_fmac_f64_e32 v[26:27], v[26:27], v[38:39]
	s_delay_alu instid0(VALU_DEP_1) | instskip(NEXT) | instid1(VALU_DEP_1)
	v_fma_f64 v[38:39], -v[14:15], v[26:27], 1.0
	v_fmac_f64_e32 v[26:27], v[26:27], v[38:39]
	s_delay_alu instid0(VALU_DEP_1) | instskip(NEXT) | instid1(VALU_DEP_1)
	v_mul_f64_e32 v[38:39], v[40:41], v[26:27]
	v_fma_f64 v[14:15], -v[14:15], v[38:39], v[40:41]
	s_delay_alu instid0(VALU_DEP_1) | instskip(SKIP_2) | instid1(VALU_DEP_3)
	v_div_fmas_f64 v[14:15], v[14:15], v[26:27], v[38:39]
	v_fma_f64 v[26:27], v[22:23], v[12:13], v[20:21]
	v_fma_f64 v[20:21], -v[20:21], v[12:13], v[22:23]
	v_div_fixup_f64 v[14:15], v[14:15], v[24:25], 1.0
	s_delay_alu instid0(VALU_DEP_1) | instskip(NEXT) | instid1(VALU_DEP_3)
	v_mul_f64_e32 v[12:13], v[26:27], v[14:15]
	v_mul_f64_e32 v[14:15], v[20:21], v[14:15]
.LBB233_120:                            ;   in Loop: Header=BB233_114 Depth=2
	s_lshl_b32 s27, s26, 4
	s_lshl_b32 s26, s25, 4
	s_addk_co_i32 s27, 0x1c0
	s_delay_alu instid0(SALU_CYCLE_1) | instskip(NEXT) | instid1(SALU_CYCLE_1)
	s_add_co_i32 s36, s27, s26
	v_mov_b32_e32 v20, s36
	ds_load_b128 v[24:27], v20
	ds_load_b128 v[20:23], v20 offset:16
	ds_store_b128 v37, v[12:15]
	s_wait_dscnt 0x2
	v_mul_f64_e32 v[38:39], v[14:15], v[26:27]
	v_mul_f64_e32 v[26:27], v[12:13], v[26:27]
	s_wait_dscnt 0x1
	v_cmp_ngt_f64_e64 s36, |v[20:21]|, |v[22:23]|
	s_delay_alu instid0(VALU_DEP_3) | instskip(NEXT) | instid1(VALU_DEP_3)
	v_fma_f64 v[38:39], v[12:13], v[24:25], -v[38:39]
	v_fmac_f64_e32 v[26:27], v[14:15], v[24:25]
	s_and_b32 vcc_lo, exec_lo, s36
	s_mov_b32 s36, -1
	s_delay_alu instid0(VALU_DEP_2) | instskip(NEXT) | instid1(VALU_DEP_2)
	v_add_f64_e64 v[24:25], v[16:17], -v[38:39]
	v_add_f64_e64 v[26:27], v[18:19], -v[26:27]
                                        ; implicit-def: $vgpr18_vgpr19
	s_cbranch_vccz .LBB233_122
; %bb.121:                              ;   in Loop: Header=BB233_114 Depth=2
	v_div_scale_f64 v[16:17], null, v[22:23], v[22:23], v[20:21]
	v_div_scale_f64 v[40:41], vcc_lo, v[20:21], v[22:23], v[20:21]
	s_mov_b32 s36, 0
	v_rcp_f64_e32 v[18:19], v[16:17]
	v_nop
	s_delay_alu instid0(TRANS32_DEP_1) | instskip(NEXT) | instid1(VALU_DEP_1)
	v_fma_f64 v[38:39], -v[16:17], v[18:19], 1.0
	v_fmac_f64_e32 v[18:19], v[18:19], v[38:39]
	s_delay_alu instid0(VALU_DEP_1) | instskip(NEXT) | instid1(VALU_DEP_1)
	v_fma_f64 v[38:39], -v[16:17], v[18:19], 1.0
	v_fmac_f64_e32 v[18:19], v[18:19], v[38:39]
	s_delay_alu instid0(VALU_DEP_1) | instskip(NEXT) | instid1(VALU_DEP_1)
	v_mul_f64_e32 v[38:39], v[40:41], v[18:19]
	v_fma_f64 v[16:17], -v[16:17], v[38:39], v[40:41]
	s_delay_alu instid0(VALU_DEP_1) | instskip(NEXT) | instid1(VALU_DEP_1)
	v_div_fmas_f64 v[16:17], v[16:17], v[18:19], v[38:39]
	v_div_fixup_f64 v[16:17], v[16:17], v[22:23], v[20:21]
	s_delay_alu instid0(VALU_DEP_1) | instskip(NEXT) | instid1(VALU_DEP_1)
	v_fma_f64 v[18:19], v[20:21], v[16:17], v[22:23]
	v_div_scale_f64 v[38:39], null, v[18:19], v[18:19], 1.0
	v_div_scale_f64 v[44:45], vcc_lo, 1.0, v[18:19], 1.0
	s_delay_alu instid0(VALU_DEP_2) | instskip(SKIP_1) | instid1(TRANS32_DEP_1)
	v_rcp_f64_e32 v[40:41], v[38:39]
	v_nop
	v_fma_f64 v[42:43], -v[38:39], v[40:41], 1.0
	s_delay_alu instid0(VALU_DEP_1) | instskip(NEXT) | instid1(VALU_DEP_1)
	v_fmac_f64_e32 v[40:41], v[40:41], v[42:43]
	v_fma_f64 v[42:43], -v[38:39], v[40:41], 1.0
	s_delay_alu instid0(VALU_DEP_1) | instskip(NEXT) | instid1(VALU_DEP_1)
	v_fmac_f64_e32 v[40:41], v[40:41], v[42:43]
	v_mul_f64_e32 v[42:43], v[44:45], v[40:41]
	s_delay_alu instid0(VALU_DEP_1) | instskip(NEXT) | instid1(VALU_DEP_1)
	v_fma_f64 v[38:39], -v[38:39], v[42:43], v[44:45]
	v_div_fmas_f64 v[38:39], v[38:39], v[40:41], v[42:43]
	v_fma_f64 v[40:41], v[16:17], v[24:25], v[26:27]
	s_delay_alu instid0(VALU_DEP_2) | instskip(SKIP_1) | instid1(VALU_DEP_2)
	v_div_fixup_f64 v[18:19], v[38:39], v[18:19], 1.0
	v_fma_f64 v[38:39], v[16:17], v[26:27], -v[24:25]
	v_mul_f64_e32 v[16:17], v[40:41], v[18:19]
	s_delay_alu instid0(VALU_DEP_2)
	v_mul_f64_e32 v[18:19], v[38:39], v[18:19]
.LBB233_122:                            ;   in Loop: Header=BB233_114 Depth=2
	s_and_not1_b32 vcc_lo, exec_lo, s36
	s_cbranch_vccnz .LBB233_124
; %bb.123:                              ;   in Loop: Header=BB233_114 Depth=2
	v_div_scale_f64 v[16:17], null, v[20:21], v[20:21], v[22:23]
	v_div_scale_f64 v[40:41], vcc_lo, v[22:23], v[20:21], v[22:23]
	s_delay_alu instid0(VALU_DEP_2) | instskip(SKIP_1) | instid1(TRANS32_DEP_1)
	v_rcp_f64_e32 v[18:19], v[16:17]
	v_nop
	v_fma_f64 v[38:39], -v[16:17], v[18:19], 1.0
	s_delay_alu instid0(VALU_DEP_1) | instskip(NEXT) | instid1(VALU_DEP_1)
	v_fmac_f64_e32 v[18:19], v[18:19], v[38:39]
	v_fma_f64 v[38:39], -v[16:17], v[18:19], 1.0
	s_delay_alu instid0(VALU_DEP_1) | instskip(NEXT) | instid1(VALU_DEP_1)
	v_fmac_f64_e32 v[18:19], v[18:19], v[38:39]
	v_mul_f64_e32 v[38:39], v[40:41], v[18:19]
	s_delay_alu instid0(VALU_DEP_1) | instskip(NEXT) | instid1(VALU_DEP_1)
	v_fma_f64 v[16:17], -v[16:17], v[38:39], v[40:41]
	v_div_fmas_f64 v[16:17], v[16:17], v[18:19], v[38:39]
	s_delay_alu instid0(VALU_DEP_1) | instskip(NEXT) | instid1(VALU_DEP_1)
	v_div_fixup_f64 v[16:17], v[16:17], v[20:21], v[22:23]
	v_fmac_f64_e32 v[20:21], v[22:23], v[16:17]
	s_delay_alu instid0(VALU_DEP_1) | instskip(SKIP_1) | instid1(VALU_DEP_2)
	v_div_scale_f64 v[18:19], null, v[20:21], v[20:21], 1.0
	v_div_scale_f64 v[40:41], vcc_lo, 1.0, v[20:21], 1.0
	v_rcp_f64_e32 v[22:23], v[18:19]
	v_nop
	s_delay_alu instid0(TRANS32_DEP_1) | instskip(NEXT) | instid1(VALU_DEP_1)
	v_fma_f64 v[38:39], -v[18:19], v[22:23], 1.0
	v_fmac_f64_e32 v[22:23], v[22:23], v[38:39]
	s_delay_alu instid0(VALU_DEP_1) | instskip(NEXT) | instid1(VALU_DEP_1)
	v_fma_f64 v[38:39], -v[18:19], v[22:23], 1.0
	v_fmac_f64_e32 v[22:23], v[22:23], v[38:39]
	s_delay_alu instid0(VALU_DEP_1) | instskip(NEXT) | instid1(VALU_DEP_1)
	v_mul_f64_e32 v[38:39], v[40:41], v[22:23]
	v_fma_f64 v[18:19], -v[18:19], v[38:39], v[40:41]
	s_delay_alu instid0(VALU_DEP_1) | instskip(SKIP_1) | instid1(VALU_DEP_2)
	v_div_fmas_f64 v[18:19], v[18:19], v[22:23], v[38:39]
	v_fma_f64 v[22:23], v[16:17], v[26:27], v[24:25]
	v_div_fixup_f64 v[18:19], v[18:19], v[20:21], 1.0
	v_fma_f64 v[20:21], -v[16:17], v[24:25], v[26:27]
	s_delay_alu instid0(VALU_DEP_2) | instskip(NEXT) | instid1(VALU_DEP_2)
	v_mul_f64_e32 v[16:17], v[22:23], v[18:19]
	v_mul_f64_e32 v[18:19], v[20:21], v[18:19]
.LBB233_124:                            ;   in Loop: Header=BB233_114 Depth=2
	s_addk_co_i32 s27, 0x1c0
	s_delay_alu instid0(SALU_CYCLE_1) | instskip(NEXT) | instid1(SALU_CYCLE_1)
	s_add_co_i32 s26, s27, s26
	v_mov_b32_e32 v42, s26
	ds_load_b128 v[20:23], v42
	ds_load_b128 v[24:27], v42 offset:16
	ds_store_b128 v37, v[16:19] offset:448
	s_wait_dscnt 0x2
	v_mul_f64_e32 v[38:39], v[14:15], v[22:23]
	v_mul_f64_e32 v[22:23], v[12:13], v[22:23]
	s_wait_dscnt 0x1
	v_mul_f64_e32 v[40:41], v[18:19], v[26:27]
	v_mul_f64_e32 v[26:27], v[16:17], v[26:27]
	s_delay_alu instid0(VALU_DEP_4) | instskip(NEXT) | instid1(VALU_DEP_4)
	v_fma_f64 v[38:39], v[12:13], v[20:21], -v[38:39]
	v_fmac_f64_e32 v[22:23], v[14:15], v[20:21]
	s_delay_alu instid0(VALU_DEP_4) | instskip(NEXT) | instid1(VALU_DEP_4)
	v_fma_f64 v[20:21], v[16:17], v[24:25], -v[40:41]
	v_fmac_f64_e32 v[26:27], v[18:19], v[24:25]
	s_delay_alu instid0(VALU_DEP_4) | instskip(NEXT) | instid1(VALU_DEP_4)
	v_add_f64_e64 v[24:25], v[8:9], -v[38:39]
	v_add_f64_e64 v[22:23], v[10:11], -v[22:23]
	ds_load_b128 v[8:11], v42 offset:32
	s_wait_dscnt 0x0
	v_cmp_ngt_f64_e64 s27, |v[8:9]|, |v[10:11]|
	v_add_f64_e64 v[24:25], v[24:25], -v[20:21]
	v_add_f64_e64 v[26:27], v[22:23], -v[26:27]
                                        ; implicit-def: $vgpr22_vgpr23
	s_and_b32 vcc_lo, exec_lo, s27
	s_mov_b32 s27, -1
	s_cbranch_vccz .LBB233_126
; %bb.125:                              ;   in Loop: Header=BB233_114 Depth=2
	v_div_scale_f64 v[20:21], null, v[10:11], v[10:11], v[8:9]
	v_div_scale_f64 v[40:41], vcc_lo, v[8:9], v[10:11], v[8:9]
	s_mov_b32 s27, 0
	v_rcp_f64_e32 v[22:23], v[20:21]
	v_nop
	s_delay_alu instid0(TRANS32_DEP_1) | instskip(NEXT) | instid1(VALU_DEP_1)
	v_fma_f64 v[38:39], -v[20:21], v[22:23], 1.0
	v_fmac_f64_e32 v[22:23], v[22:23], v[38:39]
	s_delay_alu instid0(VALU_DEP_1) | instskip(NEXT) | instid1(VALU_DEP_1)
	v_fma_f64 v[38:39], -v[20:21], v[22:23], 1.0
	v_fmac_f64_e32 v[22:23], v[22:23], v[38:39]
	s_delay_alu instid0(VALU_DEP_1) | instskip(NEXT) | instid1(VALU_DEP_1)
	v_mul_f64_e32 v[38:39], v[40:41], v[22:23]
	v_fma_f64 v[20:21], -v[20:21], v[38:39], v[40:41]
	s_delay_alu instid0(VALU_DEP_1) | instskip(NEXT) | instid1(VALU_DEP_1)
	v_div_fmas_f64 v[20:21], v[20:21], v[22:23], v[38:39]
	v_div_fixup_f64 v[20:21], v[20:21], v[10:11], v[8:9]
	s_delay_alu instid0(VALU_DEP_1) | instskip(NEXT) | instid1(VALU_DEP_1)
	v_fma_f64 v[22:23], v[8:9], v[20:21], v[10:11]
	v_div_scale_f64 v[38:39], null, v[22:23], v[22:23], 1.0
	v_div_scale_f64 v[44:45], vcc_lo, 1.0, v[22:23], 1.0
	s_delay_alu instid0(VALU_DEP_2) | instskip(SKIP_1) | instid1(TRANS32_DEP_1)
	v_rcp_f64_e32 v[40:41], v[38:39]
	v_nop
	v_fma_f64 v[42:43], -v[38:39], v[40:41], 1.0
	s_delay_alu instid0(VALU_DEP_1) | instskip(NEXT) | instid1(VALU_DEP_1)
	v_fmac_f64_e32 v[40:41], v[40:41], v[42:43]
	v_fma_f64 v[42:43], -v[38:39], v[40:41], 1.0
	s_delay_alu instid0(VALU_DEP_1) | instskip(NEXT) | instid1(VALU_DEP_1)
	v_fmac_f64_e32 v[40:41], v[40:41], v[42:43]
	v_mul_f64_e32 v[42:43], v[44:45], v[40:41]
	s_delay_alu instid0(VALU_DEP_1) | instskip(NEXT) | instid1(VALU_DEP_1)
	v_fma_f64 v[38:39], -v[38:39], v[42:43], v[44:45]
	v_div_fmas_f64 v[38:39], v[38:39], v[40:41], v[42:43]
	v_fma_f64 v[40:41], v[20:21], v[24:25], v[26:27]
	s_delay_alu instid0(VALU_DEP_2) | instskip(SKIP_1) | instid1(VALU_DEP_2)
	v_div_fixup_f64 v[22:23], v[38:39], v[22:23], 1.0
	v_fma_f64 v[38:39], v[20:21], v[26:27], -v[24:25]
	v_mul_f64_e32 v[20:21], v[40:41], v[22:23]
	s_delay_alu instid0(VALU_DEP_2)
	v_mul_f64_e32 v[22:23], v[38:39], v[22:23]
.LBB233_126:                            ;   in Loop: Header=BB233_114 Depth=2
	s_and_not1_b32 vcc_lo, exec_lo, s27
	s_cbranch_vccnz .LBB233_128
; %bb.127:                              ;   in Loop: Header=BB233_114 Depth=2
	v_div_scale_f64 v[20:21], null, v[8:9], v[8:9], v[10:11]
	v_div_scale_f64 v[40:41], vcc_lo, v[10:11], v[8:9], v[10:11]
	s_delay_alu instid0(VALU_DEP_2) | instskip(SKIP_1) | instid1(TRANS32_DEP_1)
	v_rcp_f64_e32 v[22:23], v[20:21]
	v_nop
	v_fma_f64 v[38:39], -v[20:21], v[22:23], 1.0
	s_delay_alu instid0(VALU_DEP_1) | instskip(NEXT) | instid1(VALU_DEP_1)
	v_fmac_f64_e32 v[22:23], v[22:23], v[38:39]
	v_fma_f64 v[38:39], -v[20:21], v[22:23], 1.0
	s_delay_alu instid0(VALU_DEP_1) | instskip(NEXT) | instid1(VALU_DEP_1)
	v_fmac_f64_e32 v[22:23], v[22:23], v[38:39]
	v_mul_f64_e32 v[38:39], v[40:41], v[22:23]
	s_delay_alu instid0(VALU_DEP_1) | instskip(NEXT) | instid1(VALU_DEP_1)
	v_fma_f64 v[20:21], -v[20:21], v[38:39], v[40:41]
	v_div_fmas_f64 v[20:21], v[20:21], v[22:23], v[38:39]
	s_delay_alu instid0(VALU_DEP_1) | instskip(NEXT) | instid1(VALU_DEP_1)
	v_div_fixup_f64 v[20:21], v[20:21], v[8:9], v[10:11]
	v_fmac_f64_e32 v[8:9], v[10:11], v[20:21]
	s_delay_alu instid0(VALU_DEP_1) | instskip(SKIP_1) | instid1(VALU_DEP_2)
	v_div_scale_f64 v[10:11], null, v[8:9], v[8:9], 1.0
	v_div_scale_f64 v[40:41], vcc_lo, 1.0, v[8:9], 1.0
	v_rcp_f64_e32 v[22:23], v[10:11]
	v_nop
	s_delay_alu instid0(TRANS32_DEP_1) | instskip(NEXT) | instid1(VALU_DEP_1)
	v_fma_f64 v[38:39], -v[10:11], v[22:23], 1.0
	v_fmac_f64_e32 v[22:23], v[22:23], v[38:39]
	s_delay_alu instid0(VALU_DEP_1) | instskip(NEXT) | instid1(VALU_DEP_1)
	v_fma_f64 v[38:39], -v[10:11], v[22:23], 1.0
	v_fmac_f64_e32 v[22:23], v[22:23], v[38:39]
	s_delay_alu instid0(VALU_DEP_1) | instskip(NEXT) | instid1(VALU_DEP_1)
	v_mul_f64_e32 v[38:39], v[40:41], v[22:23]
	v_fma_f64 v[10:11], -v[10:11], v[38:39], v[40:41]
	s_delay_alu instid0(VALU_DEP_1) | instskip(SKIP_1) | instid1(VALU_DEP_2)
	v_div_fmas_f64 v[10:11], v[10:11], v[22:23], v[38:39]
	v_fma_f64 v[22:23], v[20:21], v[26:27], v[24:25]
	v_div_fixup_f64 v[8:9], v[10:11], v[8:9], 1.0
	v_fma_f64 v[10:11], -v[20:21], v[24:25], v[26:27]
	s_delay_alu instid0(VALU_DEP_2) | instskip(NEXT) | instid1(VALU_DEP_2)
	v_mul_f64_e32 v[20:21], v[22:23], v[8:9]
	v_mul_f64_e32 v[22:23], v[10:11], v[8:9]
.LBB233_128:                            ;   in Loop: Header=BB233_114 Depth=2
	v_mov_b32_e32 v44, s26
	ds_load_b128 v[8:11], v44 offset:448
	ds_load_b128 v[24:27], v44 offset:464
	s_wait_dscnt 0x1
	v_mul_f64_e32 v[38:39], v[14:15], v[10:11]
	v_mul_f64_e32 v[40:41], v[12:13], v[10:11]
	s_wait_dscnt 0x0
	v_mul_f64_e32 v[42:43], v[18:19], v[26:27]
	v_mul_f64_e32 v[26:27], v[16:17], v[26:27]
	s_delay_alu instid0(VALU_DEP_4) | instskip(NEXT) | instid1(VALU_DEP_4)
	v_fma_f64 v[38:39], v[12:13], v[8:9], -v[38:39]
	v_fmac_f64_e32 v[40:41], v[14:15], v[8:9]
	ds_load_b128 v[12:15], v44 offset:480
	ds_load_b128 v[8:11], v44 offset:496
	v_fma_f64 v[16:17], v[16:17], v[24:25], -v[42:43]
	v_fmac_f64_e32 v[26:27], v[18:19], v[24:25]
	ds_store_b128 v37, v[20:23] offset:896
	s_wait_dscnt 0x2
	v_mul_f64_e32 v[44:45], v[22:23], v[14:15]
	v_mul_f64_e32 v[14:15], v[20:21], v[14:15]
	s_wait_dscnt 0x1
	v_cmp_ngt_f64_e64 s26, |v[8:9]|, |v[10:11]|
	v_add_f64_e64 v[4:5], v[4:5], -v[38:39]
	v_add_f64_e64 v[6:7], v[6:7], -v[40:41]
	v_fma_f64 v[18:19], v[20:21], v[12:13], -v[44:45]
	v_fmac_f64_e32 v[14:15], v[22:23], v[12:13]
	s_and_b32 vcc_lo, exec_lo, s26
	s_mov_b32 s26, -1
	s_delay_alu instid0(VALU_DEP_4) | instskip(NEXT) | instid1(VALU_DEP_4)
	v_add_f64_e64 v[4:5], v[4:5], -v[16:17]
	v_add_f64_e64 v[6:7], v[6:7], -v[26:27]
	s_delay_alu instid0(VALU_DEP_2) | instskip(NEXT) | instid1(VALU_DEP_2)
	v_add_f64_e64 v[12:13], v[4:5], -v[18:19]
	v_add_f64_e64 v[14:15], v[6:7], -v[14:15]
                                        ; implicit-def: $vgpr6_vgpr7
	s_cbranch_vccz .LBB233_130
; %bb.129:                              ;   in Loop: Header=BB233_114 Depth=2
	v_div_scale_f64 v[4:5], null, v[10:11], v[10:11], v[8:9]
	v_div_scale_f64 v[18:19], vcc_lo, v[8:9], v[10:11], v[8:9]
	s_mov_b32 s26, 0
	v_rcp_f64_e32 v[6:7], v[4:5]
	v_nop
	s_delay_alu instid0(TRANS32_DEP_1) | instskip(NEXT) | instid1(VALU_DEP_1)
	v_fma_f64 v[16:17], -v[4:5], v[6:7], 1.0
	v_fmac_f64_e32 v[6:7], v[6:7], v[16:17]
	s_delay_alu instid0(VALU_DEP_1) | instskip(NEXT) | instid1(VALU_DEP_1)
	v_fma_f64 v[16:17], -v[4:5], v[6:7], 1.0
	v_fmac_f64_e32 v[6:7], v[6:7], v[16:17]
	s_delay_alu instid0(VALU_DEP_1) | instskip(NEXT) | instid1(VALU_DEP_1)
	v_mul_f64_e32 v[16:17], v[18:19], v[6:7]
	v_fma_f64 v[4:5], -v[4:5], v[16:17], v[18:19]
	s_delay_alu instid0(VALU_DEP_1) | instskip(NEXT) | instid1(VALU_DEP_1)
	v_div_fmas_f64 v[4:5], v[4:5], v[6:7], v[16:17]
	v_div_fixup_f64 v[4:5], v[4:5], v[10:11], v[8:9]
	s_delay_alu instid0(VALU_DEP_1) | instskip(NEXT) | instid1(VALU_DEP_1)
	v_fma_f64 v[6:7], v[8:9], v[4:5], v[10:11]
	v_div_scale_f64 v[16:17], null, v[6:7], v[6:7], 1.0
	v_div_scale_f64 v[22:23], vcc_lo, 1.0, v[6:7], 1.0
	s_delay_alu instid0(VALU_DEP_2) | instskip(SKIP_1) | instid1(TRANS32_DEP_1)
	v_rcp_f64_e32 v[18:19], v[16:17]
	v_nop
	v_fma_f64 v[20:21], -v[16:17], v[18:19], 1.0
	s_delay_alu instid0(VALU_DEP_1) | instskip(NEXT) | instid1(VALU_DEP_1)
	v_fmac_f64_e32 v[18:19], v[18:19], v[20:21]
	v_fma_f64 v[20:21], -v[16:17], v[18:19], 1.0
	s_delay_alu instid0(VALU_DEP_1) | instskip(NEXT) | instid1(VALU_DEP_1)
	v_fmac_f64_e32 v[18:19], v[18:19], v[20:21]
	v_mul_f64_e32 v[20:21], v[22:23], v[18:19]
	s_delay_alu instid0(VALU_DEP_1) | instskip(NEXT) | instid1(VALU_DEP_1)
	v_fma_f64 v[16:17], -v[16:17], v[20:21], v[22:23]
	v_div_fmas_f64 v[16:17], v[16:17], v[18:19], v[20:21]
	v_fma_f64 v[18:19], v[4:5], v[12:13], v[14:15]
	s_delay_alu instid0(VALU_DEP_2) | instskip(SKIP_1) | instid1(VALU_DEP_2)
	v_div_fixup_f64 v[6:7], v[16:17], v[6:7], 1.0
	v_fma_f64 v[16:17], v[4:5], v[14:15], -v[12:13]
	v_mul_f64_e32 v[4:5], v[18:19], v[6:7]
	s_delay_alu instid0(VALU_DEP_2)
	v_mul_f64_e32 v[6:7], v[16:17], v[6:7]
.LBB233_130:                            ;   in Loop: Header=BB233_114 Depth=2
	s_and_not1_b32 vcc_lo, exec_lo, s26
	s_cbranch_vccnz .LBB233_132
; %bb.131:                              ;   in Loop: Header=BB233_114 Depth=2
	v_div_scale_f64 v[4:5], null, v[8:9], v[8:9], v[10:11]
	v_div_scale_f64 v[18:19], vcc_lo, v[10:11], v[8:9], v[10:11]
	s_delay_alu instid0(VALU_DEP_2) | instskip(SKIP_1) | instid1(TRANS32_DEP_1)
	v_rcp_f64_e32 v[6:7], v[4:5]
	v_nop
	v_fma_f64 v[16:17], -v[4:5], v[6:7], 1.0
	s_delay_alu instid0(VALU_DEP_1) | instskip(NEXT) | instid1(VALU_DEP_1)
	v_fmac_f64_e32 v[6:7], v[6:7], v[16:17]
	v_fma_f64 v[16:17], -v[4:5], v[6:7], 1.0
	s_delay_alu instid0(VALU_DEP_1) | instskip(NEXT) | instid1(VALU_DEP_1)
	v_fmac_f64_e32 v[6:7], v[6:7], v[16:17]
	v_mul_f64_e32 v[16:17], v[18:19], v[6:7]
	s_delay_alu instid0(VALU_DEP_1) | instskip(NEXT) | instid1(VALU_DEP_1)
	v_fma_f64 v[4:5], -v[4:5], v[16:17], v[18:19]
	v_div_fmas_f64 v[4:5], v[4:5], v[6:7], v[16:17]
	s_delay_alu instid0(VALU_DEP_1) | instskip(NEXT) | instid1(VALU_DEP_1)
	v_div_fixup_f64 v[4:5], v[4:5], v[8:9], v[10:11]
	v_fmac_f64_e32 v[8:9], v[10:11], v[4:5]
	s_delay_alu instid0(VALU_DEP_1) | instskip(SKIP_1) | instid1(VALU_DEP_2)
	v_div_scale_f64 v[6:7], null, v[8:9], v[8:9], 1.0
	v_div_scale_f64 v[18:19], vcc_lo, 1.0, v[8:9], 1.0
	v_rcp_f64_e32 v[10:11], v[6:7]
	v_nop
	s_delay_alu instid0(TRANS32_DEP_1) | instskip(NEXT) | instid1(VALU_DEP_1)
	v_fma_f64 v[16:17], -v[6:7], v[10:11], 1.0
	v_fmac_f64_e32 v[10:11], v[10:11], v[16:17]
	s_delay_alu instid0(VALU_DEP_1) | instskip(NEXT) | instid1(VALU_DEP_1)
	v_fma_f64 v[16:17], -v[6:7], v[10:11], 1.0
	v_fmac_f64_e32 v[10:11], v[10:11], v[16:17]
	s_delay_alu instid0(VALU_DEP_1) | instskip(NEXT) | instid1(VALU_DEP_1)
	v_mul_f64_e32 v[16:17], v[18:19], v[10:11]
	v_fma_f64 v[6:7], -v[6:7], v[16:17], v[18:19]
	s_delay_alu instid0(VALU_DEP_1) | instskip(SKIP_1) | instid1(VALU_DEP_2)
	v_div_fmas_f64 v[6:7], v[6:7], v[10:11], v[16:17]
	v_fma_f64 v[10:11], v[4:5], v[14:15], v[12:13]
	v_div_fixup_f64 v[6:7], v[6:7], v[8:9], 1.0
	v_fma_f64 v[8:9], -v[4:5], v[12:13], v[14:15]
	s_delay_alu instid0(VALU_DEP_2) | instskip(NEXT) | instid1(VALU_DEP_2)
	v_mul_f64_e32 v[4:5], v[10:11], v[6:7]
	v_mul_f64_e32 v[6:7], v[8:9], v[6:7]
.LBB233_132:                            ;   in Loop: Header=BB233_114 Depth=2
	s_add_co_i32 s26, s25, 4
	s_add_co_i32 s25, s25, 7
	s_addk_co_i32 s24, 0x700
	s_cmp_ge_i32 s25, s29
	ds_store_b128 v37, v[4:7] offset:1344
	s_cbranch_scc1 .LBB233_134
; %bb.133:                              ;   in Loop: Header=BB233_114 Depth=2
	s_mov_b32 s25, s26
	s_branch .LBB233_114
.LBB233_134:                            ;   in Loop: Header=BB233_3 Depth=1
	s_cmp_ge_i32 s26, s29
	s_cbranch_scc1 .LBB233_143
; %bb.135:                              ;   in Loop: Header=BB233_3 Depth=1
	s_mul_i32 s24, s26, 0x1c0
	s_branch .LBB233_137
.LBB233_136:                            ;   in Loop: Header=BB233_137 Depth=2
	s_add_co_i32 s26, s26, 1
	s_addk_co_i32 s24, 0x1c0
	s_cmp_ge_i32 s26, s29
	ds_store_b128 v16, v[12:15]
	s_cbranch_scc1 .LBB233_143
.LBB233_137:                            ;   Parent Loop BB233_3 Depth=1
                                        ; =>  This Loop Header: Depth=2
                                        ;       Child Loop BB233_138 Depth 3
	v_mad_u32 v16, 0x1c0, s26, v34
	v_mov_b32_e32 v8, v34
	s_cmp_eq_u32 s26, 0
	s_mov_b32 s25, s24
	s_mov_b32 s27, s26
	ds_load_b128 v[4:7], v16
	s_cbranch_scc1 .LBB233_139
.LBB233_138:                            ;   Parent Loop BB233_3 Depth=1
                                        ;     Parent Loop BB233_137 Depth=2
                                        ; =>    This Inner Loop Header: Depth=3
	v_mov_b32_e32 v9, s25
	s_add_co_i32 s27, s27, -1
	s_add_co_i32 s25, s25, 16
	s_cmp_eq_u32 s27, 0
	ds_load_b128 v[10:13], v8
	ds_load_b128 v[18:21], v9
	v_add_nc_u32_e32 v8, 0x1c0, v8
	s_wait_dscnt 0x0
	v_mul_f64_e32 v[14:15], v[20:21], v[12:13]
	v_mul_f64_e32 v[12:13], v[18:19], v[12:13]
	s_delay_alu instid0(VALU_DEP_2) | instskip(NEXT) | instid1(VALU_DEP_2)
	v_fma_f64 v[14:15], v[18:19], v[10:11], -v[14:15]
	v_fmac_f64_e32 v[12:13], v[20:21], v[10:11]
	s_delay_alu instid0(VALU_DEP_2) | instskip(NEXT) | instid1(VALU_DEP_2)
	v_add_f64_e64 v[4:5], v[4:5], -v[14:15]
	v_add_f64_e64 v[6:7], v[6:7], -v[12:13]
	s_cbranch_scc0 .LBB233_138
.LBB233_139:                            ;   in Loop: Header=BB233_137 Depth=2
	s_mul_i32 s25, s26, 0x1d0
                                        ; implicit-def: $vgpr12_vgpr13
	s_delay_alu instid0(SALU_CYCLE_1)
	v_mov_b32_e32 v8, s25
	ds_load_b128 v[8:11], v8
	s_wait_dscnt 0x0
	v_cmp_ngt_f64_e64 s25, |v[8:9]|, |v[10:11]|
	s_and_b32 vcc_lo, exec_lo, s25
	s_mov_b32 s25, -1
	s_cbranch_vccz .LBB233_141
; %bb.140:                              ;   in Loop: Header=BB233_137 Depth=2
	v_div_scale_f64 v[12:13], null, v[10:11], v[10:11], v[8:9]
	v_div_scale_f64 v[20:21], vcc_lo, v[8:9], v[10:11], v[8:9]
	s_mov_b32 s25, 0
	v_rcp_f64_e32 v[14:15], v[12:13]
	v_nop
	s_delay_alu instid0(TRANS32_DEP_1) | instskip(NEXT) | instid1(VALU_DEP_1)
	v_fma_f64 v[18:19], -v[12:13], v[14:15], 1.0
	v_fmac_f64_e32 v[14:15], v[14:15], v[18:19]
	s_delay_alu instid0(VALU_DEP_1) | instskip(NEXT) | instid1(VALU_DEP_1)
	v_fma_f64 v[18:19], -v[12:13], v[14:15], 1.0
	v_fmac_f64_e32 v[14:15], v[14:15], v[18:19]
	s_delay_alu instid0(VALU_DEP_1) | instskip(NEXT) | instid1(VALU_DEP_1)
	v_mul_f64_e32 v[18:19], v[20:21], v[14:15]
	v_fma_f64 v[12:13], -v[12:13], v[18:19], v[20:21]
	s_delay_alu instid0(VALU_DEP_1) | instskip(NEXT) | instid1(VALU_DEP_1)
	v_div_fmas_f64 v[12:13], v[12:13], v[14:15], v[18:19]
	v_div_fixup_f64 v[12:13], v[12:13], v[10:11], v[8:9]
	s_delay_alu instid0(VALU_DEP_1) | instskip(NEXT) | instid1(VALU_DEP_1)
	v_fma_f64 v[14:15], v[8:9], v[12:13], v[10:11]
	v_div_scale_f64 v[18:19], null, v[14:15], v[14:15], 1.0
	v_div_scale_f64 v[24:25], vcc_lo, 1.0, v[14:15], 1.0
	s_delay_alu instid0(VALU_DEP_2) | instskip(SKIP_1) | instid1(TRANS32_DEP_1)
	v_rcp_f64_e32 v[20:21], v[18:19]
	v_nop
	v_fma_f64 v[22:23], -v[18:19], v[20:21], 1.0
	s_delay_alu instid0(VALU_DEP_1) | instskip(NEXT) | instid1(VALU_DEP_1)
	v_fmac_f64_e32 v[20:21], v[20:21], v[22:23]
	v_fma_f64 v[22:23], -v[18:19], v[20:21], 1.0
	s_delay_alu instid0(VALU_DEP_1) | instskip(NEXT) | instid1(VALU_DEP_1)
	v_fmac_f64_e32 v[20:21], v[20:21], v[22:23]
	v_mul_f64_e32 v[22:23], v[24:25], v[20:21]
	s_delay_alu instid0(VALU_DEP_1) | instskip(NEXT) | instid1(VALU_DEP_1)
	v_fma_f64 v[18:19], -v[18:19], v[22:23], v[24:25]
	v_div_fmas_f64 v[18:19], v[18:19], v[20:21], v[22:23]
	v_fma_f64 v[20:21], v[4:5], v[12:13], v[6:7]
	s_delay_alu instid0(VALU_DEP_2) | instskip(SKIP_1) | instid1(VALU_DEP_2)
	v_div_fixup_f64 v[14:15], v[18:19], v[14:15], 1.0
	v_fma_f64 v[18:19], v[6:7], v[12:13], -v[4:5]
	v_mul_f64_e32 v[12:13], v[20:21], v[14:15]
	s_delay_alu instid0(VALU_DEP_2)
	v_mul_f64_e32 v[14:15], v[18:19], v[14:15]
.LBB233_141:                            ;   in Loop: Header=BB233_137 Depth=2
	s_and_not1_b32 vcc_lo, exec_lo, s25
	s_cbranch_vccnz .LBB233_136
; %bb.142:                              ;   in Loop: Header=BB233_137 Depth=2
	v_div_scale_f64 v[12:13], null, v[8:9], v[8:9], v[10:11]
	v_div_scale_f64 v[20:21], vcc_lo, v[10:11], v[8:9], v[10:11]
	s_delay_alu instid0(VALU_DEP_2) | instskip(SKIP_1) | instid1(TRANS32_DEP_1)
	v_rcp_f64_e32 v[14:15], v[12:13]
	v_nop
	v_fma_f64 v[18:19], -v[12:13], v[14:15], 1.0
	s_delay_alu instid0(VALU_DEP_1) | instskip(NEXT) | instid1(VALU_DEP_1)
	v_fmac_f64_e32 v[14:15], v[14:15], v[18:19]
	v_fma_f64 v[18:19], -v[12:13], v[14:15], 1.0
	s_delay_alu instid0(VALU_DEP_1) | instskip(NEXT) | instid1(VALU_DEP_1)
	v_fmac_f64_e32 v[14:15], v[14:15], v[18:19]
	v_mul_f64_e32 v[18:19], v[20:21], v[14:15]
	s_delay_alu instid0(VALU_DEP_1) | instskip(NEXT) | instid1(VALU_DEP_1)
	v_fma_f64 v[12:13], -v[12:13], v[18:19], v[20:21]
	v_div_fmas_f64 v[12:13], v[12:13], v[14:15], v[18:19]
	s_delay_alu instid0(VALU_DEP_1) | instskip(NEXT) | instid1(VALU_DEP_1)
	v_div_fixup_f64 v[12:13], v[12:13], v[8:9], v[10:11]
	v_fmac_f64_e32 v[8:9], v[10:11], v[12:13]
	s_delay_alu instid0(VALU_DEP_1) | instskip(SKIP_1) | instid1(VALU_DEP_2)
	v_div_scale_f64 v[10:11], null, v[8:9], v[8:9], 1.0
	v_div_scale_f64 v[20:21], vcc_lo, 1.0, v[8:9], 1.0
	v_rcp_f64_e32 v[14:15], v[10:11]
	v_nop
	s_delay_alu instid0(TRANS32_DEP_1) | instskip(NEXT) | instid1(VALU_DEP_1)
	v_fma_f64 v[18:19], -v[10:11], v[14:15], 1.0
	v_fmac_f64_e32 v[14:15], v[14:15], v[18:19]
	s_delay_alu instid0(VALU_DEP_1) | instskip(NEXT) | instid1(VALU_DEP_1)
	v_fma_f64 v[18:19], -v[10:11], v[14:15], 1.0
	v_fmac_f64_e32 v[14:15], v[14:15], v[18:19]
	s_delay_alu instid0(VALU_DEP_1) | instskip(NEXT) | instid1(VALU_DEP_1)
	v_mul_f64_e32 v[18:19], v[20:21], v[14:15]
	v_fma_f64 v[10:11], -v[10:11], v[18:19], v[20:21]
	s_delay_alu instid0(VALU_DEP_1) | instskip(SKIP_2) | instid1(VALU_DEP_3)
	v_div_fmas_f64 v[10:11], v[10:11], v[14:15], v[18:19]
	v_fma_f64 v[14:15], v[6:7], v[12:13], v[4:5]
	v_fma_f64 v[4:5], -v[4:5], v[12:13], v[6:7]
	v_div_fixup_f64 v[8:9], v[10:11], v[8:9], 1.0
	s_delay_alu instid0(VALU_DEP_1) | instskip(NEXT) | instid1(VALU_DEP_3)
	v_mul_f64_e32 v[12:13], v[14:15], v[8:9]
	v_mul_f64_e32 v[14:15], v[4:5], v[8:9]
	s_branch .LBB233_136
.LBB233_143:                            ;   in Loop: Header=BB233_3 Depth=1
	s_and_saveexec_b32 s24, s35
	s_cbranch_execz .LBB233_2
; %bb.144:                              ;   in Loop: Header=BB233_3 Depth=1
	v_add_nc_u64_e32 v[4:5], s[16:17], v[0:1]
	v_mov_b32_e32 v6, v34
	s_mov_b32 s16, s28
.LBB233_145:                            ;   Parent Loop BB233_3 Depth=1
                                        ; =>  This Inner Loop Header: Depth=2
	ds_load_2addr_b64 v[8:11], v6 offset1:1
	v_add_nc_u32_e32 v6, 0x1c0, v6
	s_add_co_i32 s16, s16, -1
	s_delay_alu instid0(SALU_CYCLE_1)
	s_cmp_lg_u32 s16, 0
	s_wait_dscnt 0x0
	global_store_b128 v[4:5], v[8:11], off
	s_wait_xcnt 0x0
	v_add_nc_u64_e32 v[4:5], s[14:15], v[4:5]
	s_cbranch_scc1 .LBB233_145
	s_branch .LBB233_2
.LBB233_146:
	s_endpgm
	.section	.rodata,"a",@progbits
	.p2align	6, 0x0
	.amdhsa_kernel _ZL31rocblas_trsm_small_right_deviceI19rocblas_complex_numIdES1_PKS1_PS1_Li28EEv13rocblas_fill_18rocblas_operation_17rocblas_diagonal_iiT0_T1_lilT2_lili
		.amdhsa_group_segment_fixed_size 25088
		.amdhsa_private_segment_fixed_size 0
		.amdhsa_kernarg_size 368
		.amdhsa_user_sgpr_count 2
		.amdhsa_user_sgpr_dispatch_ptr 0
		.amdhsa_user_sgpr_queue_ptr 0
		.amdhsa_user_sgpr_kernarg_segment_ptr 1
		.amdhsa_user_sgpr_dispatch_id 0
		.amdhsa_user_sgpr_kernarg_preload_length 0
		.amdhsa_user_sgpr_kernarg_preload_offset 0
		.amdhsa_user_sgpr_private_segment_size 0
		.amdhsa_wavefront_size32 1
		.amdhsa_uses_dynamic_stack 0
		.amdhsa_enable_private_segment 0
		.amdhsa_system_sgpr_workgroup_id_x 1
		.amdhsa_system_sgpr_workgroup_id_y 0
		.amdhsa_system_sgpr_workgroup_id_z 1
		.amdhsa_system_sgpr_workgroup_info 0
		.amdhsa_system_vgpr_workitem_id 0
		.amdhsa_next_free_vgpr 193
		.amdhsa_next_free_sgpr 40
		.amdhsa_named_barrier_count 0
		.amdhsa_reserve_vcc 1
		.amdhsa_float_round_mode_32 0
		.amdhsa_float_round_mode_16_64 0
		.amdhsa_float_denorm_mode_32 3
		.amdhsa_float_denorm_mode_16_64 3
		.amdhsa_fp16_overflow 0
		.amdhsa_memory_ordered 1
		.amdhsa_forward_progress 1
		.amdhsa_inst_pref_size 117
		.amdhsa_round_robin_scheduling 0
		.amdhsa_exception_fp_ieee_invalid_op 0
		.amdhsa_exception_fp_denorm_src 0
		.amdhsa_exception_fp_ieee_div_zero 0
		.amdhsa_exception_fp_ieee_overflow 0
		.amdhsa_exception_fp_ieee_underflow 0
		.amdhsa_exception_fp_ieee_inexact 0
		.amdhsa_exception_int_div_zero 0
	.end_amdhsa_kernel
	.section	.text._ZL31rocblas_trsm_small_right_deviceI19rocblas_complex_numIdES1_PKS1_PS1_Li28EEv13rocblas_fill_18rocblas_operation_17rocblas_diagonal_iiT0_T1_lilT2_lili,"axG",@progbits,_ZL31rocblas_trsm_small_right_deviceI19rocblas_complex_numIdES1_PKS1_PS1_Li28EEv13rocblas_fill_18rocblas_operation_17rocblas_diagonal_iiT0_T1_lilT2_lili,comdat
.Lfunc_end233:
	.size	_ZL31rocblas_trsm_small_right_deviceI19rocblas_complex_numIdES1_PKS1_PS1_Li28EEv13rocblas_fill_18rocblas_operation_17rocblas_diagonal_iiT0_T1_lilT2_lili, .Lfunc_end233-_ZL31rocblas_trsm_small_right_deviceI19rocblas_complex_numIdES1_PKS1_PS1_Li28EEv13rocblas_fill_18rocblas_operation_17rocblas_diagonal_iiT0_T1_lilT2_lili
                                        ; -- End function
	.set _ZL31rocblas_trsm_small_right_deviceI19rocblas_complex_numIdES1_PKS1_PS1_Li28EEv13rocblas_fill_18rocblas_operation_17rocblas_diagonal_iiT0_T1_lilT2_lili.num_vgpr, 64
	.set _ZL31rocblas_trsm_small_right_deviceI19rocblas_complex_numIdES1_PKS1_PS1_Li28EEv13rocblas_fill_18rocblas_operation_17rocblas_diagonal_iiT0_T1_lilT2_lili.num_agpr, 0
	.set _ZL31rocblas_trsm_small_right_deviceI19rocblas_complex_numIdES1_PKS1_PS1_Li28EEv13rocblas_fill_18rocblas_operation_17rocblas_diagonal_iiT0_T1_lilT2_lili.numbered_sgpr, 40
	.set _ZL31rocblas_trsm_small_right_deviceI19rocblas_complex_numIdES1_PKS1_PS1_Li28EEv13rocblas_fill_18rocblas_operation_17rocblas_diagonal_iiT0_T1_lilT2_lili.num_named_barrier, 0
	.set _ZL31rocblas_trsm_small_right_deviceI19rocblas_complex_numIdES1_PKS1_PS1_Li28EEv13rocblas_fill_18rocblas_operation_17rocblas_diagonal_iiT0_T1_lilT2_lili.private_seg_size, 0
	.set _ZL31rocblas_trsm_small_right_deviceI19rocblas_complex_numIdES1_PKS1_PS1_Li28EEv13rocblas_fill_18rocblas_operation_17rocblas_diagonal_iiT0_T1_lilT2_lili.uses_vcc, 1
	.set _ZL31rocblas_trsm_small_right_deviceI19rocblas_complex_numIdES1_PKS1_PS1_Li28EEv13rocblas_fill_18rocblas_operation_17rocblas_diagonal_iiT0_T1_lilT2_lili.uses_flat_scratch, 0
	.set _ZL31rocblas_trsm_small_right_deviceI19rocblas_complex_numIdES1_PKS1_PS1_Li28EEv13rocblas_fill_18rocblas_operation_17rocblas_diagonal_iiT0_T1_lilT2_lili.has_dyn_sized_stack, 0
	.set _ZL31rocblas_trsm_small_right_deviceI19rocblas_complex_numIdES1_PKS1_PS1_Li28EEv13rocblas_fill_18rocblas_operation_17rocblas_diagonal_iiT0_T1_lilT2_lili.has_recursion, 0
	.set _ZL31rocblas_trsm_small_right_deviceI19rocblas_complex_numIdES1_PKS1_PS1_Li28EEv13rocblas_fill_18rocblas_operation_17rocblas_diagonal_iiT0_T1_lilT2_lili.has_indirect_call, 0
	.section	.AMDGPU.csdata,"",@progbits
; Kernel info:
; codeLenInByte = 14920
; TotalNumSgprs: 42
; NumVgprs: 64
; ScratchSize: 0
; MemoryBound: 0
; FloatMode: 240
; IeeeMode: 1
; LDSByteSize: 25088 bytes/workgroup (compile time only)
; SGPRBlocks: 0
; VGPRBlocks: 12
; NumSGPRsForWavesPerEU: 42
; NumVGPRsForWavesPerEU: 193
; NamedBarCnt: 0
; Occupancy: 4
; WaveLimiterHint : 0
; COMPUTE_PGM_RSRC2:SCRATCH_EN: 0
; COMPUTE_PGM_RSRC2:USER_SGPR: 2
; COMPUTE_PGM_RSRC2:TRAP_HANDLER: 0
; COMPUTE_PGM_RSRC2:TGID_X_EN: 1
; COMPUTE_PGM_RSRC2:TGID_Y_EN: 0
; COMPUTE_PGM_RSRC2:TGID_Z_EN: 1
; COMPUTE_PGM_RSRC2:TIDIG_COMP_CNT: 0
	.section	.text._ZL38rocblas_trsm_small_left_device_sharedBILi32ELi32ELb0E19rocblas_complex_numIdES1_PKS1_PS1_Ev13rocblas_fill_18rocblas_operation_17rocblas_diagonal_iiT3_T4_lilT5_lili,"axG",@progbits,_ZL38rocblas_trsm_small_left_device_sharedBILi32ELi32ELb0E19rocblas_complex_numIdES1_PKS1_PS1_Ev13rocblas_fill_18rocblas_operation_17rocblas_diagonal_iiT3_T4_lilT5_lili,comdat
	.globl	_ZL38rocblas_trsm_small_left_device_sharedBILi32ELi32ELb0E19rocblas_complex_numIdES1_PKS1_PS1_Ev13rocblas_fill_18rocblas_operation_17rocblas_diagonal_iiT3_T4_lilT5_lili ; -- Begin function _ZL38rocblas_trsm_small_left_device_sharedBILi32ELi32ELb0E19rocblas_complex_numIdES1_PKS1_PS1_Ev13rocblas_fill_18rocblas_operation_17rocblas_diagonal_iiT3_T4_lilT5_lili
	.p2align	8
	.type	_ZL38rocblas_trsm_small_left_device_sharedBILi32ELi32ELb0E19rocblas_complex_numIdES1_PKS1_PS1_Ev13rocblas_fill_18rocblas_operation_17rocblas_diagonal_iiT3_T4_lilT5_lili,@function
_ZL38rocblas_trsm_small_left_device_sharedBILi32ELi32ELb0E19rocblas_complex_numIdES1_PKS1_PS1_Ev13rocblas_fill_18rocblas_operation_17rocblas_diagonal_iiT3_T4_lilT5_lili: ; @_ZL38rocblas_trsm_small_left_device_sharedBILi32ELi32ELb0E19rocblas_complex_numIdES1_PKS1_PS1_Ev13rocblas_fill_18rocblas_operation_17rocblas_diagonal_iiT3_T4_lilT5_lili
; %bb.0:
	s_load_b32 s3, s[0:1], 0x68
	s_bfe_u32 s2, ttmp6, 0x40014
	s_lshr_b32 s5, ttmp7, 16
	s_add_co_i32 s2, s2, 1
	s_bfe_u32 s6, ttmp6, 0x40008
	s_mul_i32 s2, s5, s2
	s_getreg_b32 s4, hwreg(HW_REG_IB_STS2, 6, 4)
	s_add_co_i32 s6, s6, s2
	s_cmp_eq_u32 s4, 0
	s_mov_b32 s21, 0
	s_cselect_b32 s20, s5, s6
	s_wait_kmcnt 0x0
	s_cmp_ge_u32 s20, s3
	s_cbranch_scc1 .LBB234_62
; %bb.1:
	s_clause 0x5
	s_load_b32 s26, s[0:1], 0x38
	s_load_b96 s[16:18], s[0:1], 0x50
	s_load_b128 s[8:11], s[0:1], 0x4
	s_load_b32 s5, s[0:1], 0x70
	s_load_b64 s[28:29], s[0:1], 0x60
	s_load_b128 s[12:15], s[0:1], 0x40
	v_dual_mov_b32 v9, 0 :: v_dual_lshlrev_b32 v8, 4, v0
	s_wait_kmcnt 0x0
	s_ashr_i32 s27, s26, 31
	s_ashr_i32 s25, s18, 31
	s_cmp_eq_u32 s8, 0x71
	s_cselect_b32 s2, -1, 0
	s_bfe_u32 s6, ttmp6, 0x4000c
	s_min_i32 s19, s10, 32
	s_add_co_i32 s6, s6, 1
	s_and_b32 s7, ttmp6, 15
	s_mul_i32 s6, ttmp9, s6
	s_add_co_i32 s5, s5, -1
	s_add_co_i32 s22, s19, -1
	s_add_co_i32 s7, s7, s6
	s_cmp_eq_u32 s4, 0
	s_cselect_b32 s6, ttmp9, s7
	s_delay_alu instid0(SALU_CYCLE_1) | instskip(NEXT) | instid1(SALU_CYCLE_1)
	s_lshl_b32 s4, s6, 5
	s_sub_co_i32 s7, s11, s4
	s_cmp_ge_u32 s6, s5
	s_cselect_b32 s33, s7, 32
	s_ashr_i32 s5, s4, 31
	s_cmp_lg_u32 s9, 0x84
	v_cmp_gt_i32_e32 vcc_lo, s33, v0
	s_cselect_b32 s23, -1, 0
	s_cmp_gt_i32 s10, 0
	s_cselect_b32 s34, -1, 0
	s_cmp_lg_u32 s8, 0x6f
	s_cselect_b32 s24, -1, 0
	s_lshl_b64 s[30:31], s[4:5], 4
	s_lshl_b64 s[4:5], s[16:17], 4
	v_or_b32_e32 v1, s30, v8
	s_add_nc_u64 s[4:5], s[14:15], s[4:5]
	s_lshl_b64 s[14:15], s[28:29], 4
	s_delay_alu instid0(VALU_DEP_1) | instskip(SKIP_1) | instid1(VALU_DEP_1)
	v_mad_nc_u64_u32 v[10:11], v1, s18, s[4:5]
	s_load_b256 s[4:11], s[0:1], 0x18
	v_mad_u32 v2, s31, s18, v11
	s_or_b32 s18, 0, 8
	s_wait_kmcnt 0x0
	s_lshl_b64 s[0:1], s[10:11], 4
	s_delay_alu instid0(VALU_DEP_1)
	v_mad_u32 v11, v1, s25, v2
	s_add_nc_u64 s[0:1], s[8:9], s[0:1]
	v_lshlrev_b32_e32 v1, 9, v0
	v_add_nc_u64_e32 v[2:3], s[0:1], v[8:9]
	v_or_b32_e32 v9, 0x4000, v8
	v_cmp_gt_i32_e64 s0, s19, v0
	s_lshl_b32 s25, s19, 9
	v_add_nc_u32_e32 v16, v8, v1
	s_and_b32 s1, vcc_lo, s34
	s_lshl_b64 s[8:9], s[12:13], 4
	v_add_nc_u64_e32 v[12:13], 8, v[2:3]
	v_add_nc_u64_e32 v[14:15], 8, v[10:11]
	s_lshl_b64 s[10:11], s[26:27], 4
	s_addk_co_i32 s25, 0xfe00
	s_get_pc_i64 s[12:13]
	s_add_nc_u64 s[12:13], s[12:13], __const._ZL38rocblas_trsm_small_left_device_sharedBILi32ELi32ELb0E19rocblas_complex_numIdES1_PKS1_PS1_Ev13rocblas_fill_18rocblas_operation_17rocblas_diagonal_iiT3_T4_lilT5_lili.step_sizes@rel64+4
	s_branch .LBB234_3
.LBB234_2:                              ;   in Loop: Header=BB234_3 Depth=1
	s_or_b32 exec_lo, exec_lo, s26
	s_add_co_i32 s20, s20, 0x10000
	s_delay_alu instid0(SALU_CYCLE_1)
	s_cmp_lt_u32 s20, s3
	s_cbranch_scc0 .LBB234_62
.LBB234_3:                              ; =>This Loop Header: Depth=1
                                        ;     Child Loop BB234_5 Depth 2
                                        ;     Child Loop BB234_16 Depth 2
	;; [unrolled: 1-line block ×3, first 2 shown]
                                        ;       Child Loop BB234_23 Depth 3
                                        ;         Child Loop BB234_24 Depth 4
                                        ;         Child Loop BB234_27 Depth 4
                                        ;           Child Loop BB234_28 Depth 5
                                        ;         Child Loop BB234_32 Depth 4
                                        ;           Child Loop BB234_34 Depth 5
                                        ;     Child Loop BB234_42 Depth 2
                                        ;       Child Loop BB234_45 Depth 3
                                        ;         Child Loop BB234_46 Depth 4
                                        ;         Child Loop BB234_48 Depth 4
                                        ;           Child Loop BB234_49 Depth 5
                                        ;         Child Loop BB234_53 Depth 4
                                        ;           Child Loop BB234_55 Depth 5
                                        ;     Child Loop BB234_61 Depth 2
	s_and_saveexec_b32 s16, s0
	s_cbranch_execz .LBB234_14
; %bb.4:                                ;   in Loop: Header=BB234_3 Depth=1
	v_mad_nc_u64_u32 v[0:1], s8, s20, v[12:13]
	v_mov_b32_e32 v2, v8
	s_mov_b32 s17, s19
	s_delay_alu instid0(VALU_DEP_2)
	v_mad_u32 v1, s9, s20, v1
.LBB234_5:                              ;   Parent Loop BB234_3 Depth=1
                                        ; =>  This Inner Loop Header: Depth=2
	global_load_b128 v[4:7], v[0:1], off offset:-8
	s_wait_xcnt 0x0
	v_add_nc_u64_e32 v[0:1], s[10:11], v[0:1]
	s_add_co_i32 s17, s17, -1
	s_delay_alu instid0(SALU_CYCLE_1) | instskip(SKIP_2) | instid1(VALU_DEP_1)
	s_cmp_eq_u32 s17, 0
	s_wait_loadcnt 0x0
	v_xor_b32_e32 v3, 0x80000000, v7
	v_cndmask_b32_e64 v7, v7, v3, s2
	ds_store_b128 v2, v[4:7]
	v_add_nc_u32_e32 v2, 0x200, v2
	s_cbranch_scc0 .LBB234_5
; %bb.6:                                ;   in Loop: Header=BB234_3 Depth=1
	s_and_b32 vcc_lo, exec_lo, s23
	s_cbranch_vccz .LBB234_12
; %bb.7:                                ;   in Loop: Header=BB234_3 Depth=1
	ds_load_b128 v[0:3], v16
                                        ; implicit-def: $vgpr6_vgpr7
	s_wait_dscnt 0x0
	v_cmp_ngt_f64_e64 s17, |v[0:1]|, |v[2:3]|
	s_and_saveexec_b32 s26, s17
	s_delay_alu instid0(SALU_CYCLE_1)
	s_xor_b32 s17, exec_lo, s26
	s_cbranch_execz .LBB234_9
; %bb.8:                                ;   in Loop: Header=BB234_3 Depth=1
	v_div_scale_f64 v[4:5], null, v[2:3], v[2:3], v[0:1]
	v_div_scale_f64 v[20:21], vcc_lo, v[0:1], v[2:3], v[0:1]
	s_delay_alu instid0(VALU_DEP_2) | instskip(SKIP_1) | instid1(TRANS32_DEP_1)
	v_rcp_f64_e32 v[6:7], v[4:5]
	v_nop
	v_fma_f64 v[18:19], -v[4:5], v[6:7], 1.0
	s_delay_alu instid0(VALU_DEP_1) | instskip(NEXT) | instid1(VALU_DEP_1)
	v_fmac_f64_e32 v[6:7], v[6:7], v[18:19]
	v_fma_f64 v[18:19], -v[4:5], v[6:7], 1.0
	s_delay_alu instid0(VALU_DEP_1) | instskip(NEXT) | instid1(VALU_DEP_1)
	v_fmac_f64_e32 v[6:7], v[6:7], v[18:19]
	v_mul_f64_e32 v[18:19], v[20:21], v[6:7]
	s_delay_alu instid0(VALU_DEP_1) | instskip(NEXT) | instid1(VALU_DEP_1)
	v_fma_f64 v[4:5], -v[4:5], v[18:19], v[20:21]
	v_div_fmas_f64 v[4:5], v[4:5], v[6:7], v[18:19]
	s_delay_alu instid0(VALU_DEP_1) | instskip(NEXT) | instid1(VALU_DEP_1)
	v_div_fixup_f64 v[4:5], v[4:5], v[2:3], v[0:1]
	v_fmac_f64_e32 v[2:3], v[0:1], v[4:5]
	s_delay_alu instid0(VALU_DEP_1) | instskip(SKIP_1) | instid1(VALU_DEP_2)
	v_div_scale_f64 v[0:1], null, v[2:3], v[2:3], 1.0
	v_div_scale_f64 v[20:21], vcc_lo, 1.0, v[2:3], 1.0
	v_rcp_f64_e32 v[6:7], v[0:1]
	v_nop
	s_delay_alu instid0(TRANS32_DEP_1) | instskip(NEXT) | instid1(VALU_DEP_1)
	v_fma_f64 v[18:19], -v[0:1], v[6:7], 1.0
	v_fmac_f64_e32 v[6:7], v[6:7], v[18:19]
	s_delay_alu instid0(VALU_DEP_1) | instskip(NEXT) | instid1(VALU_DEP_1)
	v_fma_f64 v[18:19], -v[0:1], v[6:7], 1.0
	v_fmac_f64_e32 v[6:7], v[6:7], v[18:19]
	s_delay_alu instid0(VALU_DEP_1) | instskip(NEXT) | instid1(VALU_DEP_1)
	v_mul_f64_e32 v[18:19], v[20:21], v[6:7]
	v_fma_f64 v[0:1], -v[0:1], v[18:19], v[20:21]
	s_delay_alu instid0(VALU_DEP_1) | instskip(SKIP_1) | instid1(VALU_DEP_2)
	v_div_fmas_f64 v[0:1], v[0:1], v[6:7], v[18:19]
	v_add_f64_e32 v[6:7], 0, v[4:5]
	v_div_fixup_f64 v[0:1], v[0:1], v[2:3], 1.0
	v_fma_f64 v[2:3], v[4:5], 0, -1.0
	s_delay_alu instid0(VALU_DEP_2) | instskip(NEXT) | instid1(VALU_DEP_2)
	v_mul_f64_e32 v[4:5], v[6:7], v[0:1]
	v_mul_f64_e32 v[6:7], v[2:3], v[0:1]
                                        ; implicit-def: $vgpr0_vgpr1
.LBB234_9:                              ;   in Loop: Header=BB234_3 Depth=1
	s_and_not1_saveexec_b32 s17, s17
	s_cbranch_execz .LBB234_11
; %bb.10:                               ;   in Loop: Header=BB234_3 Depth=1
	v_div_scale_f64 v[4:5], null, v[0:1], v[0:1], v[2:3]
	v_div_scale_f64 v[20:21], vcc_lo, v[2:3], v[0:1], v[2:3]
	s_delay_alu instid0(VALU_DEP_2) | instskip(SKIP_1) | instid1(TRANS32_DEP_1)
	v_rcp_f64_e32 v[6:7], v[4:5]
	v_nop
	v_fma_f64 v[18:19], -v[4:5], v[6:7], 1.0
	s_delay_alu instid0(VALU_DEP_1) | instskip(NEXT) | instid1(VALU_DEP_1)
	v_fmac_f64_e32 v[6:7], v[6:7], v[18:19]
	v_fma_f64 v[18:19], -v[4:5], v[6:7], 1.0
	s_delay_alu instid0(VALU_DEP_1) | instskip(NEXT) | instid1(VALU_DEP_1)
	v_fmac_f64_e32 v[6:7], v[6:7], v[18:19]
	v_mul_f64_e32 v[18:19], v[20:21], v[6:7]
	s_delay_alu instid0(VALU_DEP_1) | instskip(NEXT) | instid1(VALU_DEP_1)
	v_fma_f64 v[4:5], -v[4:5], v[18:19], v[20:21]
	v_div_fmas_f64 v[4:5], v[4:5], v[6:7], v[18:19]
	s_delay_alu instid0(VALU_DEP_1) | instskip(NEXT) | instid1(VALU_DEP_1)
	v_div_fixup_f64 v[4:5], v[4:5], v[0:1], v[2:3]
	v_fmac_f64_e32 v[0:1], v[2:3], v[4:5]
	s_delay_alu instid0(VALU_DEP_1) | instskip(SKIP_1) | instid1(VALU_DEP_2)
	v_div_scale_f64 v[2:3], null, v[0:1], v[0:1], 1.0
	v_div_scale_f64 v[20:21], vcc_lo, 1.0, v[0:1], 1.0
	v_rcp_f64_e32 v[6:7], v[2:3]
	v_nop
	s_delay_alu instid0(TRANS32_DEP_1) | instskip(NEXT) | instid1(VALU_DEP_1)
	v_fma_f64 v[18:19], -v[2:3], v[6:7], 1.0
	v_fmac_f64_e32 v[6:7], v[6:7], v[18:19]
	s_delay_alu instid0(VALU_DEP_1) | instskip(NEXT) | instid1(VALU_DEP_1)
	v_fma_f64 v[18:19], -v[2:3], v[6:7], 1.0
	v_fmac_f64_e32 v[6:7], v[6:7], v[18:19]
	s_delay_alu instid0(VALU_DEP_1) | instskip(NEXT) | instid1(VALU_DEP_1)
	v_mul_f64_e32 v[18:19], v[20:21], v[6:7]
	v_fma_f64 v[2:3], -v[2:3], v[18:19], v[20:21]
	s_delay_alu instid0(VALU_DEP_1) | instskip(SKIP_1) | instid1(VALU_DEP_2)
	v_div_fmas_f64 v[2:3], v[2:3], v[6:7], v[18:19]
	v_fma_f64 v[6:7], v[4:5], 0, 1.0
	v_div_fixup_f64 v[0:1], v[2:3], v[0:1], 1.0
	v_add_f64_e64 v[2:3], -v[4:5], 0
	s_delay_alu instid0(VALU_DEP_2) | instskip(NEXT) | instid1(VALU_DEP_2)
	v_mul_f64_e32 v[4:5], v[6:7], v[0:1]
	v_mul_f64_e32 v[6:7], v[2:3], v[0:1]
.LBB234_11:                             ;   in Loop: Header=BB234_3 Depth=1
	s_or_b32 exec_lo, exec_lo, s17
	s_branch .LBB234_13
.LBB234_12:                             ;   in Loop: Header=BB234_3 Depth=1
	v_mov_b64_e32 v[6:7], 0
	v_mov_b64_e32 v[4:5], 1.0
.LBB234_13:                             ;   in Loop: Header=BB234_3 Depth=1
	ds_store_b128 v16, v[4:7]
.LBB234_14:                             ;   in Loop: Header=BB234_3 Depth=1
	s_or_b32 exec_lo, exec_lo, s16
	s_mul_u64 s[16:17], s[14:15], s[20:21]
	s_and_saveexec_b32 s26, s1
	s_cbranch_execz .LBB234_17
; %bb.15:                               ;   in Loop: Header=BB234_3 Depth=1
	v_add_nc_u64_e32 v[0:1], s[16:17], v[14:15]
	v_mov_b32_e32 v2, v9
	s_mov_b32 s27, s19
.LBB234_16:                             ;   Parent Loop BB234_3 Depth=1
                                        ; =>  This Inner Loop Header: Depth=2
	global_load_b128 v[4:7], v[0:1], off offset:-8
	s_wait_xcnt 0x0
	v_add_nc_u64_e32 v[0:1], 16, v[0:1]
	s_add_co_i32 s27, s27, -1
	s_delay_alu instid0(SALU_CYCLE_1) | instskip(SKIP_3) | instid1(VALU_DEP_2)
	s_cmp_lg_u32 s27, 0
	s_wait_loadcnt 0x0
	v_mul_f64_e32 v[18:19], s[6:7], v[6:7]
	v_mul_f64_e32 v[20:21], s[4:5], v[6:7]
	v_fma_f64 v[18:19], s[4:5], v[4:5], -v[18:19]
	s_delay_alu instid0(VALU_DEP_2)
	v_fmac_f64_e32 v[20:21], s[6:7], v[4:5]
	ds_store_b128 v2, v[18:21]
	v_add_nc_u32_e32 v2, 0x200, v2
	s_cbranch_scc1 .LBB234_16
.LBB234_17:                             ;   in Loop: Header=BB234_3 Depth=1
	s_or_b32 exec_lo, exec_lo, s26
	s_delay_alu instid0(SALU_CYCLE_1)
	s_and_not1_b32 vcc_lo, exec_lo, s24
	s_mov_b32 s26, -1
	s_wait_dscnt 0x0
	; wave barrier
	s_cbranch_vccnz .LBB234_39
; %bb.18:                               ;   in Loop: Header=BB234_3 Depth=1
	s_mov_b32 s27, 0
	s_mov_b32 s26, 0
	s_branch .LBB234_20
.LBB234_19:                             ;   in Loop: Header=BB234_20 Depth=2
	s_cmp_lt_i32 s26, s19
	s_cselect_b32 s28, -1, 0
	s_add_co_i32 s29, s27, 1
	s_cmp_lt_u32 s27, 2
	s_wait_xcnt 0x0
	s_cselect_b32 s27, -1, 0
	s_delay_alu instid0(SALU_CYCLE_1) | instskip(NEXT) | instid1(SALU_CYCLE_1)
	s_and_b32 s27, s28, s27
	s_and_b32 vcc_lo, exec_lo, s27
	s_mov_b32 s27, s29
	s_cbranch_vccz .LBB234_38
.LBB234_20:                             ;   Parent Loop BB234_3 Depth=1
                                        ; =>  This Loop Header: Depth=2
                                        ;       Child Loop BB234_23 Depth 3
                                        ;         Child Loop BB234_24 Depth 4
                                        ;         Child Loop BB234_27 Depth 4
                                        ;           Child Loop BB234_28 Depth 5
                                        ;         Child Loop BB234_32 Depth 4
                                        ;           Child Loop BB234_34 Depth 5
	s_load_b32 s28, s[12:13], s27 offset:0x0 scale_offset
	s_wait_kmcnt 0x0
	s_add_co_i32 s29, s28, -1
	s_delay_alu instid0(SALU_CYCLE_1) | instskip(NEXT) | instid1(SALU_CYCLE_1)
	s_add_co_i32 s30, s29, s26
	s_cmp_ge_i32 s30, s19
	s_cbranch_scc1 .LBB234_19
; %bb.21:                               ;   in Loop: Header=BB234_20 Depth=2
	s_lshl_b32 s30, s26, 9
	s_max_i32 s31, s28, 1
	v_add_nc_u32_e32 v4, s30, v9
	s_lshl_b32 s33, s28, 9
	s_mul_i32 s34, s26, 0x210
	s_mul_i32 s35, s28, 0x210
	s_branch .LBB234_23
.LBB234_22:                             ;   in Loop: Header=BB234_23 Depth=3
	s_add_co_i32 s26, s26, s28
	v_add_nc_u32_e32 v4, s33, v4
	s_add_co_i32 s36, s29, s26
	s_add_co_i32 s30, s30, s33
	;; [unrolled: 1-line block ×3, first 2 shown]
	s_cmp_ge_i32 s36, s19
	s_cbranch_scc1 .LBB234_19
.LBB234_23:                             ;   Parent Loop BB234_3 Depth=1
                                        ;     Parent Loop BB234_20 Depth=2
                                        ; =>    This Loop Header: Depth=3
                                        ;         Child Loop BB234_24 Depth 4
                                        ;         Child Loop BB234_27 Depth 4
                                        ;           Child Loop BB234_28 Depth 5
                                        ;         Child Loop BB234_32 Depth 4
                                        ;           Child Loop BB234_34 Depth 5
	v_mov_b32_e32 v0, v4
	s_mov_b32 s36, 0
	s_mov_b32 s37, s31
.LBB234_24:                             ;   Parent Loop BB234_3 Depth=1
                                        ;     Parent Loop BB234_20 Depth=2
                                        ;       Parent Loop BB234_23 Depth=3
                                        ; =>      This Inner Loop Header: Depth=4
	ds_load_b128 v[18:21], v0
	v_add_nc_u32_e32 v0, 0x200, v0
	s_add_co_i32 s37, s37, -1
	s_wait_dscnt 0x0
	scratch_store_b128 off, v[18:21], s36
	s_wait_xcnt 0x0
	s_add_co_i32 s36, s36, 16
	s_cmp_eq_u32 s37, 0
	s_cbranch_scc0 .LBB234_24
; %bb.25:                               ;   in Loop: Header=BB234_23 Depth=3
	s_cmp_lt_i32 s26, 1
	s_cbranch_scc1 .LBB234_30
; %bb.26:                               ;   in Loop: Header=BB234_23 Depth=3
	s_mov_b32 s36, 0
	s_mov_b32 s37, s30
.LBB234_27:                             ;   Parent Loop BB234_3 Depth=1
                                        ;     Parent Loop BB234_20 Depth=2
                                        ;       Parent Loop BB234_23 Depth=3
                                        ; =>      This Loop Header: Depth=4
                                        ;           Child Loop BB234_28 Depth 5
	v_lshl_add_u32 v0, s36, 9, v9
	s_mov_b32 s38, s18
	s_mov_b32 s39, s37
	;; [unrolled: 1-line block ×3, first 2 shown]
	ds_load_b128 v[0:3], v0
.LBB234_28:                             ;   Parent Loop BB234_3 Depth=1
                                        ;     Parent Loop BB234_20 Depth=2
                                        ;       Parent Loop BB234_23 Depth=3
                                        ;         Parent Loop BB234_27 Depth=4
                                        ; =>        This Inner Loop Header: Depth=5
	scratch_load_b128 v[18:21], off, s38 offset:-8
	v_mov_b32_e32 v5, s39
	s_add_co_i32 s40, s40, -1
	s_addk_co_i32 s39, 0x200
	ds_load_b128 v[22:25], v5
	s_wait_dscnt 0x0
	v_mul_f64_e32 v[6:7], v[2:3], v[24:25]
	v_mul_f64_e32 v[24:25], v[0:1], v[24:25]
	s_delay_alu instid0(VALU_DEP_2) | instskip(NEXT) | instid1(VALU_DEP_2)
	v_fma_f64 v[6:7], v[0:1], v[22:23], -v[6:7]
	v_fmac_f64_e32 v[24:25], v[2:3], v[22:23]
	s_wait_loadcnt 0x0
	s_delay_alu instid0(VALU_DEP_2) | instskip(NEXT) | instid1(VALU_DEP_2)
	v_add_f64_e64 v[18:19], v[18:19], -v[6:7]
	v_add_f64_e64 v[20:21], v[20:21], -v[24:25]
	scratch_store_b128 off, v[18:21], s38 offset:-8
	s_wait_xcnt 0x0
	s_add_co_i32 s38, s38, 16
	s_cmp_eq_u32 s40, 0
	s_cbranch_scc0 .LBB234_28
; %bb.29:                               ;   in Loop: Header=BB234_27 Depth=4
	s_add_co_i32 s36, s36, 1
	s_add_co_i32 s37, s37, 16
	s_cmp_eq_u32 s36, s26
	s_cbranch_scc0 .LBB234_27
.LBB234_30:                             ;   in Loop: Header=BB234_23 Depth=3
	s_lshl_b32 s36, s26, 9
	s_mov_b32 s37, 0
	s_mov_b32 s38, s34
	s_branch .LBB234_32
.LBB234_31:                             ;   in Loop: Header=BB234_32 Depth=4
	s_wait_xcnt 0x0
	s_mulk_i32 s40, 0x210
	s_addk_co_i32 s38, 0x200
	v_mov_b32_e32 v5, s40
	s_lshl_b32 s40, s37, 4
	s_add_co_i32 s37, s37, 1
	s_delay_alu instid0(SALU_CYCLE_1) | instskip(SKIP_4) | instid1(VALU_DEP_2)
	s_cmp_eq_u32 s37, s31
	ds_load_b128 v[18:21], v5
	s_wait_loadcnt_dscnt 0x0
	v_mul_f64_e32 v[6:7], v[20:21], v[2:3]
	v_mul_f64_e32 v[24:25], v[18:19], v[2:3]
	v_fma_f64 v[22:23], v[18:19], v[0:1], -v[6:7]
	s_delay_alu instid0(VALU_DEP_2)
	v_fmac_f64_e32 v[24:25], v[20:21], v[0:1]
	v_add_nc_u32_e32 v0, s39, v9
	scratch_store_b128 off, v[22:25], s40
	ds_store_b128 v0, v[22:25]
	s_cbranch_scc1 .LBB234_22
.LBB234_32:                             ;   Parent Loop BB234_3 Depth=1
                                        ;     Parent Loop BB234_20 Depth=2
                                        ;       Parent Loop BB234_23 Depth=3
                                        ; =>      This Loop Header: Depth=4
                                        ;           Child Loop BB234_34 Depth 5
	s_cmp_lg_u32 s37, 0
	s_cbranch_scc0 .LBB234_36
; %bb.33:                               ;   in Loop: Header=BB234_32 Depth=4
	s_lshl_b32 s41, s37, 4
	s_wait_xcnt 0x0
	s_add_co_i32 s40, s37, s26
	scratch_load_b128 v[0:3], off, s41
	s_lshl_b32 s39, s40, 9
	s_mov_b32 s42, s38
	s_mov_b32 s43, s18
	;; [unrolled: 1-line block ×3, first 2 shown]
.LBB234_34:                             ;   Parent Loop BB234_3 Depth=1
                                        ;     Parent Loop BB234_20 Depth=2
                                        ;       Parent Loop BB234_23 Depth=3
                                        ;         Parent Loop BB234_32 Depth=4
                                        ; =>        This Inner Loop Header: Depth=5
	scratch_load_b128 v[18:21], off, s43 offset:-8
	v_mov_b32_e32 v5, s42
	s_add_co_i32 s44, s44, -1
	s_wait_xcnt 0x0
	s_add_co_i32 s43, s43, 16
	s_add_co_i32 s42, s42, 16
	s_cmp_eq_u32 s44, 0
	ds_load_b128 v[22:25], v5
	s_wait_loadcnt_dscnt 0x0
	v_mul_f64_e32 v[6:7], v[24:25], v[20:21]
	v_mul_f64_e32 v[20:21], v[22:23], v[20:21]
	s_delay_alu instid0(VALU_DEP_2) | instskip(NEXT) | instid1(VALU_DEP_2)
	v_fma_f64 v[6:7], v[22:23], v[18:19], -v[6:7]
	v_fmac_f64_e32 v[20:21], v[24:25], v[18:19]
	s_delay_alu instid0(VALU_DEP_2) | instskip(NEXT) | instid1(VALU_DEP_2)
	v_add_f64_e64 v[0:1], v[0:1], -v[6:7]
	v_add_f64_e64 v[2:3], v[2:3], -v[20:21]
	scratch_store_b128 off, v[0:3], s41
	s_cbranch_scc0 .LBB234_34
; %bb.35:                               ;   in Loop: Header=BB234_32 Depth=4
	s_wait_xcnt 0x0
	s_branch .LBB234_31
.LBB234_36:                             ;   in Loop: Header=BB234_32 Depth=4
                                        ; implicit-def: $vgpr0_vgpr1
                                        ; implicit-def: $sgpr40
                                        ; implicit-def: $sgpr39
	s_cbranch_execz .LBB234_31
; %bb.37:                               ;   in Loop: Header=BB234_32 Depth=4
	scratch_load_b128 v[0:3], off, off
	s_mov_b32 s39, s36
	s_wait_xcnt 0x1
	s_mov_b32 s40, s26
	s_branch .LBB234_31
.LBB234_38:                             ;   in Loop: Header=BB234_3 Depth=1
	s_mov_b32 s26, 0
.LBB234_39:                             ;   in Loop: Header=BB234_3 Depth=1
	s_delay_alu instid0(SALU_CYCLE_1)
	s_and_b32 vcc_lo, exec_lo, s26
	s_cbranch_vccz .LBB234_59
; %bb.40:                               ;   in Loop: Header=BB234_3 Depth=1
	s_mov_b32 s27, 0
	s_mov_b32 s26, s22
	s_branch .LBB234_42
.LBB234_41:                             ;   in Loop: Header=BB234_42 Depth=2
	s_cmp_gt_i32 s26, -1
	s_cselect_b32 s28, -1, 0
	s_add_co_i32 s29, s27, 1
	s_cmp_lt_u32 s27, 2
	s_cselect_b32 s27, -1, 0
	s_delay_alu instid0(SALU_CYCLE_1) | instskip(NEXT) | instid1(SALU_CYCLE_1)
	s_and_b32 s27, s28, s27
	s_and_not1_b32 vcc_lo, exec_lo, s27
	s_mov_b32 s27, s29
	s_cbranch_vccnz .LBB234_59
.LBB234_42:                             ;   Parent Loop BB234_3 Depth=1
                                        ; =>  This Loop Header: Depth=2
                                        ;       Child Loop BB234_45 Depth 3
                                        ;         Child Loop BB234_46 Depth 4
                                        ;         Child Loop BB234_48 Depth 4
                                        ;           Child Loop BB234_49 Depth 5
                                        ;         Child Loop BB234_53 Depth 4
                                        ;           Child Loop BB234_55 Depth 5
	s_load_b32 s28, s[12:13], s27 offset:0x0 scale_offset
	s_wait_kmcnt 0x0
	s_add_co_i32 s29, s28, -1
	s_delay_alu instid0(SALU_CYCLE_1)
	s_cmp_lt_i32 s26, s29
	s_cbranch_scc1 .LBB234_41
; %bb.43:                               ;   in Loop: Header=BB234_42 Depth=2
	v_lshl_add_u32 v4, s26, 9, v9
	s_lshl_b32 s31, s28, 9
	s_lshl_b32 s33, s26, 4
	;; [unrolled: 1-line block ×3, first 2 shown]
	s_max_i32 s30, s28, 1
	s_sub_co_i32 s31, 0, s31
	s_add_co_i32 s33, s25, s33
	s_sub_co_i32 s34, 0, s34
	s_mul_i32 s35, s26, 0x210
	s_mul_i32 s36, s28, 0xfffffdf0
	s_branch .LBB234_45
.LBB234_44:                             ;   in Loop: Header=BB234_45 Depth=3
	v_add_nc_u32_e32 v4, s31, v4
	s_sub_co_i32 s26, s26, s28
	s_add_co_i32 s33, s33, s34
	s_add_co_i32 s35, s35, s36
	s_cmp_lt_i32 s26, s29
	s_cbranch_scc1 .LBB234_41
.LBB234_45:                             ;   Parent Loop BB234_3 Depth=1
                                        ;     Parent Loop BB234_42 Depth=2
                                        ; =>    This Loop Header: Depth=3
                                        ;         Child Loop BB234_46 Depth 4
                                        ;         Child Loop BB234_48 Depth 4
                                        ;           Child Loop BB234_49 Depth 5
                                        ;         Child Loop BB234_53 Depth 4
                                        ;           Child Loop BB234_55 Depth 5
	v_mov_b32_e32 v0, v4
	s_mov_b32 s37, 0
	s_mov_b32 s38, s30
.LBB234_46:                             ;   Parent Loop BB234_3 Depth=1
                                        ;     Parent Loop BB234_42 Depth=2
                                        ;       Parent Loop BB234_45 Depth=3
                                        ; =>      This Inner Loop Header: Depth=4
	ds_load_b128 v[18:21], v0
	v_add_nc_u32_e32 v0, 0xfffffe00, v0
	s_add_co_i32 s38, s38, -1
	s_wait_dscnt 0x0
	scratch_store_b128 off, v[18:21], s37
	s_wait_xcnt 0x0
	s_add_co_i32 s37, s37, 16
	s_cmp_eq_u32 s38, 0
	s_cbranch_scc0 .LBB234_46
; %bb.47:                               ;   in Loop: Header=BB234_45 Depth=3
	s_cmp_le_i32 s22, s26
	s_mov_b32 s37, s33
	s_mov_b32 s38, s22
	s_cbranch_scc1 .LBB234_51
.LBB234_48:                             ;   Parent Loop BB234_3 Depth=1
                                        ;     Parent Loop BB234_42 Depth=2
                                        ;       Parent Loop BB234_45 Depth=3
                                        ; =>      This Loop Header: Depth=4
                                        ;           Child Loop BB234_49 Depth 5
	v_lshl_add_u32 v0, s38, 9, v9
	s_mov_b32 s39, s18
	s_mov_b32 s40, s37
	;; [unrolled: 1-line block ×3, first 2 shown]
	ds_load_b128 v[0:3], v0
.LBB234_49:                             ;   Parent Loop BB234_3 Depth=1
                                        ;     Parent Loop BB234_42 Depth=2
                                        ;       Parent Loop BB234_45 Depth=3
                                        ;         Parent Loop BB234_48 Depth=4
                                        ; =>        This Inner Loop Header: Depth=5
	scratch_load_b128 v[18:21], off, s39 offset:-8
	v_mov_b32_e32 v5, s40
	s_add_co_i32 s41, s41, -1
	s_add_co_i32 s40, s40, -16
	ds_load_b128 v[22:25], v5
	s_wait_dscnt 0x0
	v_mul_f64_e32 v[6:7], v[2:3], v[24:25]
	v_mul_f64_e32 v[24:25], v[0:1], v[24:25]
	s_delay_alu instid0(VALU_DEP_2) | instskip(NEXT) | instid1(VALU_DEP_2)
	v_fma_f64 v[6:7], v[0:1], v[22:23], -v[6:7]
	v_fmac_f64_e32 v[24:25], v[2:3], v[22:23]
	s_wait_loadcnt 0x0
	s_delay_alu instid0(VALU_DEP_2) | instskip(NEXT) | instid1(VALU_DEP_2)
	v_add_f64_e64 v[18:19], v[18:19], -v[6:7]
	v_add_f64_e64 v[20:21], v[20:21], -v[24:25]
	scratch_store_b128 off, v[18:21], s39 offset:-8
	s_wait_xcnt 0x0
	s_add_co_i32 s39, s39, 16
	s_cmp_eq_u32 s41, 0
	s_cbranch_scc0 .LBB234_49
; %bb.50:                               ;   in Loop: Header=BB234_48 Depth=4
	s_add_co_i32 s38, s38, -1
	s_addk_co_i32 s37, 0xfe00
	s_cmp_le_i32 s38, s26
	s_cbranch_scc0 .LBB234_48
.LBB234_51:                             ;   in Loop: Header=BB234_45 Depth=3
	s_mov_b32 s37, 0
	s_mov_b32 s38, s35
	s_branch .LBB234_53
.LBB234_52:                             ;   in Loop: Header=BB234_53 Depth=4
	s_mul_i32 s40, s39, 0x210
	s_add_co_i32 s38, s38, -16
	v_mov_b32_e32 v5, s40
	s_lshl_b32 s40, s37, 4
	s_add_co_i32 s37, s37, 1
	s_delay_alu instid0(SALU_CYCLE_1) | instskip(SKIP_4) | instid1(VALU_DEP_2)
	s_cmp_eq_u32 s37, s30
	ds_load_b128 v[18:21], v5
	s_wait_loadcnt_dscnt 0x0
	v_mul_f64_e32 v[6:7], v[20:21], v[2:3]
	v_mul_f64_e32 v[24:25], v[18:19], v[2:3]
	v_fma_f64 v[22:23], v[18:19], v[0:1], -v[6:7]
	s_delay_alu instid0(VALU_DEP_2)
	v_fmac_f64_e32 v[24:25], v[20:21], v[0:1]
	v_lshl_add_u32 v0, s39, 9, v9
	scratch_store_b128 off, v[22:25], s40
	ds_store_b128 v0, v[22:25]
	s_cbranch_scc1 .LBB234_44
.LBB234_53:                             ;   Parent Loop BB234_3 Depth=1
                                        ;     Parent Loop BB234_42 Depth=2
                                        ;       Parent Loop BB234_45 Depth=3
                                        ; =>      This Loop Header: Depth=4
                                        ;           Child Loop BB234_55 Depth 5
	s_cmp_lg_u32 s37, 0
	s_cbranch_scc0 .LBB234_57
; %bb.54:                               ;   in Loop: Header=BB234_53 Depth=4
	s_wait_xcnt 0x0
	s_lshl_b32 s40, s37, 4
	s_sub_co_i32 s39, s26, s37
	scratch_load_b128 v[0:3], off, s40
	s_mov_b32 s41, s18
	s_mov_b32 s42, s38
	;; [unrolled: 1-line block ×3, first 2 shown]
.LBB234_55:                             ;   Parent Loop BB234_3 Depth=1
                                        ;     Parent Loop BB234_42 Depth=2
                                        ;       Parent Loop BB234_45 Depth=3
                                        ;         Parent Loop BB234_53 Depth=4
                                        ; =>        This Inner Loop Header: Depth=5
	scratch_load_b128 v[18:21], off, s41 offset:-8
	v_mov_b32_e32 v5, s42
	s_add_co_i32 s43, s43, -1
	s_addk_co_i32 s42, 0xfe00
	s_wait_xcnt 0x0
	s_add_co_i32 s41, s41, 16
	s_cmp_eq_u32 s43, 0
	ds_load_b128 v[22:25], v5
	s_wait_loadcnt_dscnt 0x0
	v_mul_f64_e32 v[6:7], v[24:25], v[20:21]
	v_mul_f64_e32 v[20:21], v[22:23], v[20:21]
	s_delay_alu instid0(VALU_DEP_2) | instskip(NEXT) | instid1(VALU_DEP_2)
	v_fma_f64 v[6:7], v[22:23], v[18:19], -v[6:7]
	v_fmac_f64_e32 v[20:21], v[24:25], v[18:19]
	s_delay_alu instid0(VALU_DEP_2) | instskip(NEXT) | instid1(VALU_DEP_2)
	v_add_f64_e64 v[0:1], v[0:1], -v[6:7]
	v_add_f64_e64 v[2:3], v[2:3], -v[20:21]
	scratch_store_b128 off, v[0:3], s40
	s_cbranch_scc0 .LBB234_55
; %bb.56:                               ;   in Loop: Header=BB234_53 Depth=4
	s_wait_xcnt 0x0
	s_branch .LBB234_52
.LBB234_57:                             ;   in Loop: Header=BB234_53 Depth=4
	s_wait_xcnt 0x0
                                        ; implicit-def: $vgpr0_vgpr1
                                        ; implicit-def: $sgpr39
	s_cbranch_execz .LBB234_52
; %bb.58:                               ;   in Loop: Header=BB234_53 Depth=4
	scratch_load_b128 v[0:3], off, off
	s_mov_b32 s39, s26
	s_branch .LBB234_52
.LBB234_59:                             ;   in Loop: Header=BB234_3 Depth=1
	; wave barrier
	s_wait_storecnt_dscnt 0x0
	s_wait_xcnt 0x0
	s_and_saveexec_b32 s26, s1
	s_cbranch_execz .LBB234_2
; %bb.60:                               ;   in Loop: Header=BB234_3 Depth=1
	v_add_nc_u64_e32 v[0:1], s[16:17], v[10:11]
	v_mov_b32_e32 v2, v9
	s_mov_b32 s16, s19
.LBB234_61:                             ;   Parent Loop BB234_3 Depth=1
                                        ; =>  This Inner Loop Header: Depth=2
	ds_load_2addr_b64 v[4:7], v2 offset1:1
	v_add_nc_u32_e32 v2, 0x200, v2
	s_add_co_i32 s16, s16, -1
	s_delay_alu instid0(SALU_CYCLE_1)
	s_cmp_lg_u32 s16, 0
	s_wait_dscnt 0x0
	global_store_b128 v[0:1], v[4:7], off
	s_wait_xcnt 0x0
	v_add_nc_u64_e32 v[0:1], 16, v[0:1]
	s_cbranch_scc1 .LBB234_61
	s_branch .LBB234_2
.LBB234_62:
	s_endpgm
	.section	.rodata,"a",@progbits
	.p2align	6, 0x0
	.amdhsa_kernel _ZL38rocblas_trsm_small_left_device_sharedBILi32ELi32ELb0E19rocblas_complex_numIdES1_PKS1_PS1_Ev13rocblas_fill_18rocblas_operation_17rocblas_diagonal_iiT3_T4_lilT5_lili
		.amdhsa_group_segment_fixed_size 32768
		.amdhsa_private_segment_fixed_size 528
		.amdhsa_kernarg_size 368
		.amdhsa_user_sgpr_count 2
		.amdhsa_user_sgpr_dispatch_ptr 0
		.amdhsa_user_sgpr_queue_ptr 0
		.amdhsa_user_sgpr_kernarg_segment_ptr 1
		.amdhsa_user_sgpr_dispatch_id 0
		.amdhsa_user_sgpr_kernarg_preload_length 0
		.amdhsa_user_sgpr_kernarg_preload_offset 0
		.amdhsa_user_sgpr_private_segment_size 0
		.amdhsa_wavefront_size32 1
		.amdhsa_uses_dynamic_stack 0
		.amdhsa_enable_private_segment 1
		.amdhsa_system_sgpr_workgroup_id_x 1
		.amdhsa_system_sgpr_workgroup_id_y 0
		.amdhsa_system_sgpr_workgroup_id_z 1
		.amdhsa_system_sgpr_workgroup_info 0
		.amdhsa_system_vgpr_workitem_id 0
		.amdhsa_next_free_vgpr 257
		.amdhsa_next_free_sgpr 45
		.amdhsa_named_barrier_count 0
		.amdhsa_reserve_vcc 1
		.amdhsa_float_round_mode_32 0
		.amdhsa_float_round_mode_16_64 0
		.amdhsa_float_denorm_mode_32 3
		.amdhsa_float_denorm_mode_16_64 3
		.amdhsa_fp16_overflow 0
		.amdhsa_memory_ordered 1
		.amdhsa_forward_progress 1
		.amdhsa_inst_pref_size 22
		.amdhsa_round_robin_scheduling 0
		.amdhsa_exception_fp_ieee_invalid_op 0
		.amdhsa_exception_fp_denorm_src 0
		.amdhsa_exception_fp_ieee_div_zero 0
		.amdhsa_exception_fp_ieee_overflow 0
		.amdhsa_exception_fp_ieee_underflow 0
		.amdhsa_exception_fp_ieee_inexact 0
		.amdhsa_exception_int_div_zero 0
	.end_amdhsa_kernel
	.section	.text._ZL38rocblas_trsm_small_left_device_sharedBILi32ELi32ELb0E19rocblas_complex_numIdES1_PKS1_PS1_Ev13rocblas_fill_18rocblas_operation_17rocblas_diagonal_iiT3_T4_lilT5_lili,"axG",@progbits,_ZL38rocblas_trsm_small_left_device_sharedBILi32ELi32ELb0E19rocblas_complex_numIdES1_PKS1_PS1_Ev13rocblas_fill_18rocblas_operation_17rocblas_diagonal_iiT3_T4_lilT5_lili,comdat
.Lfunc_end234:
	.size	_ZL38rocblas_trsm_small_left_device_sharedBILi32ELi32ELb0E19rocblas_complex_numIdES1_PKS1_PS1_Ev13rocblas_fill_18rocblas_operation_17rocblas_diagonal_iiT3_T4_lilT5_lili, .Lfunc_end234-_ZL38rocblas_trsm_small_left_device_sharedBILi32ELi32ELb0E19rocblas_complex_numIdES1_PKS1_PS1_Ev13rocblas_fill_18rocblas_operation_17rocblas_diagonal_iiT3_T4_lilT5_lili
                                        ; -- End function
	.set _ZL38rocblas_trsm_small_left_device_sharedBILi32ELi32ELb0E19rocblas_complex_numIdES1_PKS1_PS1_Ev13rocblas_fill_18rocblas_operation_17rocblas_diagonal_iiT3_T4_lilT5_lili.num_vgpr, 26
	.set _ZL38rocblas_trsm_small_left_device_sharedBILi32ELi32ELb0E19rocblas_complex_numIdES1_PKS1_PS1_Ev13rocblas_fill_18rocblas_operation_17rocblas_diagonal_iiT3_T4_lilT5_lili.num_agpr, 0
	.set _ZL38rocblas_trsm_small_left_device_sharedBILi32ELi32ELb0E19rocblas_complex_numIdES1_PKS1_PS1_Ev13rocblas_fill_18rocblas_operation_17rocblas_diagonal_iiT3_T4_lilT5_lili.numbered_sgpr, 45
	.set _ZL38rocblas_trsm_small_left_device_sharedBILi32ELi32ELb0E19rocblas_complex_numIdES1_PKS1_PS1_Ev13rocblas_fill_18rocblas_operation_17rocblas_diagonal_iiT3_T4_lilT5_lili.num_named_barrier, 0
	.set _ZL38rocblas_trsm_small_left_device_sharedBILi32ELi32ELb0E19rocblas_complex_numIdES1_PKS1_PS1_Ev13rocblas_fill_18rocblas_operation_17rocblas_diagonal_iiT3_T4_lilT5_lili.private_seg_size, 528
	.set _ZL38rocblas_trsm_small_left_device_sharedBILi32ELi32ELb0E19rocblas_complex_numIdES1_PKS1_PS1_Ev13rocblas_fill_18rocblas_operation_17rocblas_diagonal_iiT3_T4_lilT5_lili.uses_vcc, 1
	.set _ZL38rocblas_trsm_small_left_device_sharedBILi32ELi32ELb0E19rocblas_complex_numIdES1_PKS1_PS1_Ev13rocblas_fill_18rocblas_operation_17rocblas_diagonal_iiT3_T4_lilT5_lili.uses_flat_scratch, 0
	.set _ZL38rocblas_trsm_small_left_device_sharedBILi32ELi32ELb0E19rocblas_complex_numIdES1_PKS1_PS1_Ev13rocblas_fill_18rocblas_operation_17rocblas_diagonal_iiT3_T4_lilT5_lili.has_dyn_sized_stack, 0
	.set _ZL38rocblas_trsm_small_left_device_sharedBILi32ELi32ELb0E19rocblas_complex_numIdES1_PKS1_PS1_Ev13rocblas_fill_18rocblas_operation_17rocblas_diagonal_iiT3_T4_lilT5_lili.has_recursion, 0
	.set _ZL38rocblas_trsm_small_left_device_sharedBILi32ELi32ELb0E19rocblas_complex_numIdES1_PKS1_PS1_Ev13rocblas_fill_18rocblas_operation_17rocblas_diagonal_iiT3_T4_lilT5_lili.has_indirect_call, 0
	.section	.AMDGPU.csdata,"",@progbits
; Kernel info:
; codeLenInByte = 2692
; TotalNumSgprs: 47
; NumVgprs: 26
; ScratchSize: 528
; MemoryBound: 0
; FloatMode: 240
; IeeeMode: 1
; LDSByteSize: 32768 bytes/workgroup (compile time only)
; SGPRBlocks: 0
; VGPRBlocks: 16
; NumSGPRsForWavesPerEU: 47
; NumVGPRsForWavesPerEU: 257
; NamedBarCnt: 0
; Occupancy: 3
; WaveLimiterHint : 0
; COMPUTE_PGM_RSRC2:SCRATCH_EN: 1
; COMPUTE_PGM_RSRC2:USER_SGPR: 2
; COMPUTE_PGM_RSRC2:TRAP_HANDLER: 0
; COMPUTE_PGM_RSRC2:TGID_X_EN: 1
; COMPUTE_PGM_RSRC2:TGID_Y_EN: 0
; COMPUTE_PGM_RSRC2:TGID_Z_EN: 1
; COMPUTE_PGM_RSRC2:TIDIG_COMP_CNT: 0
	.section	.text._ZL30rocblas_trsm_small_left_deviceILi32ELi32ELb0E19rocblas_complex_numIdES1_PKS1_PS1_Ev13rocblas_fill_18rocblas_operation_17rocblas_diagonal_iiT3_T4_lilT5_lili,"axG",@progbits,_ZL30rocblas_trsm_small_left_deviceILi32ELi32ELb0E19rocblas_complex_numIdES1_PKS1_PS1_Ev13rocblas_fill_18rocblas_operation_17rocblas_diagonal_iiT3_T4_lilT5_lili,comdat
	.globl	_ZL30rocblas_trsm_small_left_deviceILi32ELi32ELb0E19rocblas_complex_numIdES1_PKS1_PS1_Ev13rocblas_fill_18rocblas_operation_17rocblas_diagonal_iiT3_T4_lilT5_lili ; -- Begin function _ZL30rocblas_trsm_small_left_deviceILi32ELi32ELb0E19rocblas_complex_numIdES1_PKS1_PS1_Ev13rocblas_fill_18rocblas_operation_17rocblas_diagonal_iiT3_T4_lilT5_lili
	.p2align	8
	.type	_ZL30rocblas_trsm_small_left_deviceILi32ELi32ELb0E19rocblas_complex_numIdES1_PKS1_PS1_Ev13rocblas_fill_18rocblas_operation_17rocblas_diagonal_iiT3_T4_lilT5_lili,@function
_ZL30rocblas_trsm_small_left_deviceILi32ELi32ELb0E19rocblas_complex_numIdES1_PKS1_PS1_Ev13rocblas_fill_18rocblas_operation_17rocblas_diagonal_iiT3_T4_lilT5_lili: ; @_ZL30rocblas_trsm_small_left_deviceILi32ELi32ELb0E19rocblas_complex_numIdES1_PKS1_PS1_Ev13rocblas_fill_18rocblas_operation_17rocblas_diagonal_iiT3_T4_lilT5_lili
; %bb.0:
	s_load_b32 s3, s[0:1], 0x68
	s_bfe_u32 s2, ttmp6, 0x40014
	s_lshr_b32 s5, ttmp7, 16
	s_add_co_i32 s2, s2, 1
	s_bfe_u32 s6, ttmp6, 0x40008
	s_mul_i32 s2, s5, s2
	s_getreg_b32 s4, hwreg(HW_REG_IB_STS2, 6, 4)
	s_add_co_i32 s6, s6, s2
	s_cmp_eq_u32 s4, 0
	s_mov_b32 s23, 0
	s_cselect_b32 s20, s5, s6
	s_wait_kmcnt 0x0
	s_cmp_ge_u32 s20, s3
	s_cbranch_scc1 .LBB235_59
; %bb.1:
	s_clause 0x5
	s_load_b32 s26, s[0:1], 0x38
	s_load_b96 s[8:10], s[0:1], 0x50
	s_load_b128 s[12:15], s[0:1], 0x4
	s_load_b32 s6, s[0:1], 0x70
	s_load_b64 s[24:25], s[0:1], 0x60
	s_load_b128 s[16:19], s[0:1], 0x40
	v_mov_b32_e32 v9, 0
	s_mov_b32 s39, 0
                                        ; implicit-def: $sgpr40
                                        ; implicit-def: $sgpr41
	v_dual_lshlrev_b32 v8, 4, v0 :: v_dual_lshlrev_b32 v1, 9, v0
	s_wait_kmcnt 0x0
	s_ashr_i32 s27, s26, 31
	s_ashr_i32 s5, s10, 31
	s_cmp_eq_u32 s12, 0x71
	s_cselect_b32 s2, -1, 0
	s_bfe_u32 s7, ttmp6, 0x4000c
	s_min_i32 s33, s14, 32
	s_add_co_i32 s7, s7, 1
	s_add_co_i32 s14, s6, -1
	s_and_b32 s6, ttmp6, 15
	s_mul_i32 s7, ttmp9, s7
	s_lshl_b64 s[28:29], s[8:9], 4
	s_add_co_i32 s34, s33, -1
	s_add_co_i32 s6, s6, s7
	s_cmp_eq_u32 s4, 0
	s_mov_b32 s4, s10
	s_cselect_b32 s21, ttmp9, s6
	s_delay_alu instid0(SALU_CYCLE_1) | instskip(NEXT) | instid1(SALU_CYCLE_1)
	s_lshl_b32 s22, s21, 5
	v_or_b32_e32 v2, s22, v0
	s_delay_alu instid0(VALU_DEP_1) | instskip(NEXT) | instid1(VALU_DEP_1)
	v_ashrrev_i32_e32 v3, 31, v2
	v_mul_u64_e32 v[2:3], s[4:5], v[2:3]
	s_load_b256 s[4:11], s[0:1], 0x18
	s_wait_xcnt 0x0
	s_sub_co_i32 s0, s15, s22
	s_cmp_ge_u32 s21, s14
	s_cselect_b32 s14, s0, 32
	s_cmp_lg_u32 s13, 0x84
	s_cselect_b32 s35, -1, 0
	s_cmp_lg_u32 s12, 0x6f
	s_get_pc_i64 s[12:13]
	s_add_nc_u64 s[12:13], s[12:13], __const._ZL30rocblas_trsm_small_left_deviceILi32ELi32ELb0E19rocblas_complex_numIdES1_PKS1_PS1_Ev13rocblas_fill_18rocblas_operation_17rocblas_diagonal_iiT3_T4_lilT5_lili.step_sizes@rel64+4
	s_cselect_b32 s36, -1, 0
	s_lshl_b32 s38, s33, 9
	s_or_b32 s37, 0, 8
	s_addk_co_i32 s38, 0xfe00
	s_wait_kmcnt 0x0
	s_lshl_b64 s[0:1], s[10:11], 4
	s_add_nc_u64 s[10:11], s[18:19], s[28:29]
	s_add_nc_u64 s[8:9], s[8:9], s[0:1]
	v_cmp_gt_i32_e64 s0, s33, v0
	v_add_nc_u64_e32 v[4:5], s[8:9], v[8:9]
	v_cmp_gt_i32_e64 s1, s14, v0
	v_add_nc_u32_e32 v9, v8, v1
	s_lshl_b64 s[8:9], s[16:17], 4
	s_lshl_b64 s[14:15], s[24:25], 4
	v_lshl_add_u64 v[10:11], v[2:3], 4, s[10:11]
	v_add_nc_u64_e32 v[12:13], 8, v[4:5]
	s_lshl_b64 s[10:11], s[26:27], 4
	s_delay_alu instid0(VALU_DEP_2)
	v_add_nc_u64_e32 v[14:15], 8, v[10:11]
	s_branch .LBB235_4
.LBB235_2:                              ;   in Loop: Header=BB235_4 Depth=1
	s_add_co_i32 s20, s20, 0x10000
	s_delay_alu instid0(SALU_CYCLE_1)
	s_cmp_ge_u32 s20, s3
	s_cselect_b32 s16, -1, 0
	s_and_not1_b32 s41, s41, exec_lo
	s_or_not1_b32 s16, s16, exec_lo
.LBB235_3:                              ;   in Loop: Header=BB235_4 Depth=1
	s_wait_xcnt 0x0
	s_or_b32 exec_lo, exec_lo, s42
	s_delay_alu instid0(SALU_CYCLE_1) | instskip(NEXT) | instid1(SALU_CYCLE_1)
	s_and_b32 s16, exec_lo, s16
	s_or_b32 s39, s16, s39
	s_and_not1_b32 s16, s40, exec_lo
	s_and_b32 s17, s41, exec_lo
	s_delay_alu instid0(SALU_CYCLE_1)
	s_or_b32 s40, s16, s17
	s_and_not1_b32 exec_lo, exec_lo, s39
	s_cbranch_execz .LBB235_58
.LBB235_4:                              ; =>This Loop Header: Depth=1
                                        ;     Child Loop BB235_6 Depth 2
                                        ;     Child Loop BB235_19 Depth 2
                                        ;       Child Loop BB235_22 Depth 3
                                        ;         Child Loop BB235_23 Depth 4
                                        ;         Child Loop BB235_26 Depth 4
                                        ;           Child Loop BB235_27 Depth 5
                                        ;         Child Loop BB235_31 Depth 4
                                        ;           Child Loop BB235_33 Depth 5
                                        ;     Child Loop BB235_41 Depth 2
                                        ;       Child Loop BB235_44 Depth 3
                                        ;         Child Loop BB235_45 Depth 4
                                        ;         Child Loop BB235_47 Depth 4
                                        ;           Child Loop BB235_48 Depth 5
                                        ;         Child Loop BB235_52 Depth 4
                                        ;           Child Loop BB235_54 Depth 5
	s_mov_b32 s21, s23
	s_and_saveexec_b32 s16, s0
	s_cbranch_execz .LBB235_15
; %bb.5:                                ;   in Loop: Header=BB235_4 Depth=1
	v_mad_nc_u64_u32 v[0:1], s8, s20, v[12:13]
	v_mov_b32_e32 v2, v8
	s_mov_b32 s17, s33
	s_delay_alu instid0(VALU_DEP_2)
	v_mad_u32 v1, s9, s20, v1
.LBB235_6:                              ;   Parent Loop BB235_4 Depth=1
                                        ; =>  This Inner Loop Header: Depth=2
	global_load_b128 v[4:7], v[0:1], off offset:-8
	s_wait_xcnt 0x0
	v_add_nc_u64_e32 v[0:1], s[10:11], v[0:1]
	s_add_co_i32 s17, s17, -1
	s_delay_alu instid0(SALU_CYCLE_1) | instskip(SKIP_2) | instid1(VALU_DEP_1)
	s_cmp_eq_u32 s17, 0
	s_wait_loadcnt 0x0
	v_xor_b32_e32 v3, 0x80000000, v7
	v_cndmask_b32_e64 v7, v7, v3, s2
	ds_store_b128 v2, v[4:7]
	v_add_nc_u32_e32 v2, 0x200, v2
	s_cbranch_scc0 .LBB235_6
; %bb.7:                                ;   in Loop: Header=BB235_4 Depth=1
	s_and_b32 vcc_lo, exec_lo, s35
	s_cbranch_vccz .LBB235_13
; %bb.8:                                ;   in Loop: Header=BB235_4 Depth=1
	ds_load_b128 v[0:3], v9
                                        ; implicit-def: $vgpr6_vgpr7
	s_wait_dscnt 0x0
	v_cmp_ngt_f64_e64 s17, |v[0:1]|, |v[2:3]|
	s_and_saveexec_b32 s18, s17
	s_delay_alu instid0(SALU_CYCLE_1)
	s_xor_b32 s17, exec_lo, s18
	s_cbranch_execz .LBB235_10
; %bb.9:                                ;   in Loop: Header=BB235_4 Depth=1
	v_div_scale_f64 v[4:5], null, v[2:3], v[2:3], v[0:1]
	v_div_scale_f64 v[18:19], vcc_lo, v[0:1], v[2:3], v[0:1]
	s_delay_alu instid0(VALU_DEP_2) | instskip(SKIP_1) | instid1(TRANS32_DEP_1)
	v_rcp_f64_e32 v[6:7], v[4:5]
	v_nop
	v_fma_f64 v[16:17], -v[4:5], v[6:7], 1.0
	s_delay_alu instid0(VALU_DEP_1) | instskip(NEXT) | instid1(VALU_DEP_1)
	v_fmac_f64_e32 v[6:7], v[6:7], v[16:17]
	v_fma_f64 v[16:17], -v[4:5], v[6:7], 1.0
	s_delay_alu instid0(VALU_DEP_1) | instskip(NEXT) | instid1(VALU_DEP_1)
	v_fmac_f64_e32 v[6:7], v[6:7], v[16:17]
	v_mul_f64_e32 v[16:17], v[18:19], v[6:7]
	s_delay_alu instid0(VALU_DEP_1) | instskip(NEXT) | instid1(VALU_DEP_1)
	v_fma_f64 v[4:5], -v[4:5], v[16:17], v[18:19]
	v_div_fmas_f64 v[4:5], v[4:5], v[6:7], v[16:17]
	s_delay_alu instid0(VALU_DEP_1) | instskip(NEXT) | instid1(VALU_DEP_1)
	v_div_fixup_f64 v[4:5], v[4:5], v[2:3], v[0:1]
	v_fmac_f64_e32 v[2:3], v[0:1], v[4:5]
	s_delay_alu instid0(VALU_DEP_1) | instskip(SKIP_1) | instid1(VALU_DEP_2)
	v_div_scale_f64 v[0:1], null, v[2:3], v[2:3], 1.0
	v_div_scale_f64 v[18:19], vcc_lo, 1.0, v[2:3], 1.0
	v_rcp_f64_e32 v[6:7], v[0:1]
	v_nop
	s_delay_alu instid0(TRANS32_DEP_1) | instskip(NEXT) | instid1(VALU_DEP_1)
	v_fma_f64 v[16:17], -v[0:1], v[6:7], 1.0
	v_fmac_f64_e32 v[6:7], v[6:7], v[16:17]
	s_delay_alu instid0(VALU_DEP_1) | instskip(NEXT) | instid1(VALU_DEP_1)
	v_fma_f64 v[16:17], -v[0:1], v[6:7], 1.0
	v_fmac_f64_e32 v[6:7], v[6:7], v[16:17]
	s_delay_alu instid0(VALU_DEP_1) | instskip(NEXT) | instid1(VALU_DEP_1)
	v_mul_f64_e32 v[16:17], v[18:19], v[6:7]
	v_fma_f64 v[0:1], -v[0:1], v[16:17], v[18:19]
	s_delay_alu instid0(VALU_DEP_1) | instskip(SKIP_1) | instid1(VALU_DEP_2)
	v_div_fmas_f64 v[0:1], v[0:1], v[6:7], v[16:17]
	v_add_f64_e32 v[6:7], 0, v[4:5]
	v_div_fixup_f64 v[0:1], v[0:1], v[2:3], 1.0
	v_fma_f64 v[2:3], v[4:5], 0, -1.0
	s_delay_alu instid0(VALU_DEP_2) | instskip(NEXT) | instid1(VALU_DEP_2)
	v_mul_f64_e32 v[4:5], v[6:7], v[0:1]
	v_mul_f64_e32 v[6:7], v[2:3], v[0:1]
                                        ; implicit-def: $vgpr0_vgpr1
.LBB235_10:                             ;   in Loop: Header=BB235_4 Depth=1
	s_and_not1_saveexec_b32 s17, s17
	s_cbranch_execz .LBB235_12
; %bb.11:                               ;   in Loop: Header=BB235_4 Depth=1
	v_div_scale_f64 v[4:5], null, v[0:1], v[0:1], v[2:3]
	v_div_scale_f64 v[18:19], vcc_lo, v[2:3], v[0:1], v[2:3]
	s_delay_alu instid0(VALU_DEP_2) | instskip(SKIP_1) | instid1(TRANS32_DEP_1)
	v_rcp_f64_e32 v[6:7], v[4:5]
	v_nop
	v_fma_f64 v[16:17], -v[4:5], v[6:7], 1.0
	s_delay_alu instid0(VALU_DEP_1) | instskip(NEXT) | instid1(VALU_DEP_1)
	v_fmac_f64_e32 v[6:7], v[6:7], v[16:17]
	v_fma_f64 v[16:17], -v[4:5], v[6:7], 1.0
	s_delay_alu instid0(VALU_DEP_1) | instskip(NEXT) | instid1(VALU_DEP_1)
	v_fmac_f64_e32 v[6:7], v[6:7], v[16:17]
	v_mul_f64_e32 v[16:17], v[18:19], v[6:7]
	s_delay_alu instid0(VALU_DEP_1) | instskip(NEXT) | instid1(VALU_DEP_1)
	v_fma_f64 v[4:5], -v[4:5], v[16:17], v[18:19]
	v_div_fmas_f64 v[4:5], v[4:5], v[6:7], v[16:17]
	s_delay_alu instid0(VALU_DEP_1) | instskip(NEXT) | instid1(VALU_DEP_1)
	v_div_fixup_f64 v[4:5], v[4:5], v[0:1], v[2:3]
	v_fmac_f64_e32 v[0:1], v[2:3], v[4:5]
	s_delay_alu instid0(VALU_DEP_1) | instskip(SKIP_1) | instid1(VALU_DEP_2)
	v_div_scale_f64 v[2:3], null, v[0:1], v[0:1], 1.0
	v_div_scale_f64 v[18:19], vcc_lo, 1.0, v[0:1], 1.0
	v_rcp_f64_e32 v[6:7], v[2:3]
	v_nop
	s_delay_alu instid0(TRANS32_DEP_1) | instskip(NEXT) | instid1(VALU_DEP_1)
	v_fma_f64 v[16:17], -v[2:3], v[6:7], 1.0
	v_fmac_f64_e32 v[6:7], v[6:7], v[16:17]
	s_delay_alu instid0(VALU_DEP_1) | instskip(NEXT) | instid1(VALU_DEP_1)
	v_fma_f64 v[16:17], -v[2:3], v[6:7], 1.0
	v_fmac_f64_e32 v[6:7], v[6:7], v[16:17]
	s_delay_alu instid0(VALU_DEP_1) | instskip(NEXT) | instid1(VALU_DEP_1)
	v_mul_f64_e32 v[16:17], v[18:19], v[6:7]
	v_fma_f64 v[2:3], -v[2:3], v[16:17], v[18:19]
	s_delay_alu instid0(VALU_DEP_1) | instskip(SKIP_1) | instid1(VALU_DEP_2)
	v_div_fmas_f64 v[2:3], v[2:3], v[6:7], v[16:17]
	v_fma_f64 v[6:7], v[4:5], 0, 1.0
	v_div_fixup_f64 v[0:1], v[2:3], v[0:1], 1.0
	v_add_f64_e64 v[2:3], -v[4:5], 0
	s_delay_alu instid0(VALU_DEP_2) | instskip(NEXT) | instid1(VALU_DEP_2)
	v_mul_f64_e32 v[4:5], v[6:7], v[0:1]
	v_mul_f64_e32 v[6:7], v[2:3], v[0:1]
.LBB235_12:                             ;   in Loop: Header=BB235_4 Depth=1
	s_or_b32 exec_lo, exec_lo, s17
	s_branch .LBB235_14
.LBB235_13:                             ;   in Loop: Header=BB235_4 Depth=1
	v_mov_b64_e32 v[6:7], 0
	v_mov_b64_e32 v[4:5], 1.0
.LBB235_14:                             ;   in Loop: Header=BB235_4 Depth=1
	ds_store_b128 v9, v[4:7]
.LBB235_15:                             ;   in Loop: Header=BB235_4 Depth=1
	s_or_b32 exec_lo, exec_lo, s16
	s_mov_b32 s16, -1
	s_or_b32 s41, s41, exec_lo
	s_wait_dscnt 0x0
	; wave barrier
	s_and_saveexec_b32 s42, s1
	s_cbranch_execz .LBB235_3
; %bb.16:                               ;   in Loop: Header=BB235_4 Depth=1
	s_mul_u64 s[16:17], s[24:25], s[20:21]
	s_and_not1_b32 vcc_lo, exec_lo, s36
	v_lshl_add_u64 v[4:5], s[16:17], 4, v[10:11]
	s_mul_u64 s[16:17], s[14:15], s[20:21]
	s_mov_b32 s18, -1
	s_cbranch_vccnz .LBB235_38
; %bb.17:                               ;   in Loop: Header=BB235_4 Depth=1
	v_add_nc_u64_e32 v[6:7], s[16:17], v[14:15]
	s_mov_b32 s21, 0
	s_mov_b32 s18, 0
	s_branch .LBB235_19
.LBB235_18:                             ;   in Loop: Header=BB235_19 Depth=2
	s_cmp_lt_i32 s18, s33
	s_cselect_b32 s19, -1, 0
	s_add_co_i32 s22, s21, 1
	s_cmp_lt_u32 s21, 2
	s_wait_xcnt 0x0
	s_cselect_b32 s21, -1, 0
	s_delay_alu instid0(SALU_CYCLE_1)
	s_and_b32 s19, s19, s21
	s_mov_b32 s21, s22
	s_and_b32 vcc_lo, exec_lo, s19
	s_cbranch_vccz .LBB235_37
.LBB235_19:                             ;   Parent Loop BB235_4 Depth=1
                                        ; =>  This Loop Header: Depth=2
                                        ;       Child Loop BB235_22 Depth 3
                                        ;         Child Loop BB235_23 Depth 4
                                        ;         Child Loop BB235_26 Depth 4
                                        ;           Child Loop BB235_27 Depth 5
                                        ;         Child Loop BB235_31 Depth 4
                                        ;           Child Loop BB235_33 Depth 5
	s_load_b32 s26, s[12:13], s21 offset:0x0 scale_offset
	s_wait_kmcnt 0x0
	s_add_co_i32 s43, s26, -1
	s_delay_alu instid0(SALU_CYCLE_1) | instskip(NEXT) | instid1(SALU_CYCLE_1)
	s_add_co_i32 s19, s43, s18
	s_cmp_ge_i32 s19, s33
	s_cbranch_scc1 .LBB235_18
; %bb.20:                               ;   in Loop: Header=BB235_19 Depth=2
	s_ashr_i32 s19, s18, 31
	s_ashr_i32 s27, s26, 31
	v_lshl_add_u64 v[16:17], s[18:19], 4, v[6:7]
	s_max_i32 s44, s26, 1
	s_lshl_b64 s[28:29], s[26:27], 4
	s_lshl_b32 s19, s18, 9
	s_lshl_b32 s27, s26, 9
	s_mul_i32 s45, s18, 0x210
	s_mul_i32 s46, s26, 0x210
	s_branch .LBB235_22
.LBB235_21:                             ;   in Loop: Header=BB235_22 Depth=3
	v_add_nc_u64_e32 v[16:17], s[28:29], v[16:17]
	s_add_co_i32 s18, s18, s26
	s_add_co_i32 s19, s19, s27
	;; [unrolled: 1-line block ×4, first 2 shown]
	s_cmp_ge_i32 s22, s33
	s_cbranch_scc1 .LBB235_18
.LBB235_22:                             ;   Parent Loop BB235_4 Depth=1
                                        ;     Parent Loop BB235_19 Depth=2
                                        ; =>    This Loop Header: Depth=3
                                        ;         Child Loop BB235_23 Depth 4
                                        ;         Child Loop BB235_26 Depth 4
                                        ;           Child Loop BB235_27 Depth 5
                                        ;         Child Loop BB235_31 Depth 4
                                        ;           Child Loop BB235_33 Depth 5
	s_wait_xcnt 0x0
	v_mov_b64_e32 v[0:1], v[16:17]
	s_mov_b32 s22, 8
	s_mov_b32 s30, s44
.LBB235_23:                             ;   Parent Loop BB235_4 Depth=1
                                        ;     Parent Loop BB235_19 Depth=2
                                        ;       Parent Loop BB235_22 Depth=3
                                        ; =>      This Inner Loop Header: Depth=4
	global_load_b128 v[18:21], v[0:1], off offset:-8
	s_wait_xcnt 0x0
	v_add_nc_u64_e32 v[0:1], 16, v[0:1]
	s_add_co_i32 s30, s30, -1
	s_mov_b32 s31, s22
	s_add_co_i32 s22, s22, 16
	s_cmp_eq_u32 s30, 0
	s_wait_loadcnt 0x0
	v_mul_f64_e32 v[2:3], s[6:7], v[20:21]
	v_mul_f64_e32 v[22:23], s[4:5], v[20:21]
	s_delay_alu instid0(VALU_DEP_2) | instskip(NEXT) | instid1(VALU_DEP_2)
	v_fma_f64 v[20:21], s[4:5], v[18:19], -v[2:3]
	v_fmac_f64_e32 v[22:23], s[6:7], v[18:19]
	scratch_store_b128 off, v[20:23], s31 offset:-8
	s_cbranch_scc0 .LBB235_23
; %bb.24:                               ;   in Loop: Header=BB235_22 Depth=3
	s_cmp_lt_i32 s18, 1
	s_cbranch_scc1 .LBB235_29
; %bb.25:                               ;   in Loop: Header=BB235_22 Depth=3
	s_mov_b32 s22, 0
	s_mov_b32 s30, s19
.LBB235_26:                             ;   Parent Loop BB235_4 Depth=1
                                        ;     Parent Loop BB235_19 Depth=2
                                        ;       Parent Loop BB235_22 Depth=3
                                        ; =>      This Loop Header: Depth=4
                                        ;           Child Loop BB235_27 Depth 5
	v_lshl_add_u64 v[0:1], s[22:23], 4, v[4:5]
	s_wait_xcnt 0x0
	s_mov_b32 s31, s37
	s_mov_b32 s47, s30
	;; [unrolled: 1-line block ×3, first 2 shown]
	global_load_b128 v[0:3], v[0:1], off
.LBB235_27:                             ;   Parent Loop BB235_4 Depth=1
                                        ;     Parent Loop BB235_19 Depth=2
                                        ;       Parent Loop BB235_22 Depth=3
                                        ;         Parent Loop BB235_26 Depth=4
                                        ; =>        This Inner Loop Header: Depth=5
	scratch_load_b128 v[18:21], off, s31 offset:-8
	v_mov_b32_e32 v22, s47
	s_add_co_i32 s48, s48, -1
	s_addk_co_i32 s47, 0x200
	ds_load_b128 v[22:25], v22
	s_wait_loadcnt_dscnt 0x100
	v_mul_f64_e32 v[26:27], v[2:3], v[24:25]
	v_mul_f64_e32 v[24:25], v[0:1], v[24:25]
	s_delay_alu instid0(VALU_DEP_2) | instskip(NEXT) | instid1(VALU_DEP_2)
	v_fma_f64 v[26:27], v[0:1], v[22:23], -v[26:27]
	v_fmac_f64_e32 v[24:25], v[2:3], v[22:23]
	s_wait_loadcnt 0x0
	s_delay_alu instid0(VALU_DEP_2) | instskip(NEXT) | instid1(VALU_DEP_2)
	v_add_f64_e64 v[18:19], v[18:19], -v[26:27]
	v_add_f64_e64 v[20:21], v[20:21], -v[24:25]
	scratch_store_b128 off, v[18:21], s31 offset:-8
	s_wait_xcnt 0x0
	s_add_co_i32 s31, s31, 16
	s_cmp_eq_u32 s48, 0
	s_cbranch_scc0 .LBB235_27
; %bb.28:                               ;   in Loop: Header=BB235_26 Depth=4
	s_add_co_i32 s22, s22, 1
	s_add_co_i32 s30, s30, 16
	s_cmp_eq_u32 s22, s18
	s_cbranch_scc0 .LBB235_26
.LBB235_29:                             ;   in Loop: Header=BB235_22 Depth=3
	s_mov_b32 s22, 0
	s_mov_b32 s47, s45
	s_branch .LBB235_31
.LBB235_30:                             ;   in Loop: Header=BB235_31 Depth=4
	s_mul_i32 s31, s30, 0x210
	s_lshl_b32 s48, s22, 4
	v_mov_b32_e32 v18, s31
	s_ashr_i32 s31, s30, 31
	s_add_co_i32 s22, s22, 1
	s_addk_co_i32 s47, 0x200
	s_cmp_eq_u32 s22, s44
	ds_load_b128 v[18:21], v18
	s_wait_loadcnt_dscnt 0x0
	v_mul_f64_e32 v[22:23], v[20:21], v[2:3]
	v_mul_f64_e32 v[24:25], v[18:19], v[2:3]
	s_delay_alu instid0(VALU_DEP_2) | instskip(NEXT) | instid1(VALU_DEP_2)
	v_fma_f64 v[22:23], v[18:19], v[0:1], -v[22:23]
	v_fmac_f64_e32 v[24:25], v[20:21], v[0:1]
	v_lshl_add_u64 v[0:1], s[30:31], 4, v[4:5]
	scratch_store_b128 off, v[22:25], s48
	global_store_b128 v[0:1], v[22:25], off
	s_cbranch_scc1 .LBB235_21
.LBB235_31:                             ;   Parent Loop BB235_4 Depth=1
                                        ;     Parent Loop BB235_19 Depth=2
                                        ;       Parent Loop BB235_22 Depth=3
                                        ; =>      This Loop Header: Depth=4
                                        ;           Child Loop BB235_33 Depth 5
	s_cmp_lg_u32 s22, 0
	s_cbranch_scc0 .LBB235_35
; %bb.32:                               ;   in Loop: Header=BB235_31 Depth=4
	s_wait_xcnt 0x0
	s_lshl_b32 s31, s22, 4
	s_add_co_i32 s30, s22, s18
	scratch_load_b128 v[0:3], off, s31
	s_mov_b32 s48, s47
	s_mov_b32 s49, s37
	;; [unrolled: 1-line block ×3, first 2 shown]
.LBB235_33:                             ;   Parent Loop BB235_4 Depth=1
                                        ;     Parent Loop BB235_19 Depth=2
                                        ;       Parent Loop BB235_22 Depth=3
                                        ;         Parent Loop BB235_31 Depth=4
                                        ; =>        This Inner Loop Header: Depth=5
	scratch_load_b128 v[18:21], off, s49 offset:-8
	v_mov_b32_e32 v22, s48
	s_add_co_i32 s50, s50, -1
	s_wait_xcnt 0x0
	s_add_co_i32 s49, s49, 16
	s_add_co_i32 s48, s48, 16
	s_cmp_eq_u32 s50, 0
	ds_load_b128 v[22:25], v22
	s_wait_loadcnt_dscnt 0x0
	v_mul_f64_e32 v[26:27], v[24:25], v[20:21]
	v_mul_f64_e32 v[20:21], v[22:23], v[20:21]
	s_delay_alu instid0(VALU_DEP_2) | instskip(NEXT) | instid1(VALU_DEP_2)
	v_fma_f64 v[22:23], v[22:23], v[18:19], -v[26:27]
	v_fmac_f64_e32 v[20:21], v[24:25], v[18:19]
	s_delay_alu instid0(VALU_DEP_2) | instskip(NEXT) | instid1(VALU_DEP_2)
	v_add_f64_e64 v[0:1], v[0:1], -v[22:23]
	v_add_f64_e64 v[2:3], v[2:3], -v[20:21]
	scratch_store_b128 off, v[0:3], s31
	s_cbranch_scc0 .LBB235_33
; %bb.34:                               ;   in Loop: Header=BB235_31 Depth=4
	s_wait_xcnt 0x0
	s_branch .LBB235_30
.LBB235_35:                             ;   in Loop: Header=BB235_31 Depth=4
	s_wait_xcnt 0x0
                                        ; implicit-def: $vgpr0_vgpr1
                                        ; implicit-def: $sgpr30
	s_cbranch_execz .LBB235_30
; %bb.36:                               ;   in Loop: Header=BB235_31 Depth=4
	scratch_load_b128 v[0:3], off, off
	s_mov_b32 s30, s18
	s_branch .LBB235_30
.LBB235_37:                             ;   in Loop: Header=BB235_4 Depth=1
	s_mov_b32 s18, 0
.LBB235_38:                             ;   in Loop: Header=BB235_4 Depth=1
	s_delay_alu instid0(SALU_CYCLE_1)
	s_and_b32 vcc_lo, exec_lo, s18
	s_cbranch_vccz .LBB235_2
; %bb.39:                               ;   in Loop: Header=BB235_4 Depth=1
	v_add_nc_u64_e32 v[6:7], s[16:17], v[14:15]
	s_mov_b32 s21, 0
	s_mov_b32 s16, s34
	s_branch .LBB235_41
.LBB235_40:                             ;   in Loop: Header=BB235_41 Depth=2
	s_cmp_gt_i32 s16, -1
	s_cselect_b32 s17, -1, 0
	s_add_co_i32 s18, s21, 1
	s_cmp_lt_u32 s21, 2
	s_wait_xcnt 0x0
	s_mov_b32 s21, s18
	s_cselect_b32 s19, -1, 0
	s_delay_alu instid0(SALU_CYCLE_1) | instskip(NEXT) | instid1(SALU_CYCLE_1)
	s_and_b32 s17, s17, s19
	s_and_not1_b32 vcc_lo, exec_lo, s17
	s_cbranch_vccnz .LBB235_2
.LBB235_41:                             ;   Parent Loop BB235_4 Depth=1
                                        ; =>  This Loop Header: Depth=2
                                        ;       Child Loop BB235_44 Depth 3
                                        ;         Child Loop BB235_45 Depth 4
                                        ;         Child Loop BB235_47 Depth 4
                                        ;           Child Loop BB235_48 Depth 5
                                        ;         Child Loop BB235_52 Depth 4
                                        ;           Child Loop BB235_54 Depth 5
	s_load_b32 s22, s[12:13], s21 offset:0x0 scale_offset
	s_wait_kmcnt 0x0
	s_add_co_i32 s28, s22, -1
	s_delay_alu instid0(SALU_CYCLE_1)
	s_cmp_lt_i32 s16, s28
	s_cbranch_scc1 .LBB235_40
; %bb.42:                               ;   in Loop: Header=BB235_41 Depth=2
	s_lshl_b32 s17, s16, 4
	s_lshl_b32 s18, s22, 4
	s_max_i32 s29, s22, 1
	s_add_co_i32 s30, s38, s17
	s_sub_co_i32 s31, 0, s18
	s_mul_i32 s43, s16, 0x210
	s_mul_i32 s44, s22, 0xfffffdf0
	s_branch .LBB235_44
.LBB235_43:                             ;   in Loop: Header=BB235_44 Depth=3
	s_sub_co_i32 s16, s16, s22
	s_add_co_i32 s30, s30, s31
	s_add_co_i32 s43, s43, s44
	s_cmp_lt_i32 s16, s28
	s_cbranch_scc1 .LBB235_40
.LBB235_44:                             ;   Parent Loop BB235_4 Depth=1
                                        ;     Parent Loop BB235_41 Depth=2
                                        ; =>    This Loop Header: Depth=3
                                        ;         Child Loop BB235_45 Depth 4
                                        ;         Child Loop BB235_47 Depth 4
                                        ;           Child Loop BB235_48 Depth 5
                                        ;         Child Loop BB235_52 Depth 4
                                        ;           Child Loop BB235_54 Depth 5
	s_ashr_i32 s17, s16, 31
	s_mov_b32 s18, 8
	s_wait_xcnt 0x0
	v_lshl_add_u64 v[0:1], s[16:17], 4, v[6:7]
	s_mov_b32 s19, s29
.LBB235_45:                             ;   Parent Loop BB235_4 Depth=1
                                        ;     Parent Loop BB235_41 Depth=2
                                        ;       Parent Loop BB235_44 Depth=3
                                        ; =>      This Inner Loop Header: Depth=4
	global_load_b128 v[16:19], v[0:1], off offset:-8
	s_wait_xcnt 0x0
	v_add_nc_u64_e32 v[0:1], -16, v[0:1]
	s_add_co_i32 s19, s19, -1
	s_mov_b32 s26, s18
	s_add_co_i32 s18, s18, 16
	s_cmp_eq_u32 s19, 0
	s_wait_loadcnt 0x0
	v_mul_f64_e32 v[2:3], s[6:7], v[18:19]
	v_mul_f64_e32 v[20:21], s[4:5], v[18:19]
	s_delay_alu instid0(VALU_DEP_2) | instskip(NEXT) | instid1(VALU_DEP_2)
	v_fma_f64 v[18:19], s[4:5], v[16:17], -v[2:3]
	v_fmac_f64_e32 v[20:21], s[6:7], v[16:17]
	scratch_store_b128 off, v[18:21], s26 offset:-8
	s_cbranch_scc0 .LBB235_45
; %bb.46:                               ;   in Loop: Header=BB235_44 Depth=3
	s_cmp_le_i32 s34, s16
	s_wait_xcnt 0x0
	s_mov_b32 s26, s30
	s_mov_b32 s18, s34
	s_cbranch_scc1 .LBB235_50
.LBB235_47:                             ;   Parent Loop BB235_4 Depth=1
                                        ;     Parent Loop BB235_41 Depth=2
                                        ;       Parent Loop BB235_44 Depth=3
                                        ; =>      This Loop Header: Depth=4
                                        ;           Child Loop BB235_48 Depth 5
	s_ashr_i32 s19, s18, 31
	s_mov_b32 s27, s26
	v_lshl_add_u64 v[0:1], s[18:19], 4, v[4:5]
	s_mov_b32 s19, s37
	s_mov_b32 s45, s29
	global_load_b128 v[0:3], v[0:1], off
.LBB235_48:                             ;   Parent Loop BB235_4 Depth=1
                                        ;     Parent Loop BB235_41 Depth=2
                                        ;       Parent Loop BB235_44 Depth=3
                                        ;         Parent Loop BB235_47 Depth=4
                                        ; =>        This Inner Loop Header: Depth=5
	scratch_load_b128 v[16:19], off, s19 offset:-8
	v_mov_b32_e32 v20, s27
	s_add_co_i32 s45, s45, -1
	s_add_co_i32 s27, s27, -16
	ds_load_b128 v[20:23], v20
	s_wait_loadcnt_dscnt 0x100
	v_mul_f64_e32 v[24:25], v[2:3], v[22:23]
	v_mul_f64_e32 v[22:23], v[0:1], v[22:23]
	s_delay_alu instid0(VALU_DEP_2) | instskip(NEXT) | instid1(VALU_DEP_2)
	v_fma_f64 v[24:25], v[0:1], v[20:21], -v[24:25]
	v_fmac_f64_e32 v[22:23], v[2:3], v[20:21]
	s_wait_loadcnt 0x0
	s_delay_alu instid0(VALU_DEP_2) | instskip(NEXT) | instid1(VALU_DEP_2)
	v_add_f64_e64 v[16:17], v[16:17], -v[24:25]
	v_add_f64_e64 v[18:19], v[18:19], -v[22:23]
	scratch_store_b128 off, v[16:19], s19 offset:-8
	s_wait_xcnt 0x0
	s_add_co_i32 s19, s19, 16
	s_cmp_eq_u32 s45, 0
	s_cbranch_scc0 .LBB235_48
; %bb.49:                               ;   in Loop: Header=BB235_47 Depth=4
	s_add_co_i32 s18, s18, -1
	s_addk_co_i32 s26, 0xfe00
	s_cmp_le_i32 s18, s16
	s_cbranch_scc0 .LBB235_47
.LBB235_50:                             ;   in Loop: Header=BB235_44 Depth=3
	s_mov_b32 s45, 0
	s_mov_b32 s46, s43
	s_branch .LBB235_52
.LBB235_51:                             ;   in Loop: Header=BB235_52 Depth=4
	s_wait_xcnt 0x1
	s_mulk_i32 s26, 0x210
	s_add_co_i32 s46, s46, -16
	v_mov_b32_e32 v16, s26
	s_lshl_b32 s26, s45, 4
	s_add_co_i32 s45, s45, 1
	s_delay_alu instid0(SALU_CYCLE_1)
	s_cmp_eq_u32 s45, s29
	ds_load_b128 v[16:19], v16
	s_wait_loadcnt_dscnt 0x0
	s_wait_xcnt 0x0
	v_mul_f64_e32 v[20:21], v[18:19], v[2:3]
	v_mul_f64_e32 v[22:23], v[16:17], v[2:3]
	s_delay_alu instid0(VALU_DEP_2) | instskip(NEXT) | instid1(VALU_DEP_2)
	v_fma_f64 v[20:21], v[16:17], v[0:1], -v[20:21]
	v_fmac_f64_e32 v[22:23], v[18:19], v[0:1]
	v_lshl_add_u64 v[0:1], s[18:19], 4, v[4:5]
	scratch_store_b128 off, v[20:23], s26
	global_store_b128 v[0:1], v[20:23], off
	s_cbranch_scc1 .LBB235_43
.LBB235_52:                             ;   Parent Loop BB235_4 Depth=1
                                        ;     Parent Loop BB235_41 Depth=2
                                        ;       Parent Loop BB235_44 Depth=3
                                        ; =>      This Loop Header: Depth=4
                                        ;           Child Loop BB235_54 Depth 5
	s_cmp_lg_u32 s45, 0
	s_cbranch_scc0 .LBB235_56
; %bb.53:                               ;   in Loop: Header=BB235_52 Depth=4
	s_lshl_b32 s18, s45, 4
	s_mov_b32 s19, s37
	scratch_load_b128 v[0:3], off, s18
	s_mov_b32 s26, s46
	s_mov_b32 s27, s45
.LBB235_54:                             ;   Parent Loop BB235_4 Depth=1
                                        ;     Parent Loop BB235_41 Depth=2
                                        ;       Parent Loop BB235_44 Depth=3
                                        ;         Parent Loop BB235_52 Depth=4
                                        ; =>        This Inner Loop Header: Depth=5
	scratch_load_b128 v[16:19], off, s19 offset:-8
	v_mov_b32_e32 v20, s26
	s_add_co_i32 s27, s27, -1
	s_addk_co_i32 s26, 0xfe00
	s_wait_xcnt 0x0
	s_add_co_i32 s19, s19, 16
	s_cmp_eq_u32 s27, 0
	ds_load_b128 v[20:23], v20
	s_wait_loadcnt_dscnt 0x0
	v_mul_f64_e32 v[24:25], v[22:23], v[18:19]
	v_mul_f64_e32 v[18:19], v[20:21], v[18:19]
	s_delay_alu instid0(VALU_DEP_2) | instskip(NEXT) | instid1(VALU_DEP_2)
	v_fma_f64 v[20:21], v[20:21], v[16:17], -v[24:25]
	v_fmac_f64_e32 v[18:19], v[22:23], v[16:17]
	s_delay_alu instid0(VALU_DEP_2) | instskip(NEXT) | instid1(VALU_DEP_2)
	v_add_f64_e64 v[0:1], v[0:1], -v[20:21]
	v_add_f64_e64 v[2:3], v[2:3], -v[18:19]
	scratch_store_b128 off, v[0:3], s18
	s_cbranch_scc0 .LBB235_54
; %bb.55:                               ;   in Loop: Header=BB235_52 Depth=4
	s_sub_co_i32 s26, s16, s45
	s_delay_alu instid0(SALU_CYCLE_1)
	s_ashr_i32 s27, s26, 31
	s_wait_xcnt 0x0
	s_mov_b64 s[18:19], s[26:27]
	s_branch .LBB235_51
.LBB235_56:                             ;   in Loop: Header=BB235_52 Depth=4
                                        ; implicit-def: $vgpr0_vgpr1
                                        ; implicit-def: $sgpr26
                                        ; implicit-def: $sgpr18_sgpr19
	s_cbranch_execz .LBB235_51
; %bb.57:                               ;   in Loop: Header=BB235_52 Depth=4
	scratch_load_b128 v[0:3], off, off
	s_mov_b64 s[18:19], s[16:17]
	s_mov_b32 s26, s16
	s_branch .LBB235_51
.LBB235_58:
	s_or_b32 exec_lo, exec_lo, s39
	s_and_saveexec_b32 s0, s40
	s_delay_alu instid0(SALU_CYCLE_1)
	s_xor_b32 s0, exec_lo, s0
.LBB235_59:
	s_endpgm
	.section	.rodata,"a",@progbits
	.p2align	6, 0x0
	.amdhsa_kernel _ZL30rocblas_trsm_small_left_deviceILi32ELi32ELb0E19rocblas_complex_numIdES1_PKS1_PS1_Ev13rocblas_fill_18rocblas_operation_17rocblas_diagonal_iiT3_T4_lilT5_lili
		.amdhsa_group_segment_fixed_size 16384
		.amdhsa_private_segment_fixed_size 528
		.amdhsa_kernarg_size 368
		.amdhsa_user_sgpr_count 2
		.amdhsa_user_sgpr_dispatch_ptr 0
		.amdhsa_user_sgpr_queue_ptr 0
		.amdhsa_user_sgpr_kernarg_segment_ptr 1
		.amdhsa_user_sgpr_dispatch_id 0
		.amdhsa_user_sgpr_kernarg_preload_length 0
		.amdhsa_user_sgpr_kernarg_preload_offset 0
		.amdhsa_user_sgpr_private_segment_size 0
		.amdhsa_wavefront_size32 1
		.amdhsa_uses_dynamic_stack 0
		.amdhsa_enable_private_segment 1
		.amdhsa_system_sgpr_workgroup_id_x 1
		.amdhsa_system_sgpr_workgroup_id_y 0
		.amdhsa_system_sgpr_workgroup_id_z 1
		.amdhsa_system_sgpr_workgroup_info 0
		.amdhsa_system_vgpr_workitem_id 0
		.amdhsa_next_free_vgpr 161
		.amdhsa_next_free_sgpr 51
		.amdhsa_named_barrier_count 0
		.amdhsa_reserve_vcc 1
		.amdhsa_float_round_mode_32 0
		.amdhsa_float_round_mode_16_64 0
		.amdhsa_float_denorm_mode_32 3
		.amdhsa_float_denorm_mode_16_64 3
		.amdhsa_fp16_overflow 0
		.amdhsa_memory_ordered 1
		.amdhsa_forward_progress 1
		.amdhsa_inst_pref_size 21
		.amdhsa_round_robin_scheduling 0
		.amdhsa_exception_fp_ieee_invalid_op 0
		.amdhsa_exception_fp_denorm_src 0
		.amdhsa_exception_fp_ieee_div_zero 0
		.amdhsa_exception_fp_ieee_overflow 0
		.amdhsa_exception_fp_ieee_underflow 0
		.amdhsa_exception_fp_ieee_inexact 0
		.amdhsa_exception_int_div_zero 0
	.end_amdhsa_kernel
	.section	.text._ZL30rocblas_trsm_small_left_deviceILi32ELi32ELb0E19rocblas_complex_numIdES1_PKS1_PS1_Ev13rocblas_fill_18rocblas_operation_17rocblas_diagonal_iiT3_T4_lilT5_lili,"axG",@progbits,_ZL30rocblas_trsm_small_left_deviceILi32ELi32ELb0E19rocblas_complex_numIdES1_PKS1_PS1_Ev13rocblas_fill_18rocblas_operation_17rocblas_diagonal_iiT3_T4_lilT5_lili,comdat
.Lfunc_end235:
	.size	_ZL30rocblas_trsm_small_left_deviceILi32ELi32ELb0E19rocblas_complex_numIdES1_PKS1_PS1_Ev13rocblas_fill_18rocblas_operation_17rocblas_diagonal_iiT3_T4_lilT5_lili, .Lfunc_end235-_ZL30rocblas_trsm_small_left_deviceILi32ELi32ELb0E19rocblas_complex_numIdES1_PKS1_PS1_Ev13rocblas_fill_18rocblas_operation_17rocblas_diagonal_iiT3_T4_lilT5_lili
                                        ; -- End function
	.set _ZL30rocblas_trsm_small_left_deviceILi32ELi32ELb0E19rocblas_complex_numIdES1_PKS1_PS1_Ev13rocblas_fill_18rocblas_operation_17rocblas_diagonal_iiT3_T4_lilT5_lili.num_vgpr, 28
	.set _ZL30rocblas_trsm_small_left_deviceILi32ELi32ELb0E19rocblas_complex_numIdES1_PKS1_PS1_Ev13rocblas_fill_18rocblas_operation_17rocblas_diagonal_iiT3_T4_lilT5_lili.num_agpr, 0
	.set _ZL30rocblas_trsm_small_left_deviceILi32ELi32ELb0E19rocblas_complex_numIdES1_PKS1_PS1_Ev13rocblas_fill_18rocblas_operation_17rocblas_diagonal_iiT3_T4_lilT5_lili.numbered_sgpr, 51
	.set _ZL30rocblas_trsm_small_left_deviceILi32ELi32ELb0E19rocblas_complex_numIdES1_PKS1_PS1_Ev13rocblas_fill_18rocblas_operation_17rocblas_diagonal_iiT3_T4_lilT5_lili.num_named_barrier, 0
	.set _ZL30rocblas_trsm_small_left_deviceILi32ELi32ELb0E19rocblas_complex_numIdES1_PKS1_PS1_Ev13rocblas_fill_18rocblas_operation_17rocblas_diagonal_iiT3_T4_lilT5_lili.private_seg_size, 528
	.set _ZL30rocblas_trsm_small_left_deviceILi32ELi32ELb0E19rocblas_complex_numIdES1_PKS1_PS1_Ev13rocblas_fill_18rocblas_operation_17rocblas_diagonal_iiT3_T4_lilT5_lili.uses_vcc, 1
	.set _ZL30rocblas_trsm_small_left_deviceILi32ELi32ELb0E19rocblas_complex_numIdES1_PKS1_PS1_Ev13rocblas_fill_18rocblas_operation_17rocblas_diagonal_iiT3_T4_lilT5_lili.uses_flat_scratch, 0
	.set _ZL30rocblas_trsm_small_left_deviceILi32ELi32ELb0E19rocblas_complex_numIdES1_PKS1_PS1_Ev13rocblas_fill_18rocblas_operation_17rocblas_diagonal_iiT3_T4_lilT5_lili.has_dyn_sized_stack, 0
	.set _ZL30rocblas_trsm_small_left_deviceILi32ELi32ELb0E19rocblas_complex_numIdES1_PKS1_PS1_Ev13rocblas_fill_18rocblas_operation_17rocblas_diagonal_iiT3_T4_lilT5_lili.has_recursion, 0
	.set _ZL30rocblas_trsm_small_left_deviceILi32ELi32ELb0E19rocblas_complex_numIdES1_PKS1_PS1_Ev13rocblas_fill_18rocblas_operation_17rocblas_diagonal_iiT3_T4_lilT5_lili.has_indirect_call, 0
	.section	.AMDGPU.csdata,"",@progbits
; Kernel info:
; codeLenInByte = 2688
; TotalNumSgprs: 53
; NumVgprs: 28
; ScratchSize: 528
; MemoryBound: 0
; FloatMode: 240
; IeeeMode: 1
; LDSByteSize: 16384 bytes/workgroup (compile time only)
; SGPRBlocks: 0
; VGPRBlocks: 10
; NumSGPRsForWavesPerEU: 53
; NumVGPRsForWavesPerEU: 161
; NamedBarCnt: 0
; Occupancy: 5
; WaveLimiterHint : 0
; COMPUTE_PGM_RSRC2:SCRATCH_EN: 1
; COMPUTE_PGM_RSRC2:USER_SGPR: 2
; COMPUTE_PGM_RSRC2:TRAP_HANDLER: 0
; COMPUTE_PGM_RSRC2:TGID_X_EN: 1
; COMPUTE_PGM_RSRC2:TGID_Y_EN: 0
; COMPUTE_PGM_RSRC2:TGID_Z_EN: 1
; COMPUTE_PGM_RSRC2:TIDIG_COMP_CNT: 0
	.section	.text._ZL38rocblas_trsm_small_left_device_sharedBILi32ELi32ELb1E19rocblas_complex_numIdES1_PKS1_PS1_Ev13rocblas_fill_18rocblas_operation_17rocblas_diagonal_iiT3_T4_lilT5_lili,"axG",@progbits,_ZL38rocblas_trsm_small_left_device_sharedBILi32ELi32ELb1E19rocblas_complex_numIdES1_PKS1_PS1_Ev13rocblas_fill_18rocblas_operation_17rocblas_diagonal_iiT3_T4_lilT5_lili,comdat
	.globl	_ZL38rocblas_trsm_small_left_device_sharedBILi32ELi32ELb1E19rocblas_complex_numIdES1_PKS1_PS1_Ev13rocblas_fill_18rocblas_operation_17rocblas_diagonal_iiT3_T4_lilT5_lili ; -- Begin function _ZL38rocblas_trsm_small_left_device_sharedBILi32ELi32ELb1E19rocblas_complex_numIdES1_PKS1_PS1_Ev13rocblas_fill_18rocblas_operation_17rocblas_diagonal_iiT3_T4_lilT5_lili
	.p2align	8
	.type	_ZL38rocblas_trsm_small_left_device_sharedBILi32ELi32ELb1E19rocblas_complex_numIdES1_PKS1_PS1_Ev13rocblas_fill_18rocblas_operation_17rocblas_diagonal_iiT3_T4_lilT5_lili,@function
_ZL38rocblas_trsm_small_left_device_sharedBILi32ELi32ELb1E19rocblas_complex_numIdES1_PKS1_PS1_Ev13rocblas_fill_18rocblas_operation_17rocblas_diagonal_iiT3_T4_lilT5_lili: ; @_ZL38rocblas_trsm_small_left_device_sharedBILi32ELi32ELb1E19rocblas_complex_numIdES1_PKS1_PS1_Ev13rocblas_fill_18rocblas_operation_17rocblas_diagonal_iiT3_T4_lilT5_lili
; %bb.0:
	s_load_b32 s3, s[0:1], 0x68
	s_bfe_u32 s2, ttmp6, 0x40014
	s_lshr_b32 s5, ttmp7, 16
	s_add_co_i32 s2, s2, 1
	s_bfe_u32 s6, ttmp6, 0x40008
	s_mul_i32 s2, s5, s2
	s_getreg_b32 s4, hwreg(HW_REG_IB_STS2, 6, 4)
	s_add_co_i32 s6, s6, s2
	s_cmp_eq_u32 s4, 0
	s_mov_b32 s21, 0
	s_cselect_b32 s20, s5, s6
	s_wait_kmcnt 0x0
	s_cmp_ge_u32 s20, s3
	s_cbranch_scc1 .LBB236_62
; %bb.1:
	s_clause 0x5
	s_load_b32 s26, s[0:1], 0x38
	s_load_b96 s[16:18], s[0:1], 0x50
	s_load_b128 s[8:11], s[0:1], 0x4
	s_load_b32 s5, s[0:1], 0x70
	s_load_b64 s[28:29], s[0:1], 0x60
	s_load_b128 s[12:15], s[0:1], 0x40
	v_dual_mov_b32 v9, 0 :: v_dual_lshlrev_b32 v8, 4, v0
	s_wait_kmcnt 0x0
	s_ashr_i32 s27, s26, 31
	s_ashr_i32 s25, s18, 31
	s_cmp_eq_u32 s8, 0x71
	s_cselect_b32 s2, -1, 0
	s_bfe_u32 s6, ttmp6, 0x4000c
	s_min_i32 s19, s10, 32
	s_add_co_i32 s6, s6, 1
	s_and_b32 s7, ttmp6, 15
	s_mul_i32 s6, ttmp9, s6
	s_add_co_i32 s5, s5, -1
	s_add_co_i32 s22, s19, -1
	s_add_co_i32 s7, s7, s6
	s_cmp_eq_u32 s4, 0
	s_cselect_b32 s6, ttmp9, s7
	s_delay_alu instid0(SALU_CYCLE_1) | instskip(NEXT) | instid1(SALU_CYCLE_1)
	s_lshl_b32 s4, s6, 5
	s_sub_co_i32 s7, s11, s4
	s_cmp_ge_u32 s6, s5
	s_cselect_b32 s33, s7, 32
	s_ashr_i32 s5, s4, 31
	s_cmp_lg_u32 s9, 0x84
	v_cmp_gt_i32_e32 vcc_lo, s33, v0
	s_cselect_b32 s23, -1, 0
	s_cmp_gt_i32 s10, 0
	s_cselect_b32 s34, -1, 0
	s_cmp_lg_u32 s8, 0x6f
	s_cselect_b32 s24, -1, 0
	s_lshl_b64 s[30:31], s[4:5], 4
	s_lshl_b64 s[4:5], s[16:17], 4
	v_or_b32_e32 v1, s30, v8
	s_add_nc_u64 s[4:5], s[14:15], s[4:5]
	s_lshl_b64 s[14:15], s[28:29], 4
	s_delay_alu instid0(VALU_DEP_1) | instskip(SKIP_1) | instid1(VALU_DEP_1)
	v_mad_nc_u64_u32 v[10:11], v1, s18, s[4:5]
	s_load_b256 s[4:11], s[0:1], 0x18
	v_mad_u32 v2, s31, s18, v11
	s_or_b32 s18, 0, 8
	s_wait_kmcnt 0x0
	s_lshl_b64 s[0:1], s[10:11], 4
	s_delay_alu instid0(VALU_DEP_1)
	v_mad_u32 v11, v1, s25, v2
	s_add_nc_u64 s[0:1], s[8:9], s[0:1]
	v_lshlrev_b32_e32 v1, 9, v0
	v_add_nc_u64_e32 v[2:3], s[0:1], v[8:9]
	v_or_b32_e32 v9, 0x4000, v8
	v_cmp_gt_i32_e64 s0, s19, v0
	s_lshl_b32 s25, s19, 4
	v_add_nc_u32_e32 v16, v8, v1
	s_and_b32 s1, vcc_lo, s34
	s_lshl_b64 s[8:9], s[12:13], 4
	v_add_nc_u64_e32 v[12:13], 8, v[2:3]
	v_add_nc_u64_e32 v[14:15], 8, v[10:11]
	s_lshl_b64 s[10:11], s[26:27], 4
	s_add_co_i32 s25, s25, -16
	s_get_pc_i64 s[12:13]
	s_add_nc_u64 s[12:13], s[12:13], __const._ZL38rocblas_trsm_small_left_device_sharedBILi32ELi32ELb1E19rocblas_complex_numIdES1_PKS1_PS1_Ev13rocblas_fill_18rocblas_operation_17rocblas_diagonal_iiT3_T4_lilT5_lili.step_sizes@rel64+4
	s_branch .LBB236_3
.LBB236_2:                              ;   in Loop: Header=BB236_3 Depth=1
	s_or_b32 exec_lo, exec_lo, s26
	s_add_co_i32 s20, s20, 0x10000
	s_delay_alu instid0(SALU_CYCLE_1)
	s_cmp_lt_u32 s20, s3
	s_cbranch_scc0 .LBB236_62
.LBB236_3:                              ; =>This Loop Header: Depth=1
                                        ;     Child Loop BB236_5 Depth 2
                                        ;     Child Loop BB236_16 Depth 2
	;; [unrolled: 1-line block ×3, first 2 shown]
                                        ;       Child Loop BB236_23 Depth 3
                                        ;         Child Loop BB236_24 Depth 4
                                        ;         Child Loop BB236_26 Depth 4
                                        ;           Child Loop BB236_27 Depth 5
                                        ;         Child Loop BB236_31 Depth 4
                                        ;           Child Loop BB236_33 Depth 5
                                        ;     Child Loop BB236_41 Depth 2
                                        ;       Child Loop BB236_44 Depth 3
                                        ;         Child Loop BB236_45 Depth 4
                                        ;         Child Loop BB236_48 Depth 4
                                        ;           Child Loop BB236_49 Depth 5
                                        ;         Child Loop BB236_53 Depth 4
                                        ;           Child Loop BB236_55 Depth 5
                                        ;     Child Loop BB236_61 Depth 2
	s_and_saveexec_b32 s16, s0
	s_cbranch_execz .LBB236_14
; %bb.4:                                ;   in Loop: Header=BB236_3 Depth=1
	v_mad_nc_u64_u32 v[0:1], s8, s20, v[12:13]
	v_mov_b32_e32 v2, v8
	s_mov_b32 s17, s19
	s_delay_alu instid0(VALU_DEP_2)
	v_mad_u32 v1, s9, s20, v1
.LBB236_5:                              ;   Parent Loop BB236_3 Depth=1
                                        ; =>  This Inner Loop Header: Depth=2
	global_load_b128 v[4:7], v[0:1], off offset:-8
	s_wait_xcnt 0x0
	v_add_nc_u64_e32 v[0:1], s[10:11], v[0:1]
	s_add_co_i32 s17, s17, -1
	s_delay_alu instid0(SALU_CYCLE_1) | instskip(SKIP_2) | instid1(VALU_DEP_1)
	s_cmp_eq_u32 s17, 0
	s_wait_loadcnt 0x0
	v_xor_b32_e32 v3, 0x80000000, v7
	v_cndmask_b32_e64 v7, v7, v3, s2
	ds_store_b128 v2, v[4:7]
	v_add_nc_u32_e32 v2, 0x200, v2
	s_cbranch_scc0 .LBB236_5
; %bb.6:                                ;   in Loop: Header=BB236_3 Depth=1
	s_and_b32 vcc_lo, exec_lo, s23
	s_cbranch_vccz .LBB236_12
; %bb.7:                                ;   in Loop: Header=BB236_3 Depth=1
	ds_load_b128 v[0:3], v16
                                        ; implicit-def: $vgpr6_vgpr7
	s_wait_dscnt 0x0
	v_cmp_ngt_f64_e64 s17, |v[0:1]|, |v[2:3]|
	s_and_saveexec_b32 s26, s17
	s_delay_alu instid0(SALU_CYCLE_1)
	s_xor_b32 s17, exec_lo, s26
	s_cbranch_execz .LBB236_9
; %bb.8:                                ;   in Loop: Header=BB236_3 Depth=1
	v_div_scale_f64 v[4:5], null, v[2:3], v[2:3], v[0:1]
	v_div_scale_f64 v[20:21], vcc_lo, v[0:1], v[2:3], v[0:1]
	s_delay_alu instid0(VALU_DEP_2) | instskip(SKIP_1) | instid1(TRANS32_DEP_1)
	v_rcp_f64_e32 v[6:7], v[4:5]
	v_nop
	v_fma_f64 v[18:19], -v[4:5], v[6:7], 1.0
	s_delay_alu instid0(VALU_DEP_1) | instskip(NEXT) | instid1(VALU_DEP_1)
	v_fmac_f64_e32 v[6:7], v[6:7], v[18:19]
	v_fma_f64 v[18:19], -v[4:5], v[6:7], 1.0
	s_delay_alu instid0(VALU_DEP_1) | instskip(NEXT) | instid1(VALU_DEP_1)
	v_fmac_f64_e32 v[6:7], v[6:7], v[18:19]
	v_mul_f64_e32 v[18:19], v[20:21], v[6:7]
	s_delay_alu instid0(VALU_DEP_1) | instskip(NEXT) | instid1(VALU_DEP_1)
	v_fma_f64 v[4:5], -v[4:5], v[18:19], v[20:21]
	v_div_fmas_f64 v[4:5], v[4:5], v[6:7], v[18:19]
	s_delay_alu instid0(VALU_DEP_1) | instskip(NEXT) | instid1(VALU_DEP_1)
	v_div_fixup_f64 v[4:5], v[4:5], v[2:3], v[0:1]
	v_fmac_f64_e32 v[2:3], v[0:1], v[4:5]
	s_delay_alu instid0(VALU_DEP_1) | instskip(SKIP_1) | instid1(VALU_DEP_2)
	v_div_scale_f64 v[0:1], null, v[2:3], v[2:3], 1.0
	v_div_scale_f64 v[20:21], vcc_lo, 1.0, v[2:3], 1.0
	v_rcp_f64_e32 v[6:7], v[0:1]
	v_nop
	s_delay_alu instid0(TRANS32_DEP_1) | instskip(NEXT) | instid1(VALU_DEP_1)
	v_fma_f64 v[18:19], -v[0:1], v[6:7], 1.0
	v_fmac_f64_e32 v[6:7], v[6:7], v[18:19]
	s_delay_alu instid0(VALU_DEP_1) | instskip(NEXT) | instid1(VALU_DEP_1)
	v_fma_f64 v[18:19], -v[0:1], v[6:7], 1.0
	v_fmac_f64_e32 v[6:7], v[6:7], v[18:19]
	s_delay_alu instid0(VALU_DEP_1) | instskip(NEXT) | instid1(VALU_DEP_1)
	v_mul_f64_e32 v[18:19], v[20:21], v[6:7]
	v_fma_f64 v[0:1], -v[0:1], v[18:19], v[20:21]
	s_delay_alu instid0(VALU_DEP_1) | instskip(SKIP_1) | instid1(VALU_DEP_2)
	v_div_fmas_f64 v[0:1], v[0:1], v[6:7], v[18:19]
	v_add_f64_e32 v[6:7], 0, v[4:5]
	v_div_fixup_f64 v[0:1], v[0:1], v[2:3], 1.0
	v_fma_f64 v[2:3], v[4:5], 0, -1.0
	s_delay_alu instid0(VALU_DEP_2) | instskip(NEXT) | instid1(VALU_DEP_2)
	v_mul_f64_e32 v[4:5], v[6:7], v[0:1]
	v_mul_f64_e32 v[6:7], v[2:3], v[0:1]
                                        ; implicit-def: $vgpr0_vgpr1
.LBB236_9:                              ;   in Loop: Header=BB236_3 Depth=1
	s_and_not1_saveexec_b32 s17, s17
	s_cbranch_execz .LBB236_11
; %bb.10:                               ;   in Loop: Header=BB236_3 Depth=1
	v_div_scale_f64 v[4:5], null, v[0:1], v[0:1], v[2:3]
	v_div_scale_f64 v[20:21], vcc_lo, v[2:3], v[0:1], v[2:3]
	s_delay_alu instid0(VALU_DEP_2) | instskip(SKIP_1) | instid1(TRANS32_DEP_1)
	v_rcp_f64_e32 v[6:7], v[4:5]
	v_nop
	v_fma_f64 v[18:19], -v[4:5], v[6:7], 1.0
	s_delay_alu instid0(VALU_DEP_1) | instskip(NEXT) | instid1(VALU_DEP_1)
	v_fmac_f64_e32 v[6:7], v[6:7], v[18:19]
	v_fma_f64 v[18:19], -v[4:5], v[6:7], 1.0
	s_delay_alu instid0(VALU_DEP_1) | instskip(NEXT) | instid1(VALU_DEP_1)
	v_fmac_f64_e32 v[6:7], v[6:7], v[18:19]
	v_mul_f64_e32 v[18:19], v[20:21], v[6:7]
	s_delay_alu instid0(VALU_DEP_1) | instskip(NEXT) | instid1(VALU_DEP_1)
	v_fma_f64 v[4:5], -v[4:5], v[18:19], v[20:21]
	v_div_fmas_f64 v[4:5], v[4:5], v[6:7], v[18:19]
	s_delay_alu instid0(VALU_DEP_1) | instskip(NEXT) | instid1(VALU_DEP_1)
	v_div_fixup_f64 v[4:5], v[4:5], v[0:1], v[2:3]
	v_fmac_f64_e32 v[0:1], v[2:3], v[4:5]
	s_delay_alu instid0(VALU_DEP_1) | instskip(SKIP_1) | instid1(VALU_DEP_2)
	v_div_scale_f64 v[2:3], null, v[0:1], v[0:1], 1.0
	v_div_scale_f64 v[20:21], vcc_lo, 1.0, v[0:1], 1.0
	v_rcp_f64_e32 v[6:7], v[2:3]
	v_nop
	s_delay_alu instid0(TRANS32_DEP_1) | instskip(NEXT) | instid1(VALU_DEP_1)
	v_fma_f64 v[18:19], -v[2:3], v[6:7], 1.0
	v_fmac_f64_e32 v[6:7], v[6:7], v[18:19]
	s_delay_alu instid0(VALU_DEP_1) | instskip(NEXT) | instid1(VALU_DEP_1)
	v_fma_f64 v[18:19], -v[2:3], v[6:7], 1.0
	v_fmac_f64_e32 v[6:7], v[6:7], v[18:19]
	s_delay_alu instid0(VALU_DEP_1) | instskip(NEXT) | instid1(VALU_DEP_1)
	v_mul_f64_e32 v[18:19], v[20:21], v[6:7]
	v_fma_f64 v[2:3], -v[2:3], v[18:19], v[20:21]
	s_delay_alu instid0(VALU_DEP_1) | instskip(SKIP_1) | instid1(VALU_DEP_2)
	v_div_fmas_f64 v[2:3], v[2:3], v[6:7], v[18:19]
	v_fma_f64 v[6:7], v[4:5], 0, 1.0
	v_div_fixup_f64 v[0:1], v[2:3], v[0:1], 1.0
	v_add_f64_e64 v[2:3], -v[4:5], 0
	s_delay_alu instid0(VALU_DEP_2) | instskip(NEXT) | instid1(VALU_DEP_2)
	v_mul_f64_e32 v[4:5], v[6:7], v[0:1]
	v_mul_f64_e32 v[6:7], v[2:3], v[0:1]
.LBB236_11:                             ;   in Loop: Header=BB236_3 Depth=1
	s_or_b32 exec_lo, exec_lo, s17
	s_branch .LBB236_13
.LBB236_12:                             ;   in Loop: Header=BB236_3 Depth=1
	v_mov_b64_e32 v[6:7], 0
	v_mov_b64_e32 v[4:5], 1.0
.LBB236_13:                             ;   in Loop: Header=BB236_3 Depth=1
	ds_store_b128 v16, v[4:7]
.LBB236_14:                             ;   in Loop: Header=BB236_3 Depth=1
	s_or_b32 exec_lo, exec_lo, s16
	s_mul_u64 s[16:17], s[14:15], s[20:21]
	s_and_saveexec_b32 s26, s1
	s_cbranch_execz .LBB236_17
; %bb.15:                               ;   in Loop: Header=BB236_3 Depth=1
	v_add_nc_u64_e32 v[0:1], s[16:17], v[14:15]
	v_mov_b32_e32 v2, v9
	s_mov_b32 s27, s19
.LBB236_16:                             ;   Parent Loop BB236_3 Depth=1
                                        ; =>  This Inner Loop Header: Depth=2
	global_load_b128 v[4:7], v[0:1], off offset:-8
	s_wait_xcnt 0x0
	v_add_nc_u64_e32 v[0:1], 16, v[0:1]
	s_add_co_i32 s27, s27, -1
	s_delay_alu instid0(SALU_CYCLE_1) | instskip(SKIP_3) | instid1(VALU_DEP_2)
	s_cmp_lg_u32 s27, 0
	s_wait_loadcnt 0x0
	v_mul_f64_e32 v[18:19], s[6:7], v[6:7]
	v_mul_f64_e32 v[20:21], s[4:5], v[6:7]
	v_fma_f64 v[18:19], s[4:5], v[4:5], -v[18:19]
	s_delay_alu instid0(VALU_DEP_2)
	v_fmac_f64_e32 v[20:21], s[6:7], v[4:5]
	ds_store_b128 v2, v[18:21]
	v_add_nc_u32_e32 v2, 0x200, v2
	s_cbranch_scc1 .LBB236_16
.LBB236_17:                             ;   in Loop: Header=BB236_3 Depth=1
	s_or_b32 exec_lo, exec_lo, s26
	s_delay_alu instid0(SALU_CYCLE_1)
	s_and_not1_b32 vcc_lo, exec_lo, s24
	s_mov_b32 s26, -1
	s_wait_dscnt 0x0
	; wave barrier
	s_cbranch_vccnz .LBB236_38
; %bb.18:                               ;   in Loop: Header=BB236_3 Depth=1
	s_mov_b32 s27, 0
	s_mov_b32 s26, s22
	s_branch .LBB236_20
.LBB236_19:                             ;   in Loop: Header=BB236_20 Depth=2
	s_cmp_gt_i32 s26, -1
	s_cselect_b32 s28, -1, 0
	s_add_co_i32 s29, s27, 1
	s_cmp_lt_u32 s27, 2
	s_wait_xcnt 0x0
	s_cselect_b32 s27, -1, 0
	s_delay_alu instid0(SALU_CYCLE_1) | instskip(NEXT) | instid1(SALU_CYCLE_1)
	s_and_b32 s27, s28, s27
	s_and_b32 vcc_lo, exec_lo, s27
	s_mov_b32 s27, s29
	s_cbranch_vccz .LBB236_37
.LBB236_20:                             ;   Parent Loop BB236_3 Depth=1
                                        ; =>  This Loop Header: Depth=2
                                        ;       Child Loop BB236_23 Depth 3
                                        ;         Child Loop BB236_24 Depth 4
                                        ;         Child Loop BB236_26 Depth 4
                                        ;           Child Loop BB236_27 Depth 5
                                        ;         Child Loop BB236_31 Depth 4
                                        ;           Child Loop BB236_33 Depth 5
	s_load_b32 s28, s[12:13], s27 offset:0x0 scale_offset
	s_wait_kmcnt 0x0
	s_add_co_i32 s29, s28, -1
	s_delay_alu instid0(SALU_CYCLE_1)
	s_cmp_lt_i32 s26, s29
	s_cbranch_scc1 .LBB236_19
; %bb.21:                               ;   in Loop: Header=BB236_20 Depth=2
	s_lshl_b32 s33, s26, 9
	s_lshl_b32 s31, s28, 9
	v_add_nc_u32_e32 v4, s33, v9
	s_max_i32 s30, s28, 1
	s_sub_co_i32 s31, 0, s31
	s_add_co_i32 s33, s25, s33
	s_mul_i32 s34, s26, 0x210
	s_mul_i32 s35, s28, 0xfffffdf0
	s_branch .LBB236_23
.LBB236_22:                             ;   in Loop: Header=BB236_23 Depth=3
	v_add_nc_u32_e32 v4, s31, v4
	s_sub_co_i32 s26, s26, s28
	s_add_co_i32 s33, s33, s31
	s_add_co_i32 s34, s34, s35
	s_cmp_lt_i32 s26, s29
	s_cbranch_scc1 .LBB236_19
.LBB236_23:                             ;   Parent Loop BB236_3 Depth=1
                                        ;     Parent Loop BB236_20 Depth=2
                                        ; =>    This Loop Header: Depth=3
                                        ;         Child Loop BB236_24 Depth 4
                                        ;         Child Loop BB236_26 Depth 4
                                        ;           Child Loop BB236_27 Depth 5
                                        ;         Child Loop BB236_31 Depth 4
                                        ;           Child Loop BB236_33 Depth 5
	v_mov_b32_e32 v0, v4
	s_mov_b32 s36, 0
	s_mov_b32 s37, s30
.LBB236_24:                             ;   Parent Loop BB236_3 Depth=1
                                        ;     Parent Loop BB236_20 Depth=2
                                        ;       Parent Loop BB236_23 Depth=3
                                        ; =>      This Inner Loop Header: Depth=4
	ds_load_b128 v[18:21], v0
	v_add_nc_u32_e32 v0, 0xfffffe00, v0
	s_add_co_i32 s37, s37, -1
	s_wait_dscnt 0x0
	scratch_store_b128 off, v[18:21], s36
	s_wait_xcnt 0x0
	s_add_co_i32 s36, s36, 16
	s_cmp_eq_u32 s37, 0
	s_cbranch_scc0 .LBB236_24
; %bb.25:                               ;   in Loop: Header=BB236_23 Depth=3
	s_cmp_le_i32 s22, s26
	s_mov_b32 s36, s33
	s_mov_b32 s37, s22
	s_cbranch_scc1 .LBB236_29
.LBB236_26:                             ;   Parent Loop BB236_3 Depth=1
                                        ;     Parent Loop BB236_20 Depth=2
                                        ;       Parent Loop BB236_23 Depth=3
                                        ; =>      This Loop Header: Depth=4
                                        ;           Child Loop BB236_27 Depth 5
	v_lshl_add_u32 v0, s37, 9, v9
	s_mov_b32 s38, s18
	s_mov_b32 s39, s36
	;; [unrolled: 1-line block ×3, first 2 shown]
	ds_load_b128 v[0:3], v0
.LBB236_27:                             ;   Parent Loop BB236_3 Depth=1
                                        ;     Parent Loop BB236_20 Depth=2
                                        ;       Parent Loop BB236_23 Depth=3
                                        ;         Parent Loop BB236_26 Depth=4
                                        ; =>        This Inner Loop Header: Depth=5
	scratch_load_b128 v[18:21], off, s38 offset:-8
	v_mov_b32_e32 v5, s39
	s_add_co_i32 s40, s40, -1
	s_addk_co_i32 s39, 0xfe00
	ds_load_b128 v[22:25], v5
	s_wait_dscnt 0x0
	v_mul_f64_e32 v[6:7], v[2:3], v[24:25]
	v_mul_f64_e32 v[24:25], v[0:1], v[24:25]
	s_delay_alu instid0(VALU_DEP_2) | instskip(NEXT) | instid1(VALU_DEP_2)
	v_fma_f64 v[6:7], v[0:1], v[22:23], -v[6:7]
	v_fmac_f64_e32 v[24:25], v[2:3], v[22:23]
	s_wait_loadcnt 0x0
	s_delay_alu instid0(VALU_DEP_2) | instskip(NEXT) | instid1(VALU_DEP_2)
	v_add_f64_e64 v[18:19], v[18:19], -v[6:7]
	v_add_f64_e64 v[20:21], v[20:21], -v[24:25]
	scratch_store_b128 off, v[18:21], s38 offset:-8
	s_wait_xcnt 0x0
	s_add_co_i32 s38, s38, 16
	s_cmp_eq_u32 s40, 0
	s_cbranch_scc0 .LBB236_27
; %bb.28:                               ;   in Loop: Header=BB236_26 Depth=4
	s_add_co_i32 s37, s37, -1
	s_add_co_i32 s36, s36, -16
	s_cmp_le_i32 s37, s26
	s_cbranch_scc0 .LBB236_26
.LBB236_29:                             ;   in Loop: Header=BB236_23 Depth=3
	s_lshl_b32 s36, s26, 9
	s_mov_b32 s37, 0
	s_mov_b32 s38, s34
	s_branch .LBB236_31
.LBB236_30:                             ;   in Loop: Header=BB236_31 Depth=4
	s_wait_xcnt 0x0
	s_mulk_i32 s40, 0x210
	s_addk_co_i32 s38, 0xfe00
	v_mov_b32_e32 v5, s40
	s_lshl_b32 s40, s37, 4
	s_add_co_i32 s37, s37, 1
	s_delay_alu instid0(SALU_CYCLE_1) | instskip(SKIP_4) | instid1(VALU_DEP_2)
	s_cmp_eq_u32 s37, s30
	ds_load_b128 v[18:21], v5
	s_wait_loadcnt_dscnt 0x0
	v_mul_f64_e32 v[6:7], v[20:21], v[2:3]
	v_mul_f64_e32 v[24:25], v[18:19], v[2:3]
	v_fma_f64 v[22:23], v[18:19], v[0:1], -v[6:7]
	s_delay_alu instid0(VALU_DEP_2)
	v_fmac_f64_e32 v[24:25], v[20:21], v[0:1]
	v_add_nc_u32_e32 v0, s39, v9
	scratch_store_b128 off, v[22:25], s40
	ds_store_b128 v0, v[22:25]
	s_cbranch_scc1 .LBB236_22
.LBB236_31:                             ;   Parent Loop BB236_3 Depth=1
                                        ;     Parent Loop BB236_20 Depth=2
                                        ;       Parent Loop BB236_23 Depth=3
                                        ; =>      This Loop Header: Depth=4
                                        ;           Child Loop BB236_33 Depth 5
	s_cmp_lg_u32 s37, 0
	s_cbranch_scc0 .LBB236_35
; %bb.32:                               ;   in Loop: Header=BB236_31 Depth=4
	s_lshl_b32 s41, s37, 4
	s_wait_xcnt 0x0
	s_sub_co_i32 s40, s26, s37
	scratch_load_b128 v[0:3], off, s41
	s_lshl_b32 s39, s40, 9
	s_mov_b32 s42, s18
	s_mov_b32 s43, s38
	;; [unrolled: 1-line block ×3, first 2 shown]
.LBB236_33:                             ;   Parent Loop BB236_3 Depth=1
                                        ;     Parent Loop BB236_20 Depth=2
                                        ;       Parent Loop BB236_23 Depth=3
                                        ;         Parent Loop BB236_31 Depth=4
                                        ; =>        This Inner Loop Header: Depth=5
	scratch_load_b128 v[18:21], off, s42 offset:-8
	v_mov_b32_e32 v5, s43
	s_add_co_i32 s44, s44, -1
	s_add_co_i32 s43, s43, -16
	s_wait_xcnt 0x0
	s_add_co_i32 s42, s42, 16
	s_cmp_eq_u32 s44, 0
	ds_load_b128 v[22:25], v5
	s_wait_loadcnt_dscnt 0x0
	v_mul_f64_e32 v[6:7], v[24:25], v[20:21]
	v_mul_f64_e32 v[20:21], v[22:23], v[20:21]
	s_delay_alu instid0(VALU_DEP_2) | instskip(NEXT) | instid1(VALU_DEP_2)
	v_fma_f64 v[6:7], v[22:23], v[18:19], -v[6:7]
	v_fmac_f64_e32 v[20:21], v[24:25], v[18:19]
	s_delay_alu instid0(VALU_DEP_2) | instskip(NEXT) | instid1(VALU_DEP_2)
	v_add_f64_e64 v[0:1], v[0:1], -v[6:7]
	v_add_f64_e64 v[2:3], v[2:3], -v[20:21]
	scratch_store_b128 off, v[0:3], s41
	s_cbranch_scc0 .LBB236_33
; %bb.34:                               ;   in Loop: Header=BB236_31 Depth=4
	s_wait_xcnt 0x0
	s_branch .LBB236_30
.LBB236_35:                             ;   in Loop: Header=BB236_31 Depth=4
                                        ; implicit-def: $vgpr0_vgpr1
                                        ; implicit-def: $sgpr40
                                        ; implicit-def: $sgpr39
	s_cbranch_execz .LBB236_30
; %bb.36:                               ;   in Loop: Header=BB236_31 Depth=4
	scratch_load_b128 v[0:3], off, off
	s_mov_b32 s39, s36
	s_wait_xcnt 0x1
	s_mov_b32 s40, s26
	s_branch .LBB236_30
.LBB236_37:                             ;   in Loop: Header=BB236_3 Depth=1
	s_mov_b32 s26, 0
.LBB236_38:                             ;   in Loop: Header=BB236_3 Depth=1
	s_delay_alu instid0(SALU_CYCLE_1)
	s_and_b32 vcc_lo, exec_lo, s26
	s_cbranch_vccz .LBB236_59
; %bb.39:                               ;   in Loop: Header=BB236_3 Depth=1
	s_mov_b32 s27, 0
	s_mov_b32 s26, 0
	s_branch .LBB236_41
.LBB236_40:                             ;   in Loop: Header=BB236_41 Depth=2
	s_cmp_lt_i32 s26, s19
	s_cselect_b32 s28, -1, 0
	s_add_co_i32 s29, s27, 1
	s_cmp_lt_u32 s27, 2
	s_cselect_b32 s27, -1, 0
	s_delay_alu instid0(SALU_CYCLE_1) | instskip(NEXT) | instid1(SALU_CYCLE_1)
	s_and_b32 s27, s28, s27
	s_and_not1_b32 vcc_lo, exec_lo, s27
	s_mov_b32 s27, s29
	s_cbranch_vccnz .LBB236_59
.LBB236_41:                             ;   Parent Loop BB236_3 Depth=1
                                        ; =>  This Loop Header: Depth=2
                                        ;       Child Loop BB236_44 Depth 3
                                        ;         Child Loop BB236_45 Depth 4
                                        ;         Child Loop BB236_48 Depth 4
                                        ;           Child Loop BB236_49 Depth 5
                                        ;         Child Loop BB236_53 Depth 4
                                        ;           Child Loop BB236_55 Depth 5
	s_load_b32 s28, s[12:13], s27 offset:0x0 scale_offset
	s_wait_kmcnt 0x0
	s_add_co_i32 s29, s28, -1
	s_delay_alu instid0(SALU_CYCLE_1) | instskip(NEXT) | instid1(SALU_CYCLE_1)
	s_add_co_i32 s30, s29, s26
	s_cmp_ge_i32 s30, s19
	s_cbranch_scc1 .LBB236_40
; %bb.42:                               ;   in Loop: Header=BB236_41 Depth=2
	v_lshl_add_u32 v4, s26, 9, v9
	s_max_i32 s30, s28, 1
	s_lshl_b32 s31, s28, 9
	s_lshl_b32 s33, s26, 4
	;; [unrolled: 1-line block ×3, first 2 shown]
	s_mul_i32 s35, s26, 0x210
	s_mul_i32 s36, s28, 0x210
	s_branch .LBB236_44
.LBB236_43:                             ;   in Loop: Header=BB236_44 Depth=3
	s_add_co_i32 s26, s26, s28
	v_add_nc_u32_e32 v4, s31, v4
	s_add_co_i32 s37, s29, s26
	s_add_co_i32 s33, s33, s34
	;; [unrolled: 1-line block ×3, first 2 shown]
	s_cmp_ge_i32 s37, s19
	s_cbranch_scc1 .LBB236_40
.LBB236_44:                             ;   Parent Loop BB236_3 Depth=1
                                        ;     Parent Loop BB236_41 Depth=2
                                        ; =>    This Loop Header: Depth=3
                                        ;         Child Loop BB236_45 Depth 4
                                        ;         Child Loop BB236_48 Depth 4
                                        ;           Child Loop BB236_49 Depth 5
                                        ;         Child Loop BB236_53 Depth 4
                                        ;           Child Loop BB236_55 Depth 5
	v_mov_b32_e32 v0, v4
	s_mov_b32 s37, 0
	s_mov_b32 s38, s30
.LBB236_45:                             ;   Parent Loop BB236_3 Depth=1
                                        ;     Parent Loop BB236_41 Depth=2
                                        ;       Parent Loop BB236_44 Depth=3
                                        ; =>      This Inner Loop Header: Depth=4
	ds_load_b128 v[18:21], v0
	v_add_nc_u32_e32 v0, 0x200, v0
	s_add_co_i32 s38, s38, -1
	s_wait_dscnt 0x0
	scratch_store_b128 off, v[18:21], s37
	s_wait_xcnt 0x0
	s_add_co_i32 s37, s37, 16
	s_cmp_eq_u32 s38, 0
	s_cbranch_scc0 .LBB236_45
; %bb.46:                               ;   in Loop: Header=BB236_44 Depth=3
	s_cmp_lt_i32 s26, 1
	s_cbranch_scc1 .LBB236_51
; %bb.47:                               ;   in Loop: Header=BB236_44 Depth=3
	s_mov_b32 s37, 0
	s_mov_b32 s38, s33
.LBB236_48:                             ;   Parent Loop BB236_3 Depth=1
                                        ;     Parent Loop BB236_41 Depth=2
                                        ;       Parent Loop BB236_44 Depth=3
                                        ; =>      This Loop Header: Depth=4
                                        ;           Child Loop BB236_49 Depth 5
	v_lshl_add_u32 v0, s37, 9, v9
	s_mov_b32 s39, s18
	s_mov_b32 s40, s38
	s_mov_b32 s41, s30
	ds_load_b128 v[0:3], v0
.LBB236_49:                             ;   Parent Loop BB236_3 Depth=1
                                        ;     Parent Loop BB236_41 Depth=2
                                        ;       Parent Loop BB236_44 Depth=3
                                        ;         Parent Loop BB236_48 Depth=4
                                        ; =>        This Inner Loop Header: Depth=5
	scratch_load_b128 v[18:21], off, s39 offset:-8
	v_mov_b32_e32 v5, s40
	s_add_co_i32 s41, s41, -1
	s_add_co_i32 s40, s40, 16
	ds_load_b128 v[22:25], v5
	s_wait_dscnt 0x0
	v_mul_f64_e32 v[6:7], v[2:3], v[24:25]
	v_mul_f64_e32 v[24:25], v[0:1], v[24:25]
	s_delay_alu instid0(VALU_DEP_2) | instskip(NEXT) | instid1(VALU_DEP_2)
	v_fma_f64 v[6:7], v[0:1], v[22:23], -v[6:7]
	v_fmac_f64_e32 v[24:25], v[2:3], v[22:23]
	s_wait_loadcnt 0x0
	s_delay_alu instid0(VALU_DEP_2) | instskip(NEXT) | instid1(VALU_DEP_2)
	v_add_f64_e64 v[18:19], v[18:19], -v[6:7]
	v_add_f64_e64 v[20:21], v[20:21], -v[24:25]
	scratch_store_b128 off, v[18:21], s39 offset:-8
	s_wait_xcnt 0x0
	s_add_co_i32 s39, s39, 16
	s_cmp_eq_u32 s41, 0
	s_cbranch_scc0 .LBB236_49
; %bb.50:                               ;   in Loop: Header=BB236_48 Depth=4
	s_add_co_i32 s37, s37, 1
	s_addk_co_i32 s38, 0x200
	s_cmp_eq_u32 s37, s26
	s_cbranch_scc0 .LBB236_48
.LBB236_51:                             ;   in Loop: Header=BB236_44 Depth=3
	s_mov_b32 s37, 0
	s_mov_b32 s38, s35
	s_branch .LBB236_53
.LBB236_52:                             ;   in Loop: Header=BB236_53 Depth=4
	s_add_co_i32 s39, s37, s26
	s_add_co_i32 s38, s38, 16
	s_wait_xcnt 0x0
	s_mul_i32 s40, s39, 0x210
	s_delay_alu instid0(SALU_CYCLE_1) | instskip(SKIP_2) | instid1(SALU_CYCLE_1)
	v_mov_b32_e32 v5, s40
	s_lshl_b32 s40, s37, 4
	s_add_co_i32 s37, s37, 1
	s_cmp_eq_u32 s37, s30
	ds_load_b128 v[18:21], v5
	s_wait_loadcnt_dscnt 0x0
	v_mul_f64_e32 v[6:7], v[20:21], v[2:3]
	v_mul_f64_e32 v[24:25], v[18:19], v[2:3]
	s_delay_alu instid0(VALU_DEP_2) | instskip(NEXT) | instid1(VALU_DEP_2)
	v_fma_f64 v[22:23], v[18:19], v[0:1], -v[6:7]
	v_fmac_f64_e32 v[24:25], v[20:21], v[0:1]
	v_lshl_add_u32 v0, s39, 9, v9
	scratch_store_b128 off, v[22:25], s40
	ds_store_b128 v0, v[22:25]
	s_cbranch_scc1 .LBB236_43
.LBB236_53:                             ;   Parent Loop BB236_3 Depth=1
                                        ;     Parent Loop BB236_41 Depth=2
                                        ;       Parent Loop BB236_44 Depth=3
                                        ; =>      This Loop Header: Depth=4
                                        ;           Child Loop BB236_55 Depth 5
	s_cmp_lg_u32 s37, 0
	s_cbranch_scc0 .LBB236_57
; %bb.54:                               ;   in Loop: Header=BB236_53 Depth=4
	s_lshl_b32 s39, s37, 4
	s_wait_xcnt 0x0
	s_mov_b32 s40, s18
	scratch_load_b128 v[0:3], off, s39
	s_mov_b32 s41, s38
	s_mov_b32 s42, s37
.LBB236_55:                             ;   Parent Loop BB236_3 Depth=1
                                        ;     Parent Loop BB236_41 Depth=2
                                        ;       Parent Loop BB236_44 Depth=3
                                        ;         Parent Loop BB236_53 Depth=4
                                        ; =>        This Inner Loop Header: Depth=5
	scratch_load_b128 v[18:21], off, s40 offset:-8
	v_mov_b32_e32 v5, s41
	s_add_co_i32 s42, s42, -1
	s_addk_co_i32 s41, 0x200
	s_wait_xcnt 0x0
	s_add_co_i32 s40, s40, 16
	s_cmp_eq_u32 s42, 0
	ds_load_b128 v[22:25], v5
	s_wait_loadcnt_dscnt 0x0
	v_mul_f64_e32 v[6:7], v[24:25], v[20:21]
	v_mul_f64_e32 v[20:21], v[22:23], v[20:21]
	s_delay_alu instid0(VALU_DEP_2) | instskip(NEXT) | instid1(VALU_DEP_2)
	v_fma_f64 v[6:7], v[22:23], v[18:19], -v[6:7]
	v_fmac_f64_e32 v[20:21], v[24:25], v[18:19]
	s_delay_alu instid0(VALU_DEP_2) | instskip(NEXT) | instid1(VALU_DEP_2)
	v_add_f64_e64 v[0:1], v[0:1], -v[6:7]
	v_add_f64_e64 v[2:3], v[2:3], -v[20:21]
	scratch_store_b128 off, v[0:3], s39
	s_cbranch_scc0 .LBB236_55
; %bb.56:                               ;   in Loop: Header=BB236_53 Depth=4
	s_wait_xcnt 0x0
	s_branch .LBB236_52
.LBB236_57:                             ;   in Loop: Header=BB236_53 Depth=4
                                        ; implicit-def: $vgpr0_vgpr1
	s_cbranch_execz .LBB236_52
; %bb.58:                               ;   in Loop: Header=BB236_53 Depth=4
	scratch_load_b128 v[0:3], off, off
	s_branch .LBB236_52
.LBB236_59:                             ;   in Loop: Header=BB236_3 Depth=1
	; wave barrier
	s_wait_storecnt_dscnt 0x0
	s_wait_xcnt 0x0
	s_and_saveexec_b32 s26, s1
	s_cbranch_execz .LBB236_2
; %bb.60:                               ;   in Loop: Header=BB236_3 Depth=1
	v_add_nc_u64_e32 v[0:1], s[16:17], v[10:11]
	v_mov_b32_e32 v2, v9
	s_mov_b32 s16, s19
.LBB236_61:                             ;   Parent Loop BB236_3 Depth=1
                                        ; =>  This Inner Loop Header: Depth=2
	ds_load_2addr_b64 v[4:7], v2 offset1:1
	v_add_nc_u32_e32 v2, 0x200, v2
	s_add_co_i32 s16, s16, -1
	s_delay_alu instid0(SALU_CYCLE_1)
	s_cmp_lg_u32 s16, 0
	s_wait_dscnt 0x0
	global_store_b128 v[0:1], v[4:7], off
	s_wait_xcnt 0x0
	v_add_nc_u64_e32 v[0:1], 16, v[0:1]
	s_cbranch_scc1 .LBB236_61
	s_branch .LBB236_2
.LBB236_62:
	s_endpgm
	.section	.rodata,"a",@progbits
	.p2align	6, 0x0
	.amdhsa_kernel _ZL38rocblas_trsm_small_left_device_sharedBILi32ELi32ELb1E19rocblas_complex_numIdES1_PKS1_PS1_Ev13rocblas_fill_18rocblas_operation_17rocblas_diagonal_iiT3_T4_lilT5_lili
		.amdhsa_group_segment_fixed_size 32768
		.amdhsa_private_segment_fixed_size 528
		.amdhsa_kernarg_size 368
		.amdhsa_user_sgpr_count 2
		.amdhsa_user_sgpr_dispatch_ptr 0
		.amdhsa_user_sgpr_queue_ptr 0
		.amdhsa_user_sgpr_kernarg_segment_ptr 1
		.amdhsa_user_sgpr_dispatch_id 0
		.amdhsa_user_sgpr_kernarg_preload_length 0
		.amdhsa_user_sgpr_kernarg_preload_offset 0
		.amdhsa_user_sgpr_private_segment_size 0
		.amdhsa_wavefront_size32 1
		.amdhsa_uses_dynamic_stack 0
		.amdhsa_enable_private_segment 1
		.amdhsa_system_sgpr_workgroup_id_x 1
		.amdhsa_system_sgpr_workgroup_id_y 0
		.amdhsa_system_sgpr_workgroup_id_z 1
		.amdhsa_system_sgpr_workgroup_info 0
		.amdhsa_system_vgpr_workitem_id 0
		.amdhsa_next_free_vgpr 257
		.amdhsa_next_free_sgpr 45
		.amdhsa_named_barrier_count 0
		.amdhsa_reserve_vcc 1
		.amdhsa_float_round_mode_32 0
		.amdhsa_float_round_mode_16_64 0
		.amdhsa_float_denorm_mode_32 3
		.amdhsa_float_denorm_mode_16_64 3
		.amdhsa_fp16_overflow 0
		.amdhsa_memory_ordered 1
		.amdhsa_forward_progress 1
		.amdhsa_inst_pref_size 21
		.amdhsa_round_robin_scheduling 0
		.amdhsa_exception_fp_ieee_invalid_op 0
		.amdhsa_exception_fp_denorm_src 0
		.amdhsa_exception_fp_ieee_div_zero 0
		.amdhsa_exception_fp_ieee_overflow 0
		.amdhsa_exception_fp_ieee_underflow 0
		.amdhsa_exception_fp_ieee_inexact 0
		.amdhsa_exception_int_div_zero 0
	.end_amdhsa_kernel
	.section	.text._ZL38rocblas_trsm_small_left_device_sharedBILi32ELi32ELb1E19rocblas_complex_numIdES1_PKS1_PS1_Ev13rocblas_fill_18rocblas_operation_17rocblas_diagonal_iiT3_T4_lilT5_lili,"axG",@progbits,_ZL38rocblas_trsm_small_left_device_sharedBILi32ELi32ELb1E19rocblas_complex_numIdES1_PKS1_PS1_Ev13rocblas_fill_18rocblas_operation_17rocblas_diagonal_iiT3_T4_lilT5_lili,comdat
.Lfunc_end236:
	.size	_ZL38rocblas_trsm_small_left_device_sharedBILi32ELi32ELb1E19rocblas_complex_numIdES1_PKS1_PS1_Ev13rocblas_fill_18rocblas_operation_17rocblas_diagonal_iiT3_T4_lilT5_lili, .Lfunc_end236-_ZL38rocblas_trsm_small_left_device_sharedBILi32ELi32ELb1E19rocblas_complex_numIdES1_PKS1_PS1_Ev13rocblas_fill_18rocblas_operation_17rocblas_diagonal_iiT3_T4_lilT5_lili
                                        ; -- End function
	.set _ZL38rocblas_trsm_small_left_device_sharedBILi32ELi32ELb1E19rocblas_complex_numIdES1_PKS1_PS1_Ev13rocblas_fill_18rocblas_operation_17rocblas_diagonal_iiT3_T4_lilT5_lili.num_vgpr, 26
	.set _ZL38rocblas_trsm_small_left_device_sharedBILi32ELi32ELb1E19rocblas_complex_numIdES1_PKS1_PS1_Ev13rocblas_fill_18rocblas_operation_17rocblas_diagonal_iiT3_T4_lilT5_lili.num_agpr, 0
	.set _ZL38rocblas_trsm_small_left_device_sharedBILi32ELi32ELb1E19rocblas_complex_numIdES1_PKS1_PS1_Ev13rocblas_fill_18rocblas_operation_17rocblas_diagonal_iiT3_T4_lilT5_lili.numbered_sgpr, 45
	.set _ZL38rocblas_trsm_small_left_device_sharedBILi32ELi32ELb1E19rocblas_complex_numIdES1_PKS1_PS1_Ev13rocblas_fill_18rocblas_operation_17rocblas_diagonal_iiT3_T4_lilT5_lili.num_named_barrier, 0
	.set _ZL38rocblas_trsm_small_left_device_sharedBILi32ELi32ELb1E19rocblas_complex_numIdES1_PKS1_PS1_Ev13rocblas_fill_18rocblas_operation_17rocblas_diagonal_iiT3_T4_lilT5_lili.private_seg_size, 528
	.set _ZL38rocblas_trsm_small_left_device_sharedBILi32ELi32ELb1E19rocblas_complex_numIdES1_PKS1_PS1_Ev13rocblas_fill_18rocblas_operation_17rocblas_diagonal_iiT3_T4_lilT5_lili.uses_vcc, 1
	.set _ZL38rocblas_trsm_small_left_device_sharedBILi32ELi32ELb1E19rocblas_complex_numIdES1_PKS1_PS1_Ev13rocblas_fill_18rocblas_operation_17rocblas_diagonal_iiT3_T4_lilT5_lili.uses_flat_scratch, 0
	.set _ZL38rocblas_trsm_small_left_device_sharedBILi32ELi32ELb1E19rocblas_complex_numIdES1_PKS1_PS1_Ev13rocblas_fill_18rocblas_operation_17rocblas_diagonal_iiT3_T4_lilT5_lili.has_dyn_sized_stack, 0
	.set _ZL38rocblas_trsm_small_left_device_sharedBILi32ELi32ELb1E19rocblas_complex_numIdES1_PKS1_PS1_Ev13rocblas_fill_18rocblas_operation_17rocblas_diagonal_iiT3_T4_lilT5_lili.has_recursion, 0
	.set _ZL38rocblas_trsm_small_left_device_sharedBILi32ELi32ELb1E19rocblas_complex_numIdES1_PKS1_PS1_Ev13rocblas_fill_18rocblas_operation_17rocblas_diagonal_iiT3_T4_lilT5_lili.has_indirect_call, 0
	.section	.AMDGPU.csdata,"",@progbits
; Kernel info:
; codeLenInByte = 2684
; TotalNumSgprs: 47
; NumVgprs: 26
; ScratchSize: 528
; MemoryBound: 0
; FloatMode: 240
; IeeeMode: 1
; LDSByteSize: 32768 bytes/workgroup (compile time only)
; SGPRBlocks: 0
; VGPRBlocks: 16
; NumSGPRsForWavesPerEU: 47
; NumVGPRsForWavesPerEU: 257
; NamedBarCnt: 0
; Occupancy: 3
; WaveLimiterHint : 0
; COMPUTE_PGM_RSRC2:SCRATCH_EN: 1
; COMPUTE_PGM_RSRC2:USER_SGPR: 2
; COMPUTE_PGM_RSRC2:TRAP_HANDLER: 0
; COMPUTE_PGM_RSRC2:TGID_X_EN: 1
; COMPUTE_PGM_RSRC2:TGID_Y_EN: 0
; COMPUTE_PGM_RSRC2:TGID_Z_EN: 1
; COMPUTE_PGM_RSRC2:TIDIG_COMP_CNT: 0
	.section	.text._ZL30rocblas_trsm_small_left_deviceILi32ELi32ELb1E19rocblas_complex_numIdES1_PKS1_PS1_Ev13rocblas_fill_18rocblas_operation_17rocblas_diagonal_iiT3_T4_lilT5_lili,"axG",@progbits,_ZL30rocblas_trsm_small_left_deviceILi32ELi32ELb1E19rocblas_complex_numIdES1_PKS1_PS1_Ev13rocblas_fill_18rocblas_operation_17rocblas_diagonal_iiT3_T4_lilT5_lili,comdat
	.globl	_ZL30rocblas_trsm_small_left_deviceILi32ELi32ELb1E19rocblas_complex_numIdES1_PKS1_PS1_Ev13rocblas_fill_18rocblas_operation_17rocblas_diagonal_iiT3_T4_lilT5_lili ; -- Begin function _ZL30rocblas_trsm_small_left_deviceILi32ELi32ELb1E19rocblas_complex_numIdES1_PKS1_PS1_Ev13rocblas_fill_18rocblas_operation_17rocblas_diagonal_iiT3_T4_lilT5_lili
	.p2align	8
	.type	_ZL30rocblas_trsm_small_left_deviceILi32ELi32ELb1E19rocblas_complex_numIdES1_PKS1_PS1_Ev13rocblas_fill_18rocblas_operation_17rocblas_diagonal_iiT3_T4_lilT5_lili,@function
_ZL30rocblas_trsm_small_left_deviceILi32ELi32ELb1E19rocblas_complex_numIdES1_PKS1_PS1_Ev13rocblas_fill_18rocblas_operation_17rocblas_diagonal_iiT3_T4_lilT5_lili: ; @_ZL30rocblas_trsm_small_left_deviceILi32ELi32ELb1E19rocblas_complex_numIdES1_PKS1_PS1_Ev13rocblas_fill_18rocblas_operation_17rocblas_diagonal_iiT3_T4_lilT5_lili
; %bb.0:
	s_load_b32 s3, s[0:1], 0x68
	s_bfe_u32 s2, ttmp6, 0x40014
	s_lshr_b32 s5, ttmp7, 16
	s_add_co_i32 s2, s2, 1
	s_bfe_u32 s6, ttmp6, 0x40008
	s_mul_i32 s2, s5, s2
	s_getreg_b32 s4, hwreg(HW_REG_IB_STS2, 6, 4)
	s_add_co_i32 s6, s6, s2
	s_cmp_eq_u32 s4, 0
	s_mov_b32 s23, 0
	s_cselect_b32 s20, s5, s6
	s_wait_kmcnt 0x0
	s_cmp_ge_u32 s20, s3
	s_cbranch_scc1 .LBB237_59
; %bb.1:
	s_clause 0x5
	s_load_b32 s26, s[0:1], 0x38
	s_load_b96 s[8:10], s[0:1], 0x50
	s_load_b128 s[12:15], s[0:1], 0x4
	s_load_b32 s6, s[0:1], 0x70
	s_load_b64 s[24:25], s[0:1], 0x60
	s_load_b128 s[16:19], s[0:1], 0x40
	v_mov_b32_e32 v9, 0
	s_mov_b32 s37, 0
                                        ; implicit-def: $sgpr38
                                        ; implicit-def: $sgpr39
	v_dual_lshlrev_b32 v8, 4, v0 :: v_dual_lshlrev_b32 v1, 9, v0
	s_wait_kmcnt 0x0
	s_ashr_i32 s27, s26, 31
	s_ashr_i32 s5, s10, 31
	s_cmp_eq_u32 s12, 0x71
	s_cselect_b32 s2, -1, 0
	s_bfe_u32 s7, ttmp6, 0x4000c
	s_min_i32 s30, s14, 32
	s_add_co_i32 s7, s7, 1
	s_add_co_i32 s14, s6, -1
	s_and_b32 s6, ttmp6, 15
	s_mul_i32 s7, ttmp9, s7
	s_lshl_b64 s[28:29], s[8:9], 4
	s_add_co_i32 s31, s30, -1
	s_add_co_i32 s6, s6, s7
	s_cmp_eq_u32 s4, 0
	s_mov_b32 s4, s10
	s_cselect_b32 s21, ttmp9, s6
	s_delay_alu instid0(SALU_CYCLE_1) | instskip(NEXT) | instid1(SALU_CYCLE_1)
	s_lshl_b32 s22, s21, 5
	v_or_b32_e32 v2, s22, v0
	s_delay_alu instid0(VALU_DEP_1) | instskip(NEXT) | instid1(VALU_DEP_1)
	v_ashrrev_i32_e32 v3, 31, v2
	v_mul_u64_e32 v[2:3], s[4:5], v[2:3]
	s_load_b256 s[4:11], s[0:1], 0x18
	s_wait_xcnt 0x0
	s_sub_co_i32 s0, s15, s22
	s_cmp_ge_u32 s21, s14
	s_cselect_b32 s14, s0, 32
	s_cmp_lg_u32 s13, 0x84
	s_cselect_b32 s33, -1, 0
	s_cmp_lg_u32 s12, 0x6f
	s_get_pc_i64 s[12:13]
	s_add_nc_u64 s[12:13], s[12:13], __const._ZL30rocblas_trsm_small_left_deviceILi32ELi32ELb1E19rocblas_complex_numIdES1_PKS1_PS1_Ev13rocblas_fill_18rocblas_operation_17rocblas_diagonal_iiT3_T4_lilT5_lili.step_sizes@rel64+4
	s_cselect_b32 s34, -1, 0
	s_lshl_b32 s36, s30, 4
	s_or_b32 s35, 0, 8
	s_add_co_i32 s36, s36, -16
	s_wait_kmcnt 0x0
	s_lshl_b64 s[0:1], s[10:11], 4
	s_add_nc_u64 s[10:11], s[18:19], s[28:29]
	s_add_nc_u64 s[8:9], s[8:9], s[0:1]
	v_cmp_gt_i32_e64 s0, s30, v0
	v_add_nc_u64_e32 v[4:5], s[8:9], v[8:9]
	v_cmp_gt_i32_e64 s1, s14, v0
	v_add_nc_u32_e32 v9, v8, v1
	s_lshl_b64 s[8:9], s[16:17], 4
	s_lshl_b64 s[14:15], s[24:25], 4
	v_lshl_add_u64 v[10:11], v[2:3], 4, s[10:11]
	v_add_nc_u64_e32 v[12:13], 8, v[4:5]
	s_lshl_b64 s[10:11], s[26:27], 4
	s_delay_alu instid0(VALU_DEP_2)
	v_add_nc_u64_e32 v[14:15], 8, v[10:11]
	s_branch .LBB237_4
.LBB237_2:                              ;   in Loop: Header=BB237_4 Depth=1
	s_add_co_i32 s20, s20, 0x10000
	s_delay_alu instid0(SALU_CYCLE_1)
	s_cmp_ge_u32 s20, s3
	s_cselect_b32 s16, -1, 0
	s_and_not1_b32 s39, s39, exec_lo
	s_or_not1_b32 s16, s16, exec_lo
.LBB237_3:                              ;   in Loop: Header=BB237_4 Depth=1
	s_wait_xcnt 0x0
	s_or_b32 exec_lo, exec_lo, s40
	s_delay_alu instid0(SALU_CYCLE_1) | instskip(NEXT) | instid1(SALU_CYCLE_1)
	s_and_b32 s16, exec_lo, s16
	s_or_b32 s37, s16, s37
	s_and_not1_b32 s16, s38, exec_lo
	s_and_b32 s17, s39, exec_lo
	s_delay_alu instid0(SALU_CYCLE_1)
	s_or_b32 s38, s16, s17
	s_and_not1_b32 exec_lo, exec_lo, s37
	s_cbranch_execz .LBB237_58
.LBB237_4:                              ; =>This Loop Header: Depth=1
                                        ;     Child Loop BB237_6 Depth 2
                                        ;     Child Loop BB237_19 Depth 2
                                        ;       Child Loop BB237_22 Depth 3
                                        ;         Child Loop BB237_23 Depth 4
                                        ;         Child Loop BB237_25 Depth 4
                                        ;           Child Loop BB237_26 Depth 5
                                        ;         Child Loop BB237_30 Depth 4
                                        ;           Child Loop BB237_32 Depth 5
                                        ;     Child Loop BB237_40 Depth 2
                                        ;       Child Loop BB237_43 Depth 3
                                        ;         Child Loop BB237_44 Depth 4
                                        ;         Child Loop BB237_47 Depth 4
                                        ;           Child Loop BB237_48 Depth 5
                                        ;         Child Loop BB237_52 Depth 4
                                        ;           Child Loop BB237_54 Depth 5
	s_mov_b32 s21, s23
	s_and_saveexec_b32 s16, s0
	s_cbranch_execz .LBB237_15
; %bb.5:                                ;   in Loop: Header=BB237_4 Depth=1
	v_mad_nc_u64_u32 v[0:1], s8, s20, v[12:13]
	v_mov_b32_e32 v2, v8
	s_mov_b32 s17, s30
	s_delay_alu instid0(VALU_DEP_2)
	v_mad_u32 v1, s9, s20, v1
.LBB237_6:                              ;   Parent Loop BB237_4 Depth=1
                                        ; =>  This Inner Loop Header: Depth=2
	global_load_b128 v[4:7], v[0:1], off offset:-8
	s_wait_xcnt 0x0
	v_add_nc_u64_e32 v[0:1], s[10:11], v[0:1]
	s_add_co_i32 s17, s17, -1
	s_delay_alu instid0(SALU_CYCLE_1) | instskip(SKIP_2) | instid1(VALU_DEP_1)
	s_cmp_eq_u32 s17, 0
	s_wait_loadcnt 0x0
	v_xor_b32_e32 v3, 0x80000000, v7
	v_cndmask_b32_e64 v7, v7, v3, s2
	ds_store_b128 v2, v[4:7]
	v_add_nc_u32_e32 v2, 0x200, v2
	s_cbranch_scc0 .LBB237_6
; %bb.7:                                ;   in Loop: Header=BB237_4 Depth=1
	s_and_b32 vcc_lo, exec_lo, s33
	s_cbranch_vccz .LBB237_13
; %bb.8:                                ;   in Loop: Header=BB237_4 Depth=1
	ds_load_b128 v[0:3], v9
                                        ; implicit-def: $vgpr6_vgpr7
	s_wait_dscnt 0x0
	v_cmp_ngt_f64_e64 s17, |v[0:1]|, |v[2:3]|
	s_and_saveexec_b32 s18, s17
	s_delay_alu instid0(SALU_CYCLE_1)
	s_xor_b32 s17, exec_lo, s18
	s_cbranch_execz .LBB237_10
; %bb.9:                                ;   in Loop: Header=BB237_4 Depth=1
	v_div_scale_f64 v[4:5], null, v[2:3], v[2:3], v[0:1]
	v_div_scale_f64 v[18:19], vcc_lo, v[0:1], v[2:3], v[0:1]
	s_delay_alu instid0(VALU_DEP_2) | instskip(SKIP_1) | instid1(TRANS32_DEP_1)
	v_rcp_f64_e32 v[6:7], v[4:5]
	v_nop
	v_fma_f64 v[16:17], -v[4:5], v[6:7], 1.0
	s_delay_alu instid0(VALU_DEP_1) | instskip(NEXT) | instid1(VALU_DEP_1)
	v_fmac_f64_e32 v[6:7], v[6:7], v[16:17]
	v_fma_f64 v[16:17], -v[4:5], v[6:7], 1.0
	s_delay_alu instid0(VALU_DEP_1) | instskip(NEXT) | instid1(VALU_DEP_1)
	v_fmac_f64_e32 v[6:7], v[6:7], v[16:17]
	v_mul_f64_e32 v[16:17], v[18:19], v[6:7]
	s_delay_alu instid0(VALU_DEP_1) | instskip(NEXT) | instid1(VALU_DEP_1)
	v_fma_f64 v[4:5], -v[4:5], v[16:17], v[18:19]
	v_div_fmas_f64 v[4:5], v[4:5], v[6:7], v[16:17]
	s_delay_alu instid0(VALU_DEP_1) | instskip(NEXT) | instid1(VALU_DEP_1)
	v_div_fixup_f64 v[4:5], v[4:5], v[2:3], v[0:1]
	v_fmac_f64_e32 v[2:3], v[0:1], v[4:5]
	s_delay_alu instid0(VALU_DEP_1) | instskip(SKIP_1) | instid1(VALU_DEP_2)
	v_div_scale_f64 v[0:1], null, v[2:3], v[2:3], 1.0
	v_div_scale_f64 v[18:19], vcc_lo, 1.0, v[2:3], 1.0
	v_rcp_f64_e32 v[6:7], v[0:1]
	v_nop
	s_delay_alu instid0(TRANS32_DEP_1) | instskip(NEXT) | instid1(VALU_DEP_1)
	v_fma_f64 v[16:17], -v[0:1], v[6:7], 1.0
	v_fmac_f64_e32 v[6:7], v[6:7], v[16:17]
	s_delay_alu instid0(VALU_DEP_1) | instskip(NEXT) | instid1(VALU_DEP_1)
	v_fma_f64 v[16:17], -v[0:1], v[6:7], 1.0
	v_fmac_f64_e32 v[6:7], v[6:7], v[16:17]
	s_delay_alu instid0(VALU_DEP_1) | instskip(NEXT) | instid1(VALU_DEP_1)
	v_mul_f64_e32 v[16:17], v[18:19], v[6:7]
	v_fma_f64 v[0:1], -v[0:1], v[16:17], v[18:19]
	s_delay_alu instid0(VALU_DEP_1) | instskip(SKIP_1) | instid1(VALU_DEP_2)
	v_div_fmas_f64 v[0:1], v[0:1], v[6:7], v[16:17]
	v_add_f64_e32 v[6:7], 0, v[4:5]
	v_div_fixup_f64 v[0:1], v[0:1], v[2:3], 1.0
	v_fma_f64 v[2:3], v[4:5], 0, -1.0
	s_delay_alu instid0(VALU_DEP_2) | instskip(NEXT) | instid1(VALU_DEP_2)
	v_mul_f64_e32 v[4:5], v[6:7], v[0:1]
	v_mul_f64_e32 v[6:7], v[2:3], v[0:1]
                                        ; implicit-def: $vgpr0_vgpr1
.LBB237_10:                             ;   in Loop: Header=BB237_4 Depth=1
	s_and_not1_saveexec_b32 s17, s17
	s_cbranch_execz .LBB237_12
; %bb.11:                               ;   in Loop: Header=BB237_4 Depth=1
	v_div_scale_f64 v[4:5], null, v[0:1], v[0:1], v[2:3]
	v_div_scale_f64 v[18:19], vcc_lo, v[2:3], v[0:1], v[2:3]
	s_delay_alu instid0(VALU_DEP_2) | instskip(SKIP_1) | instid1(TRANS32_DEP_1)
	v_rcp_f64_e32 v[6:7], v[4:5]
	v_nop
	v_fma_f64 v[16:17], -v[4:5], v[6:7], 1.0
	s_delay_alu instid0(VALU_DEP_1) | instskip(NEXT) | instid1(VALU_DEP_1)
	v_fmac_f64_e32 v[6:7], v[6:7], v[16:17]
	v_fma_f64 v[16:17], -v[4:5], v[6:7], 1.0
	s_delay_alu instid0(VALU_DEP_1) | instskip(NEXT) | instid1(VALU_DEP_1)
	v_fmac_f64_e32 v[6:7], v[6:7], v[16:17]
	v_mul_f64_e32 v[16:17], v[18:19], v[6:7]
	s_delay_alu instid0(VALU_DEP_1) | instskip(NEXT) | instid1(VALU_DEP_1)
	v_fma_f64 v[4:5], -v[4:5], v[16:17], v[18:19]
	v_div_fmas_f64 v[4:5], v[4:5], v[6:7], v[16:17]
	s_delay_alu instid0(VALU_DEP_1) | instskip(NEXT) | instid1(VALU_DEP_1)
	v_div_fixup_f64 v[4:5], v[4:5], v[0:1], v[2:3]
	v_fmac_f64_e32 v[0:1], v[2:3], v[4:5]
	s_delay_alu instid0(VALU_DEP_1) | instskip(SKIP_1) | instid1(VALU_DEP_2)
	v_div_scale_f64 v[2:3], null, v[0:1], v[0:1], 1.0
	v_div_scale_f64 v[18:19], vcc_lo, 1.0, v[0:1], 1.0
	v_rcp_f64_e32 v[6:7], v[2:3]
	v_nop
	s_delay_alu instid0(TRANS32_DEP_1) | instskip(NEXT) | instid1(VALU_DEP_1)
	v_fma_f64 v[16:17], -v[2:3], v[6:7], 1.0
	v_fmac_f64_e32 v[6:7], v[6:7], v[16:17]
	s_delay_alu instid0(VALU_DEP_1) | instskip(NEXT) | instid1(VALU_DEP_1)
	v_fma_f64 v[16:17], -v[2:3], v[6:7], 1.0
	v_fmac_f64_e32 v[6:7], v[6:7], v[16:17]
	s_delay_alu instid0(VALU_DEP_1) | instskip(NEXT) | instid1(VALU_DEP_1)
	v_mul_f64_e32 v[16:17], v[18:19], v[6:7]
	v_fma_f64 v[2:3], -v[2:3], v[16:17], v[18:19]
	s_delay_alu instid0(VALU_DEP_1) | instskip(SKIP_1) | instid1(VALU_DEP_2)
	v_div_fmas_f64 v[2:3], v[2:3], v[6:7], v[16:17]
	v_fma_f64 v[6:7], v[4:5], 0, 1.0
	v_div_fixup_f64 v[0:1], v[2:3], v[0:1], 1.0
	v_add_f64_e64 v[2:3], -v[4:5], 0
	s_delay_alu instid0(VALU_DEP_2) | instskip(NEXT) | instid1(VALU_DEP_2)
	v_mul_f64_e32 v[4:5], v[6:7], v[0:1]
	v_mul_f64_e32 v[6:7], v[2:3], v[0:1]
.LBB237_12:                             ;   in Loop: Header=BB237_4 Depth=1
	s_or_b32 exec_lo, exec_lo, s17
	s_branch .LBB237_14
.LBB237_13:                             ;   in Loop: Header=BB237_4 Depth=1
	v_mov_b64_e32 v[6:7], 0
	v_mov_b64_e32 v[4:5], 1.0
.LBB237_14:                             ;   in Loop: Header=BB237_4 Depth=1
	ds_store_b128 v9, v[4:7]
.LBB237_15:                             ;   in Loop: Header=BB237_4 Depth=1
	s_or_b32 exec_lo, exec_lo, s16
	s_mov_b32 s16, -1
	s_or_b32 s39, s39, exec_lo
	s_wait_dscnt 0x0
	; wave barrier
	s_and_saveexec_b32 s40, s1
	s_cbranch_execz .LBB237_3
; %bb.16:                               ;   in Loop: Header=BB237_4 Depth=1
	s_mul_u64 s[16:17], s[24:25], s[20:21]
	s_and_not1_b32 vcc_lo, exec_lo, s34
	v_lshl_add_u64 v[4:5], s[16:17], 4, v[10:11]
	s_mul_u64 s[16:17], s[14:15], s[20:21]
	s_mov_b32 s18, -1
	s_cbranch_vccnz .LBB237_37
; %bb.17:                               ;   in Loop: Header=BB237_4 Depth=1
	v_add_nc_u64_e32 v[6:7], s[16:17], v[14:15]
	s_mov_b32 s21, 0
	s_mov_b32 s18, s31
	s_branch .LBB237_19
.LBB237_18:                             ;   in Loop: Header=BB237_19 Depth=2
	s_cmp_gt_i32 s18, -1
	s_cselect_b32 s19, -1, 0
	s_add_co_i32 s22, s21, 1
	s_cmp_lt_u32 s21, 2
	s_wait_xcnt 0x0
	s_cselect_b32 s21, -1, 0
	s_delay_alu instid0(SALU_CYCLE_1)
	s_and_b32 s19, s19, s21
	s_mov_b32 s21, s22
	s_and_b32 vcc_lo, exec_lo, s19
	s_cbranch_vccz .LBB237_36
.LBB237_19:                             ;   Parent Loop BB237_4 Depth=1
                                        ; =>  This Loop Header: Depth=2
                                        ;       Child Loop BB237_22 Depth 3
                                        ;         Child Loop BB237_23 Depth 4
                                        ;         Child Loop BB237_25 Depth 4
                                        ;           Child Loop BB237_26 Depth 5
                                        ;         Child Loop BB237_30 Depth 4
                                        ;           Child Loop BB237_32 Depth 5
	s_load_b32 s22, s[12:13], s21 offset:0x0 scale_offset
	s_wait_kmcnt 0x0
	s_add_co_i32 s41, s22, -1
	s_delay_alu instid0(SALU_CYCLE_1)
	s_cmp_lt_i32 s18, s41
	s_cbranch_scc1 .LBB237_18
; %bb.20:                               ;   in Loop: Header=BB237_19 Depth=2
	s_lshl_b32 s19, s18, 9
	s_lshl_b32 s26, s22, 9
	s_max_i32 s42, s22, 1
	s_add_co_i32 s43, s36, s19
	s_sub_co_i32 s44, 0, s26
	s_mul_i32 s45, s18, 0x210
	s_mul_i32 s46, s22, 0xfffffdf0
	s_branch .LBB237_22
.LBB237_21:                             ;   in Loop: Header=BB237_22 Depth=3
	s_sub_co_i32 s18, s18, s22
	s_add_co_i32 s43, s43, s44
	s_add_co_i32 s45, s45, s46
	s_cmp_lt_i32 s18, s41
	s_cbranch_scc1 .LBB237_18
.LBB237_22:                             ;   Parent Loop BB237_4 Depth=1
                                        ;     Parent Loop BB237_19 Depth=2
                                        ; =>    This Loop Header: Depth=3
                                        ;         Child Loop BB237_23 Depth 4
                                        ;         Child Loop BB237_25 Depth 4
                                        ;           Child Loop BB237_26 Depth 5
                                        ;         Child Loop BB237_30 Depth 4
                                        ;           Child Loop BB237_32 Depth 5
	s_ashr_i32 s19, s18, 31
	s_mov_b32 s26, 8
	s_wait_xcnt 0x0
	v_lshl_add_u64 v[0:1], s[18:19], 4, v[6:7]
	s_mov_b32 s27, s42
.LBB237_23:                             ;   Parent Loop BB237_4 Depth=1
                                        ;     Parent Loop BB237_19 Depth=2
                                        ;       Parent Loop BB237_22 Depth=3
                                        ; =>      This Inner Loop Header: Depth=4
	global_load_b128 v[16:19], v[0:1], off offset:-8
	s_wait_xcnt 0x0
	v_add_nc_u64_e32 v[0:1], -16, v[0:1]
	s_add_co_i32 s27, s27, -1
	s_mov_b32 s28, s26
	s_add_co_i32 s26, s26, 16
	s_cmp_eq_u32 s27, 0
	s_wait_loadcnt 0x0
	v_mul_f64_e32 v[2:3], s[6:7], v[18:19]
	v_mul_f64_e32 v[20:21], s[4:5], v[18:19]
	s_delay_alu instid0(VALU_DEP_2) | instskip(NEXT) | instid1(VALU_DEP_2)
	v_fma_f64 v[18:19], s[4:5], v[16:17], -v[2:3]
	v_fmac_f64_e32 v[20:21], s[6:7], v[16:17]
	scratch_store_b128 off, v[18:21], s28 offset:-8
	s_cbranch_scc0 .LBB237_23
; %bb.24:                               ;   in Loop: Header=BB237_22 Depth=3
	s_cmp_le_i32 s31, s18
	s_wait_xcnt 0x0
	s_mov_b32 s28, s43
	s_mov_b32 s26, s31
	s_cbranch_scc1 .LBB237_28
.LBB237_25:                             ;   Parent Loop BB237_4 Depth=1
                                        ;     Parent Loop BB237_19 Depth=2
                                        ;       Parent Loop BB237_22 Depth=3
                                        ; =>      This Loop Header: Depth=4
                                        ;           Child Loop BB237_26 Depth 5
	s_ashr_i32 s27, s26, 31
	s_mov_b32 s29, s28
	v_lshl_add_u64 v[0:1], s[26:27], 4, v[4:5]
	s_mov_b32 s27, s35
	s_mov_b32 s47, s42
	global_load_b128 v[0:3], v[0:1], off
.LBB237_26:                             ;   Parent Loop BB237_4 Depth=1
                                        ;     Parent Loop BB237_19 Depth=2
                                        ;       Parent Loop BB237_22 Depth=3
                                        ;         Parent Loop BB237_25 Depth=4
                                        ; =>        This Inner Loop Header: Depth=5
	scratch_load_b128 v[16:19], off, s27 offset:-8
	v_mov_b32_e32 v20, s29
	s_add_co_i32 s47, s47, -1
	s_addk_co_i32 s29, 0xfe00
	ds_load_b128 v[20:23], v20
	s_wait_loadcnt_dscnt 0x100
	v_mul_f64_e32 v[24:25], v[2:3], v[22:23]
	v_mul_f64_e32 v[22:23], v[0:1], v[22:23]
	s_delay_alu instid0(VALU_DEP_2) | instskip(NEXT) | instid1(VALU_DEP_2)
	v_fma_f64 v[24:25], v[0:1], v[20:21], -v[24:25]
	v_fmac_f64_e32 v[22:23], v[2:3], v[20:21]
	s_wait_loadcnt 0x0
	s_delay_alu instid0(VALU_DEP_2) | instskip(NEXT) | instid1(VALU_DEP_2)
	v_add_f64_e64 v[16:17], v[16:17], -v[24:25]
	v_add_f64_e64 v[18:19], v[18:19], -v[22:23]
	scratch_store_b128 off, v[16:19], s27 offset:-8
	s_wait_xcnt 0x0
	s_add_co_i32 s27, s27, 16
	s_cmp_eq_u32 s47, 0
	s_cbranch_scc0 .LBB237_26
; %bb.27:                               ;   in Loop: Header=BB237_25 Depth=4
	s_add_co_i32 s26, s26, -1
	s_add_co_i32 s28, s28, -16
	s_cmp_le_i32 s26, s18
	s_cbranch_scc0 .LBB237_25
.LBB237_28:                             ;   in Loop: Header=BB237_22 Depth=3
	s_mov_b32 s47, 0
	s_mov_b32 s48, s45
	s_branch .LBB237_30
.LBB237_29:                             ;   in Loop: Header=BB237_30 Depth=4
	s_wait_xcnt 0x1
	s_mulk_i32 s28, 0x210
	s_addk_co_i32 s48, 0xfe00
	v_mov_b32_e32 v16, s28
	s_lshl_b32 s28, s47, 4
	s_add_co_i32 s47, s47, 1
	s_delay_alu instid0(SALU_CYCLE_1)
	s_cmp_eq_u32 s47, s42
	ds_load_b128 v[16:19], v16
	s_wait_loadcnt_dscnt 0x0
	s_wait_xcnt 0x0
	v_mul_f64_e32 v[20:21], v[18:19], v[2:3]
	v_mul_f64_e32 v[22:23], v[16:17], v[2:3]
	s_delay_alu instid0(VALU_DEP_2) | instskip(NEXT) | instid1(VALU_DEP_2)
	v_fma_f64 v[20:21], v[16:17], v[0:1], -v[20:21]
	v_fmac_f64_e32 v[22:23], v[18:19], v[0:1]
	v_lshl_add_u64 v[0:1], s[26:27], 4, v[4:5]
	scratch_store_b128 off, v[20:23], s28
	global_store_b128 v[0:1], v[20:23], off
	s_cbranch_scc1 .LBB237_21
.LBB237_30:                             ;   Parent Loop BB237_4 Depth=1
                                        ;     Parent Loop BB237_19 Depth=2
                                        ;       Parent Loop BB237_22 Depth=3
                                        ; =>      This Loop Header: Depth=4
                                        ;           Child Loop BB237_32 Depth 5
	s_cmp_lg_u32 s47, 0
	s_cbranch_scc0 .LBB237_34
; %bb.31:                               ;   in Loop: Header=BB237_30 Depth=4
	s_lshl_b32 s26, s47, 4
	s_mov_b32 s27, s35
	scratch_load_b128 v[0:3], off, s26
	s_mov_b32 s28, s48
	s_mov_b32 s29, s47
.LBB237_32:                             ;   Parent Loop BB237_4 Depth=1
                                        ;     Parent Loop BB237_19 Depth=2
                                        ;       Parent Loop BB237_22 Depth=3
                                        ;         Parent Loop BB237_30 Depth=4
                                        ; =>        This Inner Loop Header: Depth=5
	scratch_load_b128 v[16:19], off, s27 offset:-8
	v_mov_b32_e32 v20, s28
	s_add_co_i32 s29, s29, -1
	s_add_co_i32 s28, s28, -16
	s_wait_xcnt 0x0
	s_add_co_i32 s27, s27, 16
	s_cmp_eq_u32 s29, 0
	ds_load_b128 v[20:23], v20
	s_wait_loadcnt_dscnt 0x0
	v_mul_f64_e32 v[24:25], v[22:23], v[18:19]
	v_mul_f64_e32 v[18:19], v[20:21], v[18:19]
	s_delay_alu instid0(VALU_DEP_2) | instskip(NEXT) | instid1(VALU_DEP_2)
	v_fma_f64 v[20:21], v[20:21], v[16:17], -v[24:25]
	v_fmac_f64_e32 v[18:19], v[22:23], v[16:17]
	s_delay_alu instid0(VALU_DEP_2) | instskip(NEXT) | instid1(VALU_DEP_2)
	v_add_f64_e64 v[0:1], v[0:1], -v[20:21]
	v_add_f64_e64 v[2:3], v[2:3], -v[18:19]
	scratch_store_b128 off, v[0:3], s26
	s_cbranch_scc0 .LBB237_32
; %bb.33:                               ;   in Loop: Header=BB237_30 Depth=4
	s_sub_co_i32 s28, s18, s47
	s_delay_alu instid0(SALU_CYCLE_1)
	s_ashr_i32 s29, s28, 31
	s_wait_xcnt 0x0
	s_mov_b64 s[26:27], s[28:29]
	s_branch .LBB237_29
.LBB237_34:                             ;   in Loop: Header=BB237_30 Depth=4
                                        ; implicit-def: $vgpr0_vgpr1
                                        ; implicit-def: $sgpr28
                                        ; implicit-def: $sgpr26_sgpr27
	s_cbranch_execz .LBB237_29
; %bb.35:                               ;   in Loop: Header=BB237_30 Depth=4
	scratch_load_b128 v[0:3], off, off
	s_mov_b64 s[26:27], s[18:19]
	s_mov_b32 s28, s18
	s_branch .LBB237_29
.LBB237_36:                             ;   in Loop: Header=BB237_4 Depth=1
	s_mov_b32 s18, 0
.LBB237_37:                             ;   in Loop: Header=BB237_4 Depth=1
	s_delay_alu instid0(SALU_CYCLE_1)
	s_and_b32 vcc_lo, exec_lo, s18
	s_cbranch_vccz .LBB237_2
; %bb.38:                               ;   in Loop: Header=BB237_4 Depth=1
	v_add_nc_u64_e32 v[6:7], s[16:17], v[14:15]
	s_mov_b32 s16, 0
	s_mov_b32 s21, 0
	s_branch .LBB237_40
.LBB237_39:                             ;   in Loop: Header=BB237_40 Depth=2
	s_cmp_lt_i32 s16, s30
	s_cselect_b32 s17, -1, 0
	s_add_co_i32 s18, s21, 1
	s_cmp_lt_u32 s21, 2
	s_wait_xcnt 0x0
	s_mov_b32 s21, s18
	s_cselect_b32 s19, -1, 0
	s_delay_alu instid0(SALU_CYCLE_1) | instskip(NEXT) | instid1(SALU_CYCLE_1)
	s_and_b32 s17, s17, s19
	s_and_not1_b32 vcc_lo, exec_lo, s17
	s_cbranch_vccnz .LBB237_2
.LBB237_40:                             ;   Parent Loop BB237_4 Depth=1
                                        ; =>  This Loop Header: Depth=2
                                        ;       Child Loop BB237_43 Depth 3
                                        ;         Child Loop BB237_44 Depth 4
                                        ;         Child Loop BB237_47 Depth 4
                                        ;           Child Loop BB237_48 Depth 5
                                        ;         Child Loop BB237_52 Depth 4
                                        ;           Child Loop BB237_54 Depth 5
	s_load_b32 s18, s[12:13], s21 offset:0x0 scale_offset
	s_wait_kmcnt 0x0
	s_add_co_i32 s28, s18, -1
	s_delay_alu instid0(SALU_CYCLE_1) | instskip(NEXT) | instid1(SALU_CYCLE_1)
	s_add_co_i32 s17, s28, s16
	s_cmp_ge_i32 s17, s30
	s_cbranch_scc1 .LBB237_39
; %bb.41:                               ;   in Loop: Header=BB237_40 Depth=2
	s_ashr_i32 s17, s16, 31
	s_ashr_i32 s19, s18, 31
	v_lshl_add_u64 v[16:17], s[16:17], 4, v[6:7]
	s_max_i32 s29, s18, 1
	s_lshl_b64 s[26:27], s[18:19], 4
	s_lshl_b32 s17, s16, 4
	s_lshl_b32 s19, s18, 4
	s_mul_i32 s41, s16, 0x210
	s_mul_i32 s42, s18, 0x210
	s_branch .LBB237_43
.LBB237_42:                             ;   in Loop: Header=BB237_43 Depth=3
	v_add_nc_u64_e32 v[16:17], s[26:27], v[16:17]
	s_add_co_i32 s16, s16, s18
	s_add_co_i32 s17, s17, s19
	;; [unrolled: 1-line block ×4, first 2 shown]
	s_cmp_ge_i32 s22, s30
	s_cbranch_scc1 .LBB237_39
.LBB237_43:                             ;   Parent Loop BB237_4 Depth=1
                                        ;     Parent Loop BB237_40 Depth=2
                                        ; =>    This Loop Header: Depth=3
                                        ;         Child Loop BB237_44 Depth 4
                                        ;         Child Loop BB237_47 Depth 4
                                        ;           Child Loop BB237_48 Depth 5
                                        ;         Child Loop BB237_52 Depth 4
                                        ;           Child Loop BB237_54 Depth 5
	s_wait_xcnt 0x0
	v_mov_b64_e32 v[0:1], v[16:17]
	s_mov_b32 s22, 8
	s_mov_b32 s43, s29
.LBB237_44:                             ;   Parent Loop BB237_4 Depth=1
                                        ;     Parent Loop BB237_40 Depth=2
                                        ;       Parent Loop BB237_43 Depth=3
                                        ; =>      This Inner Loop Header: Depth=4
	global_load_b128 v[18:21], v[0:1], off offset:-8
	s_wait_xcnt 0x0
	v_add_nc_u64_e32 v[0:1], 16, v[0:1]
	s_add_co_i32 s43, s43, -1
	s_mov_b32 s44, s22
	s_add_co_i32 s22, s22, 16
	s_cmp_eq_u32 s43, 0
	s_wait_loadcnt 0x0
	v_mul_f64_e32 v[2:3], s[6:7], v[20:21]
	v_mul_f64_e32 v[22:23], s[4:5], v[20:21]
	s_delay_alu instid0(VALU_DEP_2) | instskip(NEXT) | instid1(VALU_DEP_2)
	v_fma_f64 v[20:21], s[4:5], v[18:19], -v[2:3]
	v_fmac_f64_e32 v[22:23], s[6:7], v[18:19]
	scratch_store_b128 off, v[20:23], s44 offset:-8
	s_cbranch_scc0 .LBB237_44
; %bb.45:                               ;   in Loop: Header=BB237_43 Depth=3
	s_cmp_lt_i32 s16, 1
	s_cbranch_scc1 .LBB237_50
; %bb.46:                               ;   in Loop: Header=BB237_43 Depth=3
	s_mov_b32 s22, 0
	s_mov_b32 s43, s17
.LBB237_47:                             ;   Parent Loop BB237_4 Depth=1
                                        ;     Parent Loop BB237_40 Depth=2
                                        ;       Parent Loop BB237_43 Depth=3
                                        ; =>      This Loop Header: Depth=4
                                        ;           Child Loop BB237_48 Depth 5
	v_lshl_add_u64 v[0:1], s[22:23], 4, v[4:5]
	s_wait_xcnt 0x0
	s_mov_b32 s44, s35
	s_mov_b32 s45, s43
	;; [unrolled: 1-line block ×3, first 2 shown]
	global_load_b128 v[0:3], v[0:1], off
.LBB237_48:                             ;   Parent Loop BB237_4 Depth=1
                                        ;     Parent Loop BB237_40 Depth=2
                                        ;       Parent Loop BB237_43 Depth=3
                                        ;         Parent Loop BB237_47 Depth=4
                                        ; =>        This Inner Loop Header: Depth=5
	scratch_load_b128 v[18:21], off, s44 offset:-8
	v_mov_b32_e32 v22, s45
	s_add_co_i32 s46, s46, -1
	s_add_co_i32 s45, s45, 16
	ds_load_b128 v[22:25], v22
	s_wait_loadcnt_dscnt 0x100
	v_mul_f64_e32 v[26:27], v[2:3], v[24:25]
	v_mul_f64_e32 v[24:25], v[0:1], v[24:25]
	s_delay_alu instid0(VALU_DEP_2) | instskip(NEXT) | instid1(VALU_DEP_2)
	v_fma_f64 v[26:27], v[0:1], v[22:23], -v[26:27]
	v_fmac_f64_e32 v[24:25], v[2:3], v[22:23]
	s_wait_loadcnt 0x0
	s_delay_alu instid0(VALU_DEP_2) | instskip(NEXT) | instid1(VALU_DEP_2)
	v_add_f64_e64 v[18:19], v[18:19], -v[26:27]
	v_add_f64_e64 v[20:21], v[20:21], -v[24:25]
	scratch_store_b128 off, v[18:21], s44 offset:-8
	s_wait_xcnt 0x0
	s_add_co_i32 s44, s44, 16
	s_cmp_eq_u32 s46, 0
	s_cbranch_scc0 .LBB237_48
; %bb.49:                               ;   in Loop: Header=BB237_47 Depth=4
	s_add_co_i32 s22, s22, 1
	s_addk_co_i32 s43, 0x200
	s_cmp_eq_u32 s22, s16
	s_cbranch_scc0 .LBB237_47
.LBB237_50:                             ;   in Loop: Header=BB237_43 Depth=3
	s_mov_b32 s22, 0
	s_mov_b32 s43, s41
	s_branch .LBB237_52
.LBB237_51:                             ;   in Loop: Header=BB237_52 Depth=4
	s_add_co_i32 s44, s22, s16
	s_lshl_b32 s46, s22, 4
	s_mul_i32 s45, s44, 0x210
	s_add_co_i32 s22, s22, 1
	v_mov_b32_e32 v18, s45
	s_ashr_i32 s45, s44, 31
	s_add_co_i32 s43, s43, 16
	s_cmp_eq_u32 s22, s29
	ds_load_b128 v[18:21], v18
	s_wait_loadcnt_dscnt 0x0
	v_mul_f64_e32 v[22:23], v[20:21], v[2:3]
	v_mul_f64_e32 v[24:25], v[18:19], v[2:3]
	s_delay_alu instid0(VALU_DEP_2) | instskip(NEXT) | instid1(VALU_DEP_2)
	v_fma_f64 v[22:23], v[18:19], v[0:1], -v[22:23]
	v_fmac_f64_e32 v[24:25], v[20:21], v[0:1]
	v_lshl_add_u64 v[0:1], s[44:45], 4, v[4:5]
	scratch_store_b128 off, v[22:25], s46
	global_store_b128 v[0:1], v[22:25], off
	s_cbranch_scc1 .LBB237_42
.LBB237_52:                             ;   Parent Loop BB237_4 Depth=1
                                        ;     Parent Loop BB237_40 Depth=2
                                        ;       Parent Loop BB237_43 Depth=3
                                        ; =>      This Loop Header: Depth=4
                                        ;           Child Loop BB237_54 Depth 5
	s_cmp_lg_u32 s22, 0
	s_cbranch_scc0 .LBB237_56
; %bb.53:                               ;   in Loop: Header=BB237_52 Depth=4
	s_wait_xcnt 0x0
	s_lshl_b32 s44, s22, 4
	s_mov_b32 s45, s35
	scratch_load_b128 v[0:3], off, s44
	s_mov_b32 s46, s43
	s_mov_b32 s47, s22
.LBB237_54:                             ;   Parent Loop BB237_4 Depth=1
                                        ;     Parent Loop BB237_40 Depth=2
                                        ;       Parent Loop BB237_43 Depth=3
                                        ;         Parent Loop BB237_52 Depth=4
                                        ; =>        This Inner Loop Header: Depth=5
	scratch_load_b128 v[18:21], off, s45 offset:-8
	v_mov_b32_e32 v22, s46
	s_add_co_i32 s47, s47, -1
	s_addk_co_i32 s46, 0x200
	s_wait_xcnt 0x0
	s_add_co_i32 s45, s45, 16
	s_cmp_eq_u32 s47, 0
	ds_load_b128 v[22:25], v22
	s_wait_loadcnt_dscnt 0x0
	v_mul_f64_e32 v[26:27], v[24:25], v[20:21]
	v_mul_f64_e32 v[20:21], v[22:23], v[20:21]
	s_delay_alu instid0(VALU_DEP_2) | instskip(NEXT) | instid1(VALU_DEP_2)
	v_fma_f64 v[22:23], v[22:23], v[18:19], -v[26:27]
	v_fmac_f64_e32 v[20:21], v[24:25], v[18:19]
	s_delay_alu instid0(VALU_DEP_2) | instskip(NEXT) | instid1(VALU_DEP_2)
	v_add_f64_e64 v[0:1], v[0:1], -v[22:23]
	v_add_f64_e64 v[2:3], v[2:3], -v[20:21]
	scratch_store_b128 off, v[0:3], s44
	s_cbranch_scc0 .LBB237_54
; %bb.55:                               ;   in Loop: Header=BB237_52 Depth=4
	s_wait_xcnt 0x0
	s_branch .LBB237_51
.LBB237_56:                             ;   in Loop: Header=BB237_52 Depth=4
	s_wait_xcnt 0x0
                                        ; implicit-def: $vgpr0_vgpr1
	s_cbranch_execz .LBB237_51
; %bb.57:                               ;   in Loop: Header=BB237_52 Depth=4
	scratch_load_b128 v[0:3], off, off
	s_branch .LBB237_51
.LBB237_58:
	s_or_b32 exec_lo, exec_lo, s37
	s_and_saveexec_b32 s0, s38
	s_delay_alu instid0(SALU_CYCLE_1)
	s_xor_b32 s0, exec_lo, s0
.LBB237_59:
	s_endpgm
	.section	.rodata,"a",@progbits
	.p2align	6, 0x0
	.amdhsa_kernel _ZL30rocblas_trsm_small_left_deviceILi32ELi32ELb1E19rocblas_complex_numIdES1_PKS1_PS1_Ev13rocblas_fill_18rocblas_operation_17rocblas_diagonal_iiT3_T4_lilT5_lili
		.amdhsa_group_segment_fixed_size 16384
		.amdhsa_private_segment_fixed_size 528
		.amdhsa_kernarg_size 368
		.amdhsa_user_sgpr_count 2
		.amdhsa_user_sgpr_dispatch_ptr 0
		.amdhsa_user_sgpr_queue_ptr 0
		.amdhsa_user_sgpr_kernarg_segment_ptr 1
		.amdhsa_user_sgpr_dispatch_id 0
		.amdhsa_user_sgpr_kernarg_preload_length 0
		.amdhsa_user_sgpr_kernarg_preload_offset 0
		.amdhsa_user_sgpr_private_segment_size 0
		.amdhsa_wavefront_size32 1
		.amdhsa_uses_dynamic_stack 0
		.amdhsa_enable_private_segment 1
		.amdhsa_system_sgpr_workgroup_id_x 1
		.amdhsa_system_sgpr_workgroup_id_y 0
		.amdhsa_system_sgpr_workgroup_id_z 1
		.amdhsa_system_sgpr_workgroup_info 0
		.amdhsa_system_vgpr_workitem_id 0
		.amdhsa_next_free_vgpr 161
		.amdhsa_next_free_sgpr 49
		.amdhsa_named_barrier_count 0
		.amdhsa_reserve_vcc 1
		.amdhsa_float_round_mode_32 0
		.amdhsa_float_round_mode_16_64 0
		.amdhsa_float_denorm_mode_32 3
		.amdhsa_float_denorm_mode_16_64 3
		.amdhsa_fp16_overflow 0
		.amdhsa_memory_ordered 1
		.amdhsa_forward_progress 1
		.amdhsa_inst_pref_size 21
		.amdhsa_round_robin_scheduling 0
		.amdhsa_exception_fp_ieee_invalid_op 0
		.amdhsa_exception_fp_denorm_src 0
		.amdhsa_exception_fp_ieee_div_zero 0
		.amdhsa_exception_fp_ieee_overflow 0
		.amdhsa_exception_fp_ieee_underflow 0
		.amdhsa_exception_fp_ieee_inexact 0
		.amdhsa_exception_int_div_zero 0
	.end_amdhsa_kernel
	.section	.text._ZL30rocblas_trsm_small_left_deviceILi32ELi32ELb1E19rocblas_complex_numIdES1_PKS1_PS1_Ev13rocblas_fill_18rocblas_operation_17rocblas_diagonal_iiT3_T4_lilT5_lili,"axG",@progbits,_ZL30rocblas_trsm_small_left_deviceILi32ELi32ELb1E19rocblas_complex_numIdES1_PKS1_PS1_Ev13rocblas_fill_18rocblas_operation_17rocblas_diagonal_iiT3_T4_lilT5_lili,comdat
.Lfunc_end237:
	.size	_ZL30rocblas_trsm_small_left_deviceILi32ELi32ELb1E19rocblas_complex_numIdES1_PKS1_PS1_Ev13rocblas_fill_18rocblas_operation_17rocblas_diagonal_iiT3_T4_lilT5_lili, .Lfunc_end237-_ZL30rocblas_trsm_small_left_deviceILi32ELi32ELb1E19rocblas_complex_numIdES1_PKS1_PS1_Ev13rocblas_fill_18rocblas_operation_17rocblas_diagonal_iiT3_T4_lilT5_lili
                                        ; -- End function
	.set _ZL30rocblas_trsm_small_left_deviceILi32ELi32ELb1E19rocblas_complex_numIdES1_PKS1_PS1_Ev13rocblas_fill_18rocblas_operation_17rocblas_diagonal_iiT3_T4_lilT5_lili.num_vgpr, 28
	.set _ZL30rocblas_trsm_small_left_deviceILi32ELi32ELb1E19rocblas_complex_numIdES1_PKS1_PS1_Ev13rocblas_fill_18rocblas_operation_17rocblas_diagonal_iiT3_T4_lilT5_lili.num_agpr, 0
	.set _ZL30rocblas_trsm_small_left_deviceILi32ELi32ELb1E19rocblas_complex_numIdES1_PKS1_PS1_Ev13rocblas_fill_18rocblas_operation_17rocblas_diagonal_iiT3_T4_lilT5_lili.numbered_sgpr, 49
	.set _ZL30rocblas_trsm_small_left_deviceILi32ELi32ELb1E19rocblas_complex_numIdES1_PKS1_PS1_Ev13rocblas_fill_18rocblas_operation_17rocblas_diagonal_iiT3_T4_lilT5_lili.num_named_barrier, 0
	.set _ZL30rocblas_trsm_small_left_deviceILi32ELi32ELb1E19rocblas_complex_numIdES1_PKS1_PS1_Ev13rocblas_fill_18rocblas_operation_17rocblas_diagonal_iiT3_T4_lilT5_lili.private_seg_size, 528
	.set _ZL30rocblas_trsm_small_left_deviceILi32ELi32ELb1E19rocblas_complex_numIdES1_PKS1_PS1_Ev13rocblas_fill_18rocblas_operation_17rocblas_diagonal_iiT3_T4_lilT5_lili.uses_vcc, 1
	.set _ZL30rocblas_trsm_small_left_deviceILi32ELi32ELb1E19rocblas_complex_numIdES1_PKS1_PS1_Ev13rocblas_fill_18rocblas_operation_17rocblas_diagonal_iiT3_T4_lilT5_lili.uses_flat_scratch, 0
	.set _ZL30rocblas_trsm_small_left_deviceILi32ELi32ELb1E19rocblas_complex_numIdES1_PKS1_PS1_Ev13rocblas_fill_18rocblas_operation_17rocblas_diagonal_iiT3_T4_lilT5_lili.has_dyn_sized_stack, 0
	.set _ZL30rocblas_trsm_small_left_deviceILi32ELi32ELb1E19rocblas_complex_numIdES1_PKS1_PS1_Ev13rocblas_fill_18rocblas_operation_17rocblas_diagonal_iiT3_T4_lilT5_lili.has_recursion, 0
	.set _ZL30rocblas_trsm_small_left_deviceILi32ELi32ELb1E19rocblas_complex_numIdES1_PKS1_PS1_Ev13rocblas_fill_18rocblas_operation_17rocblas_diagonal_iiT3_T4_lilT5_lili.has_indirect_call, 0
	.section	.AMDGPU.csdata,"",@progbits
; Kernel info:
; codeLenInByte = 2684
; TotalNumSgprs: 51
; NumVgprs: 28
; ScratchSize: 528
; MemoryBound: 0
; FloatMode: 240
; IeeeMode: 1
; LDSByteSize: 16384 bytes/workgroup (compile time only)
; SGPRBlocks: 0
; VGPRBlocks: 10
; NumSGPRsForWavesPerEU: 51
; NumVGPRsForWavesPerEU: 161
; NamedBarCnt: 0
; Occupancy: 5
; WaveLimiterHint : 0
; COMPUTE_PGM_RSRC2:SCRATCH_EN: 1
; COMPUTE_PGM_RSRC2:USER_SGPR: 2
; COMPUTE_PGM_RSRC2:TRAP_HANDLER: 0
; COMPUTE_PGM_RSRC2:TGID_X_EN: 1
; COMPUTE_PGM_RSRC2:TGID_Y_EN: 0
; COMPUTE_PGM_RSRC2:TGID_Z_EN: 1
; COMPUTE_PGM_RSRC2:TIDIG_COMP_CNT: 0
	.section	.text._ZL31rocblas_trsm_small_right_deviceI19rocblas_complex_numIdES1_PKS1_PS1_Li32EEv13rocblas_fill_18rocblas_operation_17rocblas_diagonal_iiT0_T1_lilT2_lili,"axG",@progbits,_ZL31rocblas_trsm_small_right_deviceI19rocblas_complex_numIdES1_PKS1_PS1_Li32EEv13rocblas_fill_18rocblas_operation_17rocblas_diagonal_iiT0_T1_lilT2_lili,comdat
	.globl	_ZL31rocblas_trsm_small_right_deviceI19rocblas_complex_numIdES1_PKS1_PS1_Li32EEv13rocblas_fill_18rocblas_operation_17rocblas_diagonal_iiT0_T1_lilT2_lili ; -- Begin function _ZL31rocblas_trsm_small_right_deviceI19rocblas_complex_numIdES1_PKS1_PS1_Li32EEv13rocblas_fill_18rocblas_operation_17rocblas_diagonal_iiT0_T1_lilT2_lili
	.p2align	8
	.type	_ZL31rocblas_trsm_small_right_deviceI19rocblas_complex_numIdES1_PKS1_PS1_Li32EEv13rocblas_fill_18rocblas_operation_17rocblas_diagonal_iiT0_T1_lilT2_lili,@function
_ZL31rocblas_trsm_small_right_deviceI19rocblas_complex_numIdES1_PKS1_PS1_Li32EEv13rocblas_fill_18rocblas_operation_17rocblas_diagonal_iiT0_T1_lilT2_lili: ; @_ZL31rocblas_trsm_small_right_deviceI19rocblas_complex_numIdES1_PKS1_PS1_Li32EEv13rocblas_fill_18rocblas_operation_17rocblas_diagonal_iiT0_T1_lilT2_lili
; %bb.0:
	s_load_b32 s3, s[0:1], 0x68
	s_bfe_u32 s2, ttmp6, 0x40014
	s_lshr_b32 s5, ttmp7, 16
	s_add_co_i32 s2, s2, 1
	s_bfe_u32 s6, ttmp6, 0x40008
	s_mul_i32 s2, s5, s2
	s_getreg_b32 s4, hwreg(HW_REG_IB_STS2, 6, 4)
	s_add_co_i32 s6, s6, s2
	s_cmp_eq_u32 s4, 0
	s_mov_b32 s25, 0
	s_cselect_b32 s24, s5, s6
	s_wait_kmcnt 0x0
	s_cmp_ge_u32 s24, s3
	s_cbranch_scc1 .LBB238_146
; %bb.1:
	s_clause 0x6
	s_load_b32 s26, s[0:1], 0x38
	s_load_b96 s[20:22], s[0:1], 0x50
	s_load_b128 s[16:19], s[0:1], 0x0
	s_load_b32 s30, s[0:1], 0x10
	s_load_b32 s5, s[0:1], 0x70
	s_load_b64 s[28:29], s[0:1], 0x60
	s_load_b128 s[12:15], s[0:1], 0x40
	v_dual_lshlrev_b32 v28, 4, v0 :: v_dual_lshlrev_b32 v3, 9, v0
	s_delay_alu instid0(VALU_DEP_1) | instskip(NEXT) | instid1(VALU_DEP_2)
	v_or_b32_e32 v34, 0x4000, v28
	v_dual_mov_b32 v3, 0x3ff00000 :: v_dual_add_nc_u32 v36, v28, v3
	s_wait_kmcnt 0x0
	s_ashr_i32 s27, s26, 31
	s_ashr_i32 s23, s22, 31
	s_cmp_lg_u32 s16, 0x7a
	s_cselect_b32 s34, -1, 0
	s_cmp_eq_u32 s17, 0x71
	s_cselect_b32 s2, -1, 0
	s_bfe_u32 s6, ttmp6, 0x4000c
	s_min_i32 s31, s30, 32
	s_add_co_i32 s6, s6, 1
	s_add_co_i32 s35, s5, -1
	s_and_b32 s5, ttmp6, 15
	s_mul_i32 s6, ttmp9, s6
	s_add_co_i32 s33, s31, -1
	s_add_co_i32 s36, s5, s6
	s_cmp_eq_u32 s4, 0
	s_load_b256 s[4:11], s[0:1], 0x18
	s_wait_xcnt 0x0
	s_cselect_b32 s0, ttmp9, s36
	s_mul_i32 s38, s31, 0x210
	s_lshl_b32 s1, s0, 5
	s_delay_alu instid0(SALU_CYCLE_1)
	s_sub_co_i32 s1, s19, s1
	s_cmp_ge_u32 s0, s35
	s_cselect_b32 s19, s1, 32
	s_ashr_i32 s1, s0, 31
	v_cmp_gt_i32_e32 vcc_lo, s19, v0
	s_lshl_b64 s[36:37], s[0:1], 9
	s_cmp_eq_u32 s18, 0x84
	v_cmp_gt_i32_e64 s0, s31, v0
	s_cselect_b32 s1, -1, 0
	s_cmp_gt_i32 s30, 0
	s_cselect_b32 s35, -1, 0
	s_cmp_lg_u32 s17, 0x6f
	s_cselect_b32 s17, -1, 0
	s_cmp_lg_u32 s16, 0x79
	s_cselect_b32 s16, -1, 0
	s_or_b32 s18, s34, s17
	s_or_b32 s19, s16, s17
	s_cmp_gt_i32 s30, 3
	v_cndmask_b32_e64 v35, 0, 1, s16
	s_cselect_b32 s34, -1, 0
	s_wait_kmcnt 0x0
	s_lshl_b64 s[16:17], s[10:11], 4
	s_lshl_b64 s[10:11], s[12:13], 4
	s_lshl_b64 s[12:13], s[26:27], 4
	s_lshl_b32 s26, s31, 9
	s_delay_alu instid0(SALU_CYCLE_1) | instskip(SKIP_3) | instid1(VALU_DEP_1)
	v_dual_mov_b32 v2, 0 :: v_dual_bitop2_b32 v6, s26, v28 bitop3:0x54
	s_lshl_b64 s[20:21], s[20:21], 4
	s_add_nc_u64 s[8:9], s[8:9], s[16:17]
	s_add_nc_u64 s[16:17], s[36:37], s[20:21]
	v_mov_b32_e32 v29, v2
	s_add_nc_u64 s[14:15], s[14:15], s[16:17]
	s_and_b32 s35, vcc_lo, s35
	s_add_co_i32 s20, s38, 0xfffffdc0
	s_add_co_i32 s21, s26, 0xfffffe00
	v_add_nc_u64_e32 v[4:5], s[8:9], v[28:29]
	v_add_nc_u64_e32 v[0:1], s[14:15], v[28:29]
	v_add_nc_u32_e32 v29, 0x3e00, v6
	s_lshl_b64 s[14:15], s[22:23], 4
	s_lshl_b32 s23, s31, 4
	s_lshl_b64 s[8:9], s[28:29], 4
	s_add_co_i32 s22, s38, 0xfffff7f0
	v_add_nc_u64_e32 v[30:31], 8, v[4:5]
	v_add_nc_u64_e32 v[32:33], 8, v[0:1]
	s_add_co_i32 s23, s23, -16
	s_branch .LBB238_3
.LBB238_2:                              ;   in Loop: Header=BB238_3 Depth=1
	s_or_b32 exec_lo, exec_lo, s26
	s_add_co_i32 s24, s24, 0x10000
	s_delay_alu instid0(SALU_CYCLE_1)
	s_cmp_lt_u32 s24, s3
	s_cbranch_scc0 .LBB238_146
.LBB238_3:                              ; =>This Loop Header: Depth=1
                                        ;     Child Loop BB238_5 Depth 2
                                        ;     Child Loop BB238_10 Depth 2
	;; [unrolled: 1-line block ×3, first 2 shown]
                                        ;       Child Loop BB238_17 Depth 3
                                        ;     Child Loop BB238_39 Depth 2
                                        ;       Child Loop BB238_40 Depth 3
                                        ;     Child Loop BB238_48 Depth 2
	;; [unrolled: 2-line block ×8, first 2 shown]
	s_and_saveexec_b32 s16, s0
	s_cbranch_execz .LBB238_8
; %bb.4:                                ;   in Loop: Header=BB238_3 Depth=1
	s_delay_alu instid0(VALU_DEP_2) | instskip(SKIP_2) | instid1(VALU_DEP_2)
	v_mad_nc_u64_u32 v[4:5], s10, s24, v[30:31]
	v_mov_b32_e32 v6, v28
	s_mov_b32 s17, s31
	v_mad_u32 v5, s11, s24, v5
.LBB238_5:                              ;   Parent Loop BB238_3 Depth=1
                                        ; =>  This Inner Loop Header: Depth=2
	global_load_b128 v[8:11], v[4:5], off offset:-8
	s_wait_xcnt 0x0
	v_add_nc_u64_e32 v[4:5], s[12:13], v[4:5]
	s_add_co_i32 s17, s17, -1
	s_delay_alu instid0(SALU_CYCLE_1) | instskip(SKIP_2) | instid1(VALU_DEP_1)
	s_cmp_eq_u32 s17, 0
	s_wait_loadcnt 0x0
	v_xor_b32_e32 v7, 0x80000000, v11
	v_cndmask_b32_e64 v11, v11, v7, s2
	ds_store_b128 v6, v[8:11]
	v_add_nc_u32_e32 v6, 0x200, v6
	s_cbranch_scc0 .LBB238_5
; %bb.6:                                ;   in Loop: Header=BB238_3 Depth=1
	s_and_b32 vcc_lo, exec_lo, s1
	s_cbranch_vccz .LBB238_8
; %bb.7:                                ;   in Loop: Header=BB238_3 Depth=1
	v_dual_mov_b32 v4, v2 :: v_dual_mov_b32 v5, v2
	ds_store_b128 v36, v[2:5]
.LBB238_8:                              ;   in Loop: Header=BB238_3 Depth=1
	s_or_b32 exec_lo, exec_lo, s16
	s_mul_u64 s[16:17], s[8:9], s[24:25]
	s_and_saveexec_b32 s26, s35
	s_cbranch_execz .LBB238_11
; %bb.9:                                ;   in Loop: Header=BB238_3 Depth=1
	v_add_nc_u64_e32 v[4:5], s[16:17], v[32:33]
	v_mov_b32_e32 v6, v34
	s_mov_b32 s27, s30
.LBB238_10:                             ;   Parent Loop BB238_3 Depth=1
                                        ; =>  This Inner Loop Header: Depth=2
	global_load_b128 v[8:11], v[4:5], off offset:-8
	s_wait_xcnt 0x0
	v_add_nc_u64_e32 v[4:5], s[14:15], v[4:5]
	s_add_co_i32 s27, s27, -1
	s_delay_alu instid0(SALU_CYCLE_1) | instskip(SKIP_3) | instid1(VALU_DEP_2)
	s_cmp_lg_u32 s27, 0
	s_wait_loadcnt 0x0
	v_mul_f64_e32 v[14:15], s[6:7], v[10:11]
	v_mul_f64_e32 v[12:13], s[4:5], v[10:11]
	v_fma_f64 v[10:11], s[4:5], v[8:9], -v[14:15]
	s_delay_alu instid0(VALU_DEP_2)
	v_fmac_f64_e32 v[12:13], s[6:7], v[8:9]
	ds_store_b128 v6, v[10:13]
	v_add_nc_u32_e32 v6, 0x200, v6
	s_cbranch_scc1 .LBB238_10
.LBB238_11:                             ;   in Loop: Header=BB238_3 Depth=1
	s_or_b32 exec_lo, exec_lo, s26
	s_delay_alu instid0(SALU_CYCLE_1)
	s_and_b32 vcc_lo, exec_lo, s19
	s_mov_b32 s26, -1
	s_wait_dscnt 0x0
	; wave barrier
	s_cbranch_vccz .LBB238_111
; %bb.12:                               ;   in Loop: Header=BB238_3 Depth=1
	s_and_b32 vcc_lo, exec_lo, s18
	s_cbranch_vccz .LBB238_78
; %bb.13:                               ;   in Loop: Header=BB238_3 Depth=1
	v_cmp_ne_u32_e32 vcc_lo, 1, v35
	s_cbranch_vccnz .LBB238_46
; %bb.14:                               ;   in Loop: Header=BB238_3 Depth=1
	s_and_not1_b32 vcc_lo, exec_lo, s34
	s_mov_b32 s28, 0
	s_cbranch_vccnz .LBB238_36
; %bb.15:                               ;   in Loop: Header=BB238_3 Depth=1
	s_mov_b32 s26, 0
	s_mov_b32 s27, 0
.LBB238_16:                             ;   Parent Loop BB238_3 Depth=1
                                        ; =>  This Loop Header: Depth=2
                                        ;       Child Loop BB238_17 Depth 3
	s_delay_alu instid0(SALU_CYCLE_1) | instskip(SKIP_3) | instid1(SALU_CYCLE_1)
	s_lshl_b32 s37, s27, 9
	s_or_b32 s36, s27, 1
	s_or_b32 s28, s27, 2
	;; [unrolled: 1-line block ×3, first 2 shown]
	v_dual_add_nc_u32 v40, s37, v34 :: v_dual_add_nc_u32 v37, s29, v34
	v_lshl_add_u32 v39, s36, 9, v34
	v_lshl_add_u32 v38, s28, 9, v34
	ds_load_b128 v[20:23], v40
	ds_load_b128 v[16:19], v39
	;; [unrolled: 1-line block ×4, first 2 shown]
	v_mov_b32_e32 v12, v34
	s_cmp_eq_u32 s27, 0
	s_mov_b32 s29, s26
	s_mov_b32 s38, s27
	s_cbranch_scc1 .LBB238_18
.LBB238_17:                             ;   Parent Loop BB238_3 Depth=1
                                        ;     Parent Loop BB238_16 Depth=2
                                        ; =>    This Inner Loop Header: Depth=3
	v_mov_b32_e32 v13, s29
	s_add_co_i32 s38, s38, -1
	s_addk_co_i32 s29, 0x200
	s_cmp_eq_u32 s38, 0
	ds_load_b128 v[24:27], v12
	ds_load_b128 v[42:45], v13
	ds_load_b128 v[46:49], v13 offset:16
	ds_load_b128 v[50:53], v13 offset:32
	;; [unrolled: 1-line block ×3, first 2 shown]
	v_add_nc_u32_e32 v12, 0x200, v12
	s_wait_dscnt 0x3
	v_mul_f64_e32 v[14:15], v[26:27], v[44:45]
	v_mul_f64_e32 v[44:45], v[24:25], v[44:45]
	s_wait_dscnt 0x2
	v_mul_f64_e32 v[58:59], v[26:27], v[48:49]
	v_mul_f64_e32 v[48:49], v[24:25], v[48:49]
	;; [unrolled: 3-line block ×4, first 2 shown]
	v_fma_f64 v[14:15], v[24:25], v[42:43], -v[14:15]
	v_fmac_f64_e32 v[44:45], v[26:27], v[42:43]
	v_fma_f64 v[42:43], v[24:25], v[46:47], -v[58:59]
	v_fmac_f64_e32 v[48:49], v[26:27], v[46:47]
	;; [unrolled: 2-line block ×4, first 2 shown]
	v_add_f64_e64 v[20:21], v[20:21], -v[14:15]
	v_add_f64_e64 v[22:23], v[22:23], -v[44:45]
	;; [unrolled: 1-line block ×8, first 2 shown]
	s_cbranch_scc0 .LBB238_17
.LBB238_18:                             ;   in Loop: Header=BB238_16 Depth=2
	s_lshl_b32 s29, s27, 4
	s_delay_alu instid0(SALU_CYCLE_1) | instskip(NEXT) | instid1(SALU_CYCLE_1)
	s_add_co_i32 s37, s29, s37
	v_mov_b32_e32 v12, s37
	ds_load_b128 v[24:27], v12
                                        ; implicit-def: $vgpr14_vgpr15
	s_wait_dscnt 0x0
	v_cmp_ngt_f64_e64 s38, |v[24:25]|, |v[26:27]|
	s_and_b32 vcc_lo, exec_lo, s38
	s_mov_b32 s38, -1
	s_cbranch_vccz .LBB238_20
; %bb.19:                               ;   in Loop: Header=BB238_16 Depth=2
	v_div_scale_f64 v[12:13], null, v[26:27], v[26:27], v[24:25]
	v_div_scale_f64 v[44:45], vcc_lo, v[24:25], v[26:27], v[24:25]
	s_mov_b32 s38, 0
	v_rcp_f64_e32 v[14:15], v[12:13]
	v_nop
	s_delay_alu instid0(TRANS32_DEP_1) | instskip(NEXT) | instid1(VALU_DEP_1)
	v_fma_f64 v[42:43], -v[12:13], v[14:15], 1.0
	v_fmac_f64_e32 v[14:15], v[14:15], v[42:43]
	s_delay_alu instid0(VALU_DEP_1) | instskip(NEXT) | instid1(VALU_DEP_1)
	v_fma_f64 v[42:43], -v[12:13], v[14:15], 1.0
	v_fmac_f64_e32 v[14:15], v[14:15], v[42:43]
	s_delay_alu instid0(VALU_DEP_1) | instskip(NEXT) | instid1(VALU_DEP_1)
	v_mul_f64_e32 v[42:43], v[44:45], v[14:15]
	v_fma_f64 v[12:13], -v[12:13], v[42:43], v[44:45]
	s_delay_alu instid0(VALU_DEP_1) | instskip(NEXT) | instid1(VALU_DEP_1)
	v_div_fmas_f64 v[12:13], v[12:13], v[14:15], v[42:43]
	v_div_fixup_f64 v[12:13], v[12:13], v[26:27], v[24:25]
	s_delay_alu instid0(VALU_DEP_1) | instskip(NEXT) | instid1(VALU_DEP_1)
	v_fma_f64 v[14:15], v[24:25], v[12:13], v[26:27]
	v_div_scale_f64 v[42:43], null, v[14:15], v[14:15], 1.0
	v_div_scale_f64 v[48:49], vcc_lo, 1.0, v[14:15], 1.0
	s_delay_alu instid0(VALU_DEP_2) | instskip(SKIP_1) | instid1(TRANS32_DEP_1)
	v_rcp_f64_e32 v[44:45], v[42:43]
	v_nop
	v_fma_f64 v[46:47], -v[42:43], v[44:45], 1.0
	s_delay_alu instid0(VALU_DEP_1) | instskip(NEXT) | instid1(VALU_DEP_1)
	v_fmac_f64_e32 v[44:45], v[44:45], v[46:47]
	v_fma_f64 v[46:47], -v[42:43], v[44:45], 1.0
	s_delay_alu instid0(VALU_DEP_1) | instskip(NEXT) | instid1(VALU_DEP_1)
	v_fmac_f64_e32 v[44:45], v[44:45], v[46:47]
	v_mul_f64_e32 v[46:47], v[48:49], v[44:45]
	s_delay_alu instid0(VALU_DEP_1) | instskip(NEXT) | instid1(VALU_DEP_1)
	v_fma_f64 v[42:43], -v[42:43], v[46:47], v[48:49]
	v_div_fmas_f64 v[42:43], v[42:43], v[44:45], v[46:47]
	v_fma_f64 v[44:45], v[20:21], v[12:13], v[22:23]
	s_delay_alu instid0(VALU_DEP_2) | instskip(SKIP_1) | instid1(VALU_DEP_2)
	v_div_fixup_f64 v[14:15], v[42:43], v[14:15], 1.0
	v_fma_f64 v[42:43], v[22:23], v[12:13], -v[20:21]
	v_mul_f64_e32 v[12:13], v[44:45], v[14:15]
	s_delay_alu instid0(VALU_DEP_2)
	v_mul_f64_e32 v[14:15], v[42:43], v[14:15]
.LBB238_20:                             ;   in Loop: Header=BB238_16 Depth=2
	s_and_not1_b32 vcc_lo, exec_lo, s38
	s_cbranch_vccnz .LBB238_22
; %bb.21:                               ;   in Loop: Header=BB238_16 Depth=2
	v_div_scale_f64 v[12:13], null, v[24:25], v[24:25], v[26:27]
	v_div_scale_f64 v[44:45], vcc_lo, v[26:27], v[24:25], v[26:27]
	s_delay_alu instid0(VALU_DEP_2) | instskip(SKIP_1) | instid1(TRANS32_DEP_1)
	v_rcp_f64_e32 v[14:15], v[12:13]
	v_nop
	v_fma_f64 v[42:43], -v[12:13], v[14:15], 1.0
	s_delay_alu instid0(VALU_DEP_1) | instskip(NEXT) | instid1(VALU_DEP_1)
	v_fmac_f64_e32 v[14:15], v[14:15], v[42:43]
	v_fma_f64 v[42:43], -v[12:13], v[14:15], 1.0
	s_delay_alu instid0(VALU_DEP_1) | instskip(NEXT) | instid1(VALU_DEP_1)
	v_fmac_f64_e32 v[14:15], v[14:15], v[42:43]
	v_mul_f64_e32 v[42:43], v[44:45], v[14:15]
	s_delay_alu instid0(VALU_DEP_1) | instskip(NEXT) | instid1(VALU_DEP_1)
	v_fma_f64 v[12:13], -v[12:13], v[42:43], v[44:45]
	v_div_fmas_f64 v[12:13], v[12:13], v[14:15], v[42:43]
	s_delay_alu instid0(VALU_DEP_1) | instskip(NEXT) | instid1(VALU_DEP_1)
	v_div_fixup_f64 v[12:13], v[12:13], v[24:25], v[26:27]
	v_fmac_f64_e32 v[24:25], v[26:27], v[12:13]
	s_delay_alu instid0(VALU_DEP_1) | instskip(SKIP_1) | instid1(VALU_DEP_2)
	v_div_scale_f64 v[14:15], null, v[24:25], v[24:25], 1.0
	v_div_scale_f64 v[44:45], vcc_lo, 1.0, v[24:25], 1.0
	v_rcp_f64_e32 v[26:27], v[14:15]
	v_nop
	s_delay_alu instid0(TRANS32_DEP_1) | instskip(NEXT) | instid1(VALU_DEP_1)
	v_fma_f64 v[42:43], -v[14:15], v[26:27], 1.0
	v_fmac_f64_e32 v[26:27], v[26:27], v[42:43]
	s_delay_alu instid0(VALU_DEP_1) | instskip(NEXT) | instid1(VALU_DEP_1)
	v_fma_f64 v[42:43], -v[14:15], v[26:27], 1.0
	v_fmac_f64_e32 v[26:27], v[26:27], v[42:43]
	s_delay_alu instid0(VALU_DEP_1) | instskip(NEXT) | instid1(VALU_DEP_1)
	v_mul_f64_e32 v[42:43], v[44:45], v[26:27]
	v_fma_f64 v[14:15], -v[14:15], v[42:43], v[44:45]
	s_delay_alu instid0(VALU_DEP_1) | instskip(SKIP_2) | instid1(VALU_DEP_3)
	v_div_fmas_f64 v[14:15], v[14:15], v[26:27], v[42:43]
	v_fma_f64 v[26:27], v[22:23], v[12:13], v[20:21]
	v_fma_f64 v[20:21], -v[20:21], v[12:13], v[22:23]
	v_div_fixup_f64 v[14:15], v[14:15], v[24:25], 1.0
	s_delay_alu instid0(VALU_DEP_1) | instskip(NEXT) | instid1(VALU_DEP_3)
	v_mul_f64_e32 v[12:13], v[26:27], v[14:15]
	v_mul_f64_e32 v[14:15], v[20:21], v[14:15]
.LBB238_22:                             ;   in Loop: Header=BB238_16 Depth=2
	v_mov_b32_e32 v20, s37
	ds_load_b128 v[24:27], v20 offset:16
	ds_load_b128 v[20:23], v20 offset:528
	ds_store_b128 v40, v[12:15]
	s_wait_dscnt 0x2
	v_mul_f64_e32 v[42:43], v[14:15], v[26:27]
	v_mul_f64_e32 v[26:27], v[12:13], v[26:27]
	s_wait_dscnt 0x1
	v_cmp_ngt_f64_e64 s38, |v[20:21]|, |v[22:23]|
	s_delay_alu instid0(VALU_DEP_3) | instskip(NEXT) | instid1(VALU_DEP_3)
	v_fma_f64 v[42:43], v[12:13], v[24:25], -v[42:43]
	v_fmac_f64_e32 v[26:27], v[14:15], v[24:25]
	s_and_b32 vcc_lo, exec_lo, s38
	s_mov_b32 s38, -1
	s_delay_alu instid0(VALU_DEP_2) | instskip(NEXT) | instid1(VALU_DEP_2)
	v_add_f64_e64 v[24:25], v[16:17], -v[42:43]
	v_add_f64_e64 v[26:27], v[18:19], -v[26:27]
                                        ; implicit-def: $vgpr18_vgpr19
	s_cbranch_vccz .LBB238_24
; %bb.23:                               ;   in Loop: Header=BB238_16 Depth=2
	v_div_scale_f64 v[16:17], null, v[22:23], v[22:23], v[20:21]
	v_div_scale_f64 v[42:43], vcc_lo, v[20:21], v[22:23], v[20:21]
	s_mov_b32 s38, 0
	v_rcp_f64_e32 v[18:19], v[16:17]
	v_nop
	s_delay_alu instid0(TRANS32_DEP_1) | instskip(NEXT) | instid1(VALU_DEP_1)
	v_fma_f64 v[40:41], -v[16:17], v[18:19], 1.0
	v_fmac_f64_e32 v[18:19], v[18:19], v[40:41]
	s_delay_alu instid0(VALU_DEP_1) | instskip(NEXT) | instid1(VALU_DEP_1)
	v_fma_f64 v[40:41], -v[16:17], v[18:19], 1.0
	v_fmac_f64_e32 v[18:19], v[18:19], v[40:41]
	s_delay_alu instid0(VALU_DEP_1) | instskip(NEXT) | instid1(VALU_DEP_1)
	v_mul_f64_e32 v[40:41], v[42:43], v[18:19]
	v_fma_f64 v[16:17], -v[16:17], v[40:41], v[42:43]
	s_delay_alu instid0(VALU_DEP_1) | instskip(NEXT) | instid1(VALU_DEP_1)
	v_div_fmas_f64 v[16:17], v[16:17], v[18:19], v[40:41]
	v_div_fixup_f64 v[16:17], v[16:17], v[22:23], v[20:21]
	s_delay_alu instid0(VALU_DEP_1) | instskip(NEXT) | instid1(VALU_DEP_1)
	v_fma_f64 v[18:19], v[20:21], v[16:17], v[22:23]
	v_div_scale_f64 v[40:41], null, v[18:19], v[18:19], 1.0
	v_div_scale_f64 v[46:47], vcc_lo, 1.0, v[18:19], 1.0
	s_delay_alu instid0(VALU_DEP_2) | instskip(SKIP_1) | instid1(TRANS32_DEP_1)
	v_rcp_f64_e32 v[42:43], v[40:41]
	v_nop
	v_fma_f64 v[44:45], -v[40:41], v[42:43], 1.0
	s_delay_alu instid0(VALU_DEP_1) | instskip(NEXT) | instid1(VALU_DEP_1)
	v_fmac_f64_e32 v[42:43], v[42:43], v[44:45]
	v_fma_f64 v[44:45], -v[40:41], v[42:43], 1.0
	s_delay_alu instid0(VALU_DEP_1) | instskip(NEXT) | instid1(VALU_DEP_1)
	v_fmac_f64_e32 v[42:43], v[42:43], v[44:45]
	v_mul_f64_e32 v[44:45], v[46:47], v[42:43]
	s_delay_alu instid0(VALU_DEP_1) | instskip(NEXT) | instid1(VALU_DEP_1)
	v_fma_f64 v[40:41], -v[40:41], v[44:45], v[46:47]
	v_div_fmas_f64 v[40:41], v[40:41], v[42:43], v[44:45]
	v_fma_f64 v[42:43], v[16:17], v[24:25], v[26:27]
	s_delay_alu instid0(VALU_DEP_2) | instskip(SKIP_1) | instid1(VALU_DEP_2)
	v_div_fixup_f64 v[18:19], v[40:41], v[18:19], 1.0
	v_fma_f64 v[40:41], v[16:17], v[26:27], -v[24:25]
	v_mul_f64_e32 v[16:17], v[42:43], v[18:19]
	s_delay_alu instid0(VALU_DEP_2)
	v_mul_f64_e32 v[18:19], v[40:41], v[18:19]
.LBB238_24:                             ;   in Loop: Header=BB238_16 Depth=2
	s_and_not1_b32 vcc_lo, exec_lo, s38
	s_cbranch_vccnz .LBB238_26
; %bb.25:                               ;   in Loop: Header=BB238_16 Depth=2
	v_div_scale_f64 v[16:17], null, v[20:21], v[20:21], v[22:23]
	v_div_scale_f64 v[42:43], vcc_lo, v[22:23], v[20:21], v[22:23]
	s_delay_alu instid0(VALU_DEP_2) | instskip(SKIP_1) | instid1(TRANS32_DEP_1)
	v_rcp_f64_e32 v[18:19], v[16:17]
	v_nop
	v_fma_f64 v[40:41], -v[16:17], v[18:19], 1.0
	s_delay_alu instid0(VALU_DEP_1) | instskip(NEXT) | instid1(VALU_DEP_1)
	v_fmac_f64_e32 v[18:19], v[18:19], v[40:41]
	v_fma_f64 v[40:41], -v[16:17], v[18:19], 1.0
	s_delay_alu instid0(VALU_DEP_1) | instskip(NEXT) | instid1(VALU_DEP_1)
	v_fmac_f64_e32 v[18:19], v[18:19], v[40:41]
	v_mul_f64_e32 v[40:41], v[42:43], v[18:19]
	s_delay_alu instid0(VALU_DEP_1) | instskip(NEXT) | instid1(VALU_DEP_1)
	v_fma_f64 v[16:17], -v[16:17], v[40:41], v[42:43]
	v_div_fmas_f64 v[16:17], v[16:17], v[18:19], v[40:41]
	s_delay_alu instid0(VALU_DEP_1) | instskip(NEXT) | instid1(VALU_DEP_1)
	v_div_fixup_f64 v[16:17], v[16:17], v[20:21], v[22:23]
	v_fmac_f64_e32 v[20:21], v[22:23], v[16:17]
	s_delay_alu instid0(VALU_DEP_1) | instskip(SKIP_1) | instid1(VALU_DEP_2)
	v_div_scale_f64 v[18:19], null, v[20:21], v[20:21], 1.0
	v_div_scale_f64 v[42:43], vcc_lo, 1.0, v[20:21], 1.0
	v_rcp_f64_e32 v[22:23], v[18:19]
	v_nop
	s_delay_alu instid0(TRANS32_DEP_1) | instskip(NEXT) | instid1(VALU_DEP_1)
	v_fma_f64 v[40:41], -v[18:19], v[22:23], 1.0
	v_fmac_f64_e32 v[22:23], v[22:23], v[40:41]
	s_delay_alu instid0(VALU_DEP_1) | instskip(NEXT) | instid1(VALU_DEP_1)
	v_fma_f64 v[40:41], -v[18:19], v[22:23], 1.0
	v_fmac_f64_e32 v[22:23], v[22:23], v[40:41]
	s_delay_alu instid0(VALU_DEP_1) | instskip(NEXT) | instid1(VALU_DEP_1)
	v_mul_f64_e32 v[40:41], v[42:43], v[22:23]
	v_fma_f64 v[18:19], -v[18:19], v[40:41], v[42:43]
	s_delay_alu instid0(VALU_DEP_1) | instskip(SKIP_1) | instid1(VALU_DEP_2)
	v_div_fmas_f64 v[18:19], v[18:19], v[22:23], v[40:41]
	v_fma_f64 v[22:23], v[16:17], v[26:27], v[24:25]
	v_div_fixup_f64 v[18:19], v[18:19], v[20:21], 1.0
	v_fma_f64 v[20:21], -v[16:17], v[24:25], v[26:27]
	s_delay_alu instid0(VALU_DEP_2) | instskip(NEXT) | instid1(VALU_DEP_2)
	v_mul_f64_e32 v[16:17], v[22:23], v[18:19]
	v_mul_f64_e32 v[18:19], v[20:21], v[18:19]
.LBB238_26:                             ;   in Loop: Header=BB238_16 Depth=2
	v_mov_b32_e32 v20, s37
	s_add_co_i32 s38, s37, 0x210
	s_lshl_b32 s36, s36, 4
	ds_store_b128 v39, v[16:19]
	s_sub_co_i32 s36, s38, s36
	ds_load_b128 v[24:27], v20 offset:32
	s_add_co_i32 s36, s36, s29
	s_delay_alu instid0(SALU_CYCLE_1)
	v_mov_b32_e32 v40, s36
	ds_load_b128 v[40:43], v40 offset:32
	s_wait_dscnt 0x1
	v_mul_f64_e32 v[44:45], v[14:15], v[26:27]
	v_mul_f64_e32 v[26:27], v[12:13], v[26:27]
	ds_load_b128 v[20:23], v20 offset:1056
	s_wait_dscnt 0x1
	v_mul_f64_e32 v[46:47], v[18:19], v[42:43]
	v_mul_f64_e32 v[42:43], v[16:17], v[42:43]
	s_wait_dscnt 0x0
	v_cmp_ngt_f64_e64 s39, |v[20:21]|, |v[22:23]|
	v_fma_f64 v[44:45], v[12:13], v[24:25], -v[44:45]
	v_fmac_f64_e32 v[26:27], v[14:15], v[24:25]
	v_fma_f64 v[24:25], v[16:17], v[40:41], -v[46:47]
	v_fmac_f64_e32 v[42:43], v[18:19], v[40:41]
	s_and_b32 vcc_lo, exec_lo, s39
	s_mov_b32 s39, -1
	s_delay_alu instid0(VALU_DEP_4) | instskip(NEXT) | instid1(VALU_DEP_4)
	v_add_f64_e64 v[8:9], v[8:9], -v[44:45]
	v_add_f64_e64 v[10:11], v[10:11], -v[26:27]
	s_delay_alu instid0(VALU_DEP_2) | instskip(NEXT) | instid1(VALU_DEP_2)
	v_add_f64_e64 v[8:9], v[8:9], -v[24:25]
	v_add_f64_e64 v[10:11], v[10:11], -v[42:43]
                                        ; implicit-def: $vgpr26_vgpr27
	s_cbranch_vccz .LBB238_28
; %bb.27:                               ;   in Loop: Header=BB238_16 Depth=2
	v_div_scale_f64 v[24:25], null, v[22:23], v[22:23], v[20:21]
	v_div_scale_f64 v[42:43], vcc_lo, v[20:21], v[22:23], v[20:21]
	s_mov_b32 s39, 0
	v_rcp_f64_e32 v[26:27], v[24:25]
	v_nop
	s_delay_alu instid0(TRANS32_DEP_1) | instskip(NEXT) | instid1(VALU_DEP_1)
	v_fma_f64 v[40:41], -v[24:25], v[26:27], 1.0
	v_fmac_f64_e32 v[26:27], v[26:27], v[40:41]
	s_delay_alu instid0(VALU_DEP_1) | instskip(NEXT) | instid1(VALU_DEP_1)
	v_fma_f64 v[40:41], -v[24:25], v[26:27], 1.0
	v_fmac_f64_e32 v[26:27], v[26:27], v[40:41]
	s_delay_alu instid0(VALU_DEP_1) | instskip(NEXT) | instid1(VALU_DEP_1)
	v_mul_f64_e32 v[40:41], v[42:43], v[26:27]
	v_fma_f64 v[24:25], -v[24:25], v[40:41], v[42:43]
	s_delay_alu instid0(VALU_DEP_1) | instskip(NEXT) | instid1(VALU_DEP_1)
	v_div_fmas_f64 v[24:25], v[24:25], v[26:27], v[40:41]
	v_div_fixup_f64 v[24:25], v[24:25], v[22:23], v[20:21]
	s_delay_alu instid0(VALU_DEP_1) | instskip(NEXT) | instid1(VALU_DEP_1)
	v_fma_f64 v[26:27], v[20:21], v[24:25], v[22:23]
	v_div_scale_f64 v[40:41], null, v[26:27], v[26:27], 1.0
	v_div_scale_f64 v[46:47], vcc_lo, 1.0, v[26:27], 1.0
	s_delay_alu instid0(VALU_DEP_2) | instskip(SKIP_1) | instid1(TRANS32_DEP_1)
	v_rcp_f64_e32 v[42:43], v[40:41]
	v_nop
	v_fma_f64 v[44:45], -v[40:41], v[42:43], 1.0
	s_delay_alu instid0(VALU_DEP_1) | instskip(NEXT) | instid1(VALU_DEP_1)
	v_fmac_f64_e32 v[42:43], v[42:43], v[44:45]
	v_fma_f64 v[44:45], -v[40:41], v[42:43], 1.0
	s_delay_alu instid0(VALU_DEP_1) | instskip(NEXT) | instid1(VALU_DEP_1)
	v_fmac_f64_e32 v[42:43], v[42:43], v[44:45]
	v_mul_f64_e32 v[44:45], v[46:47], v[42:43]
	s_delay_alu instid0(VALU_DEP_1) | instskip(NEXT) | instid1(VALU_DEP_1)
	v_fma_f64 v[40:41], -v[40:41], v[44:45], v[46:47]
	v_div_fmas_f64 v[40:41], v[40:41], v[42:43], v[44:45]
	v_fma_f64 v[42:43], v[24:25], v[8:9], v[10:11]
	s_delay_alu instid0(VALU_DEP_2) | instskip(SKIP_1) | instid1(VALU_DEP_2)
	v_div_fixup_f64 v[26:27], v[40:41], v[26:27], 1.0
	v_fma_f64 v[40:41], v[24:25], v[10:11], -v[8:9]
	v_mul_f64_e32 v[24:25], v[42:43], v[26:27]
	s_delay_alu instid0(VALU_DEP_2)
	v_mul_f64_e32 v[26:27], v[40:41], v[26:27]
.LBB238_28:                             ;   in Loop: Header=BB238_16 Depth=2
	s_and_not1_b32 vcc_lo, exec_lo, s39
	s_cbranch_vccnz .LBB238_30
; %bb.29:                               ;   in Loop: Header=BB238_16 Depth=2
	v_div_scale_f64 v[24:25], null, v[20:21], v[20:21], v[22:23]
	v_div_scale_f64 v[42:43], vcc_lo, v[22:23], v[20:21], v[22:23]
	s_delay_alu instid0(VALU_DEP_2) | instskip(SKIP_1) | instid1(TRANS32_DEP_1)
	v_rcp_f64_e32 v[26:27], v[24:25]
	v_nop
	v_fma_f64 v[40:41], -v[24:25], v[26:27], 1.0
	s_delay_alu instid0(VALU_DEP_1) | instskip(NEXT) | instid1(VALU_DEP_1)
	v_fmac_f64_e32 v[26:27], v[26:27], v[40:41]
	v_fma_f64 v[40:41], -v[24:25], v[26:27], 1.0
	s_delay_alu instid0(VALU_DEP_1) | instskip(NEXT) | instid1(VALU_DEP_1)
	v_fmac_f64_e32 v[26:27], v[26:27], v[40:41]
	v_mul_f64_e32 v[40:41], v[42:43], v[26:27]
	s_delay_alu instid0(VALU_DEP_1) | instskip(NEXT) | instid1(VALU_DEP_1)
	v_fma_f64 v[24:25], -v[24:25], v[40:41], v[42:43]
	v_div_fmas_f64 v[24:25], v[24:25], v[26:27], v[40:41]
	s_delay_alu instid0(VALU_DEP_1) | instskip(NEXT) | instid1(VALU_DEP_1)
	v_div_fixup_f64 v[24:25], v[24:25], v[20:21], v[22:23]
	v_fmac_f64_e32 v[20:21], v[22:23], v[24:25]
	s_delay_alu instid0(VALU_DEP_1) | instskip(SKIP_1) | instid1(VALU_DEP_2)
	v_div_scale_f64 v[22:23], null, v[20:21], v[20:21], 1.0
	v_div_scale_f64 v[42:43], vcc_lo, 1.0, v[20:21], 1.0
	v_rcp_f64_e32 v[26:27], v[22:23]
	v_nop
	s_delay_alu instid0(TRANS32_DEP_1) | instskip(NEXT) | instid1(VALU_DEP_1)
	v_fma_f64 v[40:41], -v[22:23], v[26:27], 1.0
	v_fmac_f64_e32 v[26:27], v[26:27], v[40:41]
	s_delay_alu instid0(VALU_DEP_1) | instskip(NEXT) | instid1(VALU_DEP_1)
	v_fma_f64 v[40:41], -v[22:23], v[26:27], 1.0
	v_fmac_f64_e32 v[26:27], v[26:27], v[40:41]
	s_delay_alu instid0(VALU_DEP_1) | instskip(NEXT) | instid1(VALU_DEP_1)
	v_mul_f64_e32 v[40:41], v[42:43], v[26:27]
	v_fma_f64 v[22:23], -v[22:23], v[40:41], v[42:43]
	s_delay_alu instid0(VALU_DEP_1) | instskip(SKIP_2) | instid1(VALU_DEP_3)
	v_div_fmas_f64 v[22:23], v[22:23], v[26:27], v[40:41]
	v_fma_f64 v[26:27], v[24:25], v[10:11], v[8:9]
	v_fma_f64 v[8:9], -v[24:25], v[8:9], v[10:11]
	v_div_fixup_f64 v[20:21], v[22:23], v[20:21], 1.0
	s_delay_alu instid0(VALU_DEP_1) | instskip(NEXT) | instid1(VALU_DEP_3)
	v_mul_f64_e32 v[24:25], v[26:27], v[20:21]
	v_mul_f64_e32 v[26:27], v[8:9], v[20:21]
.LBB238_30:                             ;   in Loop: Header=BB238_16 Depth=2
	v_mov_b32_e32 v8, s37
	s_lshl_b32 s28, s28, 4
	ds_load_b128 v[20:23], v8 offset:48
	ds_load_b128 v[8:11], v8 offset:1584
	s_sub_co_i32 s28, s38, s28
	ds_store_b128 v38, v[24:27]
	s_add_co_i32 s28, s28, s29
	v_mov_b32_e32 v39, s36
	ds_load_b128 v[40:43], v39 offset:48
	s_wait_dscnt 0x3
	v_dual_mul_f64 v[48:49], v[14:15], v[22:23] :: v_dual_mov_b32 v39, s28
	v_mul_f64_e32 v[22:23], v[12:13], v[22:23]
	s_wait_dscnt 0x2
	v_cmp_ngt_f64_e64 s28, |v[8:9]|, |v[10:11]|
	s_wait_dscnt 0x0
	v_mul_f64_e32 v[50:51], v[18:19], v[42:43]
	v_mul_f64_e32 v[42:43], v[16:17], v[42:43]
	ds_load_b128 v[44:47], v39 offset:576
	v_fma_f64 v[12:13], v[12:13], v[20:21], -v[48:49]
	v_fmac_f64_e32 v[22:23], v[14:15], v[20:21]
	s_and_b32 vcc_lo, exec_lo, s28
	s_mov_b32 s28, -1
	s_wait_dscnt 0x0
	v_mul_f64_e32 v[14:15], v[26:27], v[46:47]
	v_mul_f64_e32 v[20:21], v[24:25], v[46:47]
	v_fma_f64 v[16:17], v[16:17], v[40:41], -v[50:51]
	v_fmac_f64_e32 v[42:43], v[18:19], v[40:41]
	v_add_f64_e64 v[4:5], v[4:5], -v[12:13]
	v_add_f64_e64 v[6:7], v[6:7], -v[22:23]
	v_fma_f64 v[12:13], v[24:25], v[44:45], -v[14:15]
	v_fmac_f64_e32 v[20:21], v[26:27], v[44:45]
	s_delay_alu instid0(VALU_DEP_4) | instskip(NEXT) | instid1(VALU_DEP_4)
	v_add_f64_e64 v[4:5], v[4:5], -v[16:17]
	v_add_f64_e64 v[6:7], v[6:7], -v[42:43]
	s_delay_alu instid0(VALU_DEP_2) | instskip(NEXT) | instid1(VALU_DEP_2)
	v_add_f64_e64 v[12:13], v[4:5], -v[12:13]
	v_add_f64_e64 v[14:15], v[6:7], -v[20:21]
                                        ; implicit-def: $vgpr6_vgpr7
	s_cbranch_vccz .LBB238_32
; %bb.31:                               ;   in Loop: Header=BB238_16 Depth=2
	v_div_scale_f64 v[4:5], null, v[10:11], v[10:11], v[8:9]
	v_div_scale_f64 v[18:19], vcc_lo, v[8:9], v[10:11], v[8:9]
	s_mov_b32 s28, 0
	v_rcp_f64_e32 v[6:7], v[4:5]
	v_nop
	s_delay_alu instid0(TRANS32_DEP_1) | instskip(NEXT) | instid1(VALU_DEP_1)
	v_fma_f64 v[16:17], -v[4:5], v[6:7], 1.0
	v_fmac_f64_e32 v[6:7], v[6:7], v[16:17]
	s_delay_alu instid0(VALU_DEP_1) | instskip(NEXT) | instid1(VALU_DEP_1)
	v_fma_f64 v[16:17], -v[4:5], v[6:7], 1.0
	v_fmac_f64_e32 v[6:7], v[6:7], v[16:17]
	s_delay_alu instid0(VALU_DEP_1) | instskip(NEXT) | instid1(VALU_DEP_1)
	v_mul_f64_e32 v[16:17], v[18:19], v[6:7]
	v_fma_f64 v[4:5], -v[4:5], v[16:17], v[18:19]
	s_delay_alu instid0(VALU_DEP_1) | instskip(NEXT) | instid1(VALU_DEP_1)
	v_div_fmas_f64 v[4:5], v[4:5], v[6:7], v[16:17]
	v_div_fixup_f64 v[4:5], v[4:5], v[10:11], v[8:9]
	s_delay_alu instid0(VALU_DEP_1) | instskip(NEXT) | instid1(VALU_DEP_1)
	v_fma_f64 v[6:7], v[8:9], v[4:5], v[10:11]
	v_div_scale_f64 v[16:17], null, v[6:7], v[6:7], 1.0
	v_div_scale_f64 v[22:23], vcc_lo, 1.0, v[6:7], 1.0
	s_delay_alu instid0(VALU_DEP_2) | instskip(SKIP_1) | instid1(TRANS32_DEP_1)
	v_rcp_f64_e32 v[18:19], v[16:17]
	v_nop
	v_fma_f64 v[20:21], -v[16:17], v[18:19], 1.0
	s_delay_alu instid0(VALU_DEP_1) | instskip(NEXT) | instid1(VALU_DEP_1)
	v_fmac_f64_e32 v[18:19], v[18:19], v[20:21]
	v_fma_f64 v[20:21], -v[16:17], v[18:19], 1.0
	s_delay_alu instid0(VALU_DEP_1) | instskip(NEXT) | instid1(VALU_DEP_1)
	v_fmac_f64_e32 v[18:19], v[18:19], v[20:21]
	v_mul_f64_e32 v[20:21], v[22:23], v[18:19]
	s_delay_alu instid0(VALU_DEP_1) | instskip(NEXT) | instid1(VALU_DEP_1)
	v_fma_f64 v[16:17], -v[16:17], v[20:21], v[22:23]
	v_div_fmas_f64 v[16:17], v[16:17], v[18:19], v[20:21]
	v_fma_f64 v[18:19], v[4:5], v[12:13], v[14:15]
	s_delay_alu instid0(VALU_DEP_2) | instskip(SKIP_1) | instid1(VALU_DEP_2)
	v_div_fixup_f64 v[6:7], v[16:17], v[6:7], 1.0
	v_fma_f64 v[16:17], v[4:5], v[14:15], -v[12:13]
	v_mul_f64_e32 v[4:5], v[18:19], v[6:7]
	s_delay_alu instid0(VALU_DEP_2)
	v_mul_f64_e32 v[6:7], v[16:17], v[6:7]
.LBB238_32:                             ;   in Loop: Header=BB238_16 Depth=2
	s_and_not1_b32 vcc_lo, exec_lo, s28
	s_cbranch_vccnz .LBB238_34
; %bb.33:                               ;   in Loop: Header=BB238_16 Depth=2
	v_div_scale_f64 v[4:5], null, v[8:9], v[8:9], v[10:11]
	v_div_scale_f64 v[18:19], vcc_lo, v[10:11], v[8:9], v[10:11]
	s_delay_alu instid0(VALU_DEP_2) | instskip(SKIP_1) | instid1(TRANS32_DEP_1)
	v_rcp_f64_e32 v[6:7], v[4:5]
	v_nop
	v_fma_f64 v[16:17], -v[4:5], v[6:7], 1.0
	s_delay_alu instid0(VALU_DEP_1) | instskip(NEXT) | instid1(VALU_DEP_1)
	v_fmac_f64_e32 v[6:7], v[6:7], v[16:17]
	v_fma_f64 v[16:17], -v[4:5], v[6:7], 1.0
	s_delay_alu instid0(VALU_DEP_1) | instskip(NEXT) | instid1(VALU_DEP_1)
	v_fmac_f64_e32 v[6:7], v[6:7], v[16:17]
	v_mul_f64_e32 v[16:17], v[18:19], v[6:7]
	s_delay_alu instid0(VALU_DEP_1) | instskip(NEXT) | instid1(VALU_DEP_1)
	v_fma_f64 v[4:5], -v[4:5], v[16:17], v[18:19]
	v_div_fmas_f64 v[4:5], v[4:5], v[6:7], v[16:17]
	s_delay_alu instid0(VALU_DEP_1) | instskip(NEXT) | instid1(VALU_DEP_1)
	v_div_fixup_f64 v[4:5], v[4:5], v[8:9], v[10:11]
	v_fmac_f64_e32 v[8:9], v[10:11], v[4:5]
	s_delay_alu instid0(VALU_DEP_1) | instskip(SKIP_1) | instid1(VALU_DEP_2)
	v_div_scale_f64 v[6:7], null, v[8:9], v[8:9], 1.0
	v_div_scale_f64 v[18:19], vcc_lo, 1.0, v[8:9], 1.0
	v_rcp_f64_e32 v[10:11], v[6:7]
	v_nop
	s_delay_alu instid0(TRANS32_DEP_1) | instskip(NEXT) | instid1(VALU_DEP_1)
	v_fma_f64 v[16:17], -v[6:7], v[10:11], 1.0
	v_fmac_f64_e32 v[10:11], v[10:11], v[16:17]
	s_delay_alu instid0(VALU_DEP_1) | instskip(NEXT) | instid1(VALU_DEP_1)
	v_fma_f64 v[16:17], -v[6:7], v[10:11], 1.0
	v_fmac_f64_e32 v[10:11], v[10:11], v[16:17]
	s_delay_alu instid0(VALU_DEP_1) | instskip(NEXT) | instid1(VALU_DEP_1)
	v_mul_f64_e32 v[16:17], v[18:19], v[10:11]
	v_fma_f64 v[6:7], -v[6:7], v[16:17], v[18:19]
	s_delay_alu instid0(VALU_DEP_1) | instskip(SKIP_1) | instid1(VALU_DEP_2)
	v_div_fmas_f64 v[6:7], v[6:7], v[10:11], v[16:17]
	v_fma_f64 v[10:11], v[4:5], v[14:15], v[12:13]
	v_div_fixup_f64 v[6:7], v[6:7], v[8:9], 1.0
	v_fma_f64 v[8:9], -v[4:5], v[12:13], v[14:15]
	s_delay_alu instid0(VALU_DEP_2) | instskip(NEXT) | instid1(VALU_DEP_2)
	v_mul_f64_e32 v[4:5], v[10:11], v[6:7]
	v_mul_f64_e32 v[6:7], v[8:9], v[6:7]
.LBB238_34:                             ;   in Loop: Header=BB238_16 Depth=2
	s_add_co_i32 s28, s27, 4
	s_add_co_i32 s27, s27, 7
	;; [unrolled: 1-line block ×3, first 2 shown]
	s_cmp_ge_i32 s27, s31
	ds_store_b128 v37, v[4:7]
	s_cbranch_scc1 .LBB238_36
; %bb.35:                               ;   in Loop: Header=BB238_16 Depth=2
	s_mov_b32 s27, s28
	s_branch .LBB238_16
.LBB238_36:                             ;   in Loop: Header=BB238_3 Depth=1
	s_cmp_ge_i32 s28, s31
	s_cbranch_scc1 .LBB238_45
; %bb.37:                               ;   in Loop: Header=BB238_3 Depth=1
	s_lshl_b32 s26, s28, 4
	s_branch .LBB238_39
.LBB238_38:                             ;   in Loop: Header=BB238_39 Depth=2
	s_add_co_i32 s28, s28, 1
	s_add_co_i32 s26, s26, 16
	s_cmp_ge_i32 s28, s31
	ds_store_b128 v16, v[12:15]
	s_cbranch_scc1 .LBB238_45
.LBB238_39:                             ;   Parent Loop BB238_3 Depth=1
                                        ; =>  This Loop Header: Depth=2
                                        ;       Child Loop BB238_40 Depth 3
	s_lshl_b32 s27, s28, 9
	s_cmp_eq_u32 s28, 0
	v_dual_add_nc_u32 v16, s27, v34 :: v_dual_mov_b32 v8, v34
	s_mov_b32 s29, s26
	s_mov_b32 s36, s28
	ds_load_b128 v[4:7], v16
	s_cbranch_scc1 .LBB238_41
.LBB238_40:                             ;   Parent Loop BB238_3 Depth=1
                                        ;     Parent Loop BB238_39 Depth=2
                                        ; =>    This Inner Loop Header: Depth=3
	v_mov_b32_e32 v9, s29
	s_add_co_i32 s36, s36, -1
	s_addk_co_i32 s29, 0x200
	s_cmp_eq_u32 s36, 0
	ds_load_b128 v[10:13], v8
	ds_load_b128 v[18:21], v9
	v_add_nc_u32_e32 v8, 0x200, v8
	s_wait_dscnt 0x0
	v_mul_f64_e32 v[14:15], v[20:21], v[12:13]
	v_mul_f64_e32 v[12:13], v[18:19], v[12:13]
	s_delay_alu instid0(VALU_DEP_2) | instskip(NEXT) | instid1(VALU_DEP_2)
	v_fma_f64 v[14:15], v[18:19], v[10:11], -v[14:15]
	v_fmac_f64_e32 v[12:13], v[20:21], v[10:11]
	s_delay_alu instid0(VALU_DEP_2) | instskip(NEXT) | instid1(VALU_DEP_2)
	v_add_f64_e64 v[4:5], v[4:5], -v[14:15]
	v_add_f64_e64 v[6:7], v[6:7], -v[12:13]
	s_cbranch_scc0 .LBB238_40
.LBB238_41:                             ;   in Loop: Header=BB238_39 Depth=2
	s_lshl_b32 s29, s28, 4
                                        ; implicit-def: $vgpr12_vgpr13
	s_delay_alu instid0(SALU_CYCLE_1) | instskip(NEXT) | instid1(SALU_CYCLE_1)
	s_add_co_i32 s27, s29, s27
	v_mov_b32_e32 v8, s27
	ds_load_b128 v[8:11], v8
	s_wait_dscnt 0x0
	v_cmp_ngt_f64_e64 s27, |v[8:9]|, |v[10:11]|
	s_and_b32 vcc_lo, exec_lo, s27
	s_mov_b32 s27, -1
	s_cbranch_vccz .LBB238_43
; %bb.42:                               ;   in Loop: Header=BB238_39 Depth=2
	v_div_scale_f64 v[12:13], null, v[10:11], v[10:11], v[8:9]
	v_div_scale_f64 v[20:21], vcc_lo, v[8:9], v[10:11], v[8:9]
	s_mov_b32 s27, 0
	v_rcp_f64_e32 v[14:15], v[12:13]
	v_nop
	s_delay_alu instid0(TRANS32_DEP_1) | instskip(NEXT) | instid1(VALU_DEP_1)
	v_fma_f64 v[18:19], -v[12:13], v[14:15], 1.0
	v_fmac_f64_e32 v[14:15], v[14:15], v[18:19]
	s_delay_alu instid0(VALU_DEP_1) | instskip(NEXT) | instid1(VALU_DEP_1)
	v_fma_f64 v[18:19], -v[12:13], v[14:15], 1.0
	v_fmac_f64_e32 v[14:15], v[14:15], v[18:19]
	s_delay_alu instid0(VALU_DEP_1) | instskip(NEXT) | instid1(VALU_DEP_1)
	v_mul_f64_e32 v[18:19], v[20:21], v[14:15]
	v_fma_f64 v[12:13], -v[12:13], v[18:19], v[20:21]
	s_delay_alu instid0(VALU_DEP_1) | instskip(NEXT) | instid1(VALU_DEP_1)
	v_div_fmas_f64 v[12:13], v[12:13], v[14:15], v[18:19]
	v_div_fixup_f64 v[12:13], v[12:13], v[10:11], v[8:9]
	s_delay_alu instid0(VALU_DEP_1) | instskip(NEXT) | instid1(VALU_DEP_1)
	v_fma_f64 v[14:15], v[8:9], v[12:13], v[10:11]
	v_div_scale_f64 v[18:19], null, v[14:15], v[14:15], 1.0
	v_div_scale_f64 v[24:25], vcc_lo, 1.0, v[14:15], 1.0
	s_delay_alu instid0(VALU_DEP_2) | instskip(SKIP_1) | instid1(TRANS32_DEP_1)
	v_rcp_f64_e32 v[20:21], v[18:19]
	v_nop
	v_fma_f64 v[22:23], -v[18:19], v[20:21], 1.0
	s_delay_alu instid0(VALU_DEP_1) | instskip(NEXT) | instid1(VALU_DEP_1)
	v_fmac_f64_e32 v[20:21], v[20:21], v[22:23]
	v_fma_f64 v[22:23], -v[18:19], v[20:21], 1.0
	s_delay_alu instid0(VALU_DEP_1) | instskip(NEXT) | instid1(VALU_DEP_1)
	v_fmac_f64_e32 v[20:21], v[20:21], v[22:23]
	v_mul_f64_e32 v[22:23], v[24:25], v[20:21]
	s_delay_alu instid0(VALU_DEP_1) | instskip(NEXT) | instid1(VALU_DEP_1)
	v_fma_f64 v[18:19], -v[18:19], v[22:23], v[24:25]
	v_div_fmas_f64 v[18:19], v[18:19], v[20:21], v[22:23]
	v_fma_f64 v[20:21], v[4:5], v[12:13], v[6:7]
	s_delay_alu instid0(VALU_DEP_2) | instskip(SKIP_1) | instid1(VALU_DEP_2)
	v_div_fixup_f64 v[14:15], v[18:19], v[14:15], 1.0
	v_fma_f64 v[18:19], v[6:7], v[12:13], -v[4:5]
	v_mul_f64_e32 v[12:13], v[20:21], v[14:15]
	s_delay_alu instid0(VALU_DEP_2)
	v_mul_f64_e32 v[14:15], v[18:19], v[14:15]
.LBB238_43:                             ;   in Loop: Header=BB238_39 Depth=2
	s_and_not1_b32 vcc_lo, exec_lo, s27
	s_cbranch_vccnz .LBB238_38
; %bb.44:                               ;   in Loop: Header=BB238_39 Depth=2
	v_div_scale_f64 v[12:13], null, v[8:9], v[8:9], v[10:11]
	v_div_scale_f64 v[20:21], vcc_lo, v[10:11], v[8:9], v[10:11]
	s_delay_alu instid0(VALU_DEP_2) | instskip(SKIP_1) | instid1(TRANS32_DEP_1)
	v_rcp_f64_e32 v[14:15], v[12:13]
	v_nop
	v_fma_f64 v[18:19], -v[12:13], v[14:15], 1.0
	s_delay_alu instid0(VALU_DEP_1) | instskip(NEXT) | instid1(VALU_DEP_1)
	v_fmac_f64_e32 v[14:15], v[14:15], v[18:19]
	v_fma_f64 v[18:19], -v[12:13], v[14:15], 1.0
	s_delay_alu instid0(VALU_DEP_1) | instskip(NEXT) | instid1(VALU_DEP_1)
	v_fmac_f64_e32 v[14:15], v[14:15], v[18:19]
	v_mul_f64_e32 v[18:19], v[20:21], v[14:15]
	s_delay_alu instid0(VALU_DEP_1) | instskip(NEXT) | instid1(VALU_DEP_1)
	v_fma_f64 v[12:13], -v[12:13], v[18:19], v[20:21]
	v_div_fmas_f64 v[12:13], v[12:13], v[14:15], v[18:19]
	s_delay_alu instid0(VALU_DEP_1) | instskip(NEXT) | instid1(VALU_DEP_1)
	v_div_fixup_f64 v[12:13], v[12:13], v[8:9], v[10:11]
	v_fmac_f64_e32 v[8:9], v[10:11], v[12:13]
	s_delay_alu instid0(VALU_DEP_1) | instskip(SKIP_1) | instid1(VALU_DEP_2)
	v_div_scale_f64 v[10:11], null, v[8:9], v[8:9], 1.0
	v_div_scale_f64 v[20:21], vcc_lo, 1.0, v[8:9], 1.0
	v_rcp_f64_e32 v[14:15], v[10:11]
	v_nop
	s_delay_alu instid0(TRANS32_DEP_1) | instskip(NEXT) | instid1(VALU_DEP_1)
	v_fma_f64 v[18:19], -v[10:11], v[14:15], 1.0
	v_fmac_f64_e32 v[14:15], v[14:15], v[18:19]
	s_delay_alu instid0(VALU_DEP_1) | instskip(NEXT) | instid1(VALU_DEP_1)
	v_fma_f64 v[18:19], -v[10:11], v[14:15], 1.0
	v_fmac_f64_e32 v[14:15], v[14:15], v[18:19]
	s_delay_alu instid0(VALU_DEP_1) | instskip(NEXT) | instid1(VALU_DEP_1)
	v_mul_f64_e32 v[18:19], v[20:21], v[14:15]
	v_fma_f64 v[10:11], -v[10:11], v[18:19], v[20:21]
	s_delay_alu instid0(VALU_DEP_1) | instskip(SKIP_2) | instid1(VALU_DEP_3)
	v_div_fmas_f64 v[10:11], v[10:11], v[14:15], v[18:19]
	v_fma_f64 v[14:15], v[6:7], v[12:13], v[4:5]
	v_fma_f64 v[4:5], -v[4:5], v[12:13], v[6:7]
	v_div_fixup_f64 v[8:9], v[10:11], v[8:9], 1.0
	s_delay_alu instid0(VALU_DEP_1) | instskip(NEXT) | instid1(VALU_DEP_3)
	v_mul_f64_e32 v[12:13], v[14:15], v[8:9]
	v_mul_f64_e32 v[14:15], v[4:5], v[8:9]
	s_branch .LBB238_38
.LBB238_45:                             ;   in Loop: Header=BB238_3 Depth=1
	s_mov_b32 s26, 0
.LBB238_46:                             ;   in Loop: Header=BB238_3 Depth=1
	s_delay_alu instid0(SALU_CYCLE_1)
	s_and_b32 vcc_lo, exec_lo, s26
	s_cbranch_vccz .LBB238_77
; %bb.47:                               ;   in Loop: Header=BB238_3 Depth=1
	s_mov_b32 s28, s33
	s_and_not1_b32 vcc_lo, exec_lo, s34
	s_mov_b32 s26, s20
	s_mov_b32 s27, s33
	s_cbranch_vccnz .LBB238_68
.LBB238_48:                             ;   Parent Loop BB238_3 Depth=1
                                        ; =>  This Loop Header: Depth=2
                                        ;       Child Loop BB238_49 Depth 3
	s_add_co_i32 s36, s27, -1
	s_add_co_i32 s28, s27, -3
	v_lshl_add_u32 v40, s27, 9, v34
	s_add_co_i32 s29, s27, -2
	v_lshl_add_u32 v39, s36, 9, v34
	s_lshl_b32 s37, s28, 9
	v_lshl_add_u32 v38, s29, 9, v34
	v_dual_mov_b32 v12, v29 :: v_dual_add_nc_u32 v37, s37, v34
	ds_load_b128 v[20:23], v40
	ds_load_b128 v[16:19], v39
	;; [unrolled: 1-line block ×4, first 2 shown]
	s_cmp_le_i32 s33, s27
	s_mov_b32 s37, s26
	s_mov_b32 s38, s33
	s_cbranch_scc1 .LBB238_50
.LBB238_49:                             ;   Parent Loop BB238_3 Depth=1
                                        ;     Parent Loop BB238_48 Depth=2
                                        ; =>    This Inner Loop Header: Depth=3
	v_mov_b32_e32 v13, s37
	s_add_co_i32 s38, s38, -1
	s_addk_co_i32 s37, 0xfe00
	s_cmp_le_i32 s38, s27
	ds_load_b128 v[24:27], v12
	ds_load_b128 v[42:45], v13 offset:48
	ds_load_b128 v[46:49], v13 offset:32
	;; [unrolled: 1-line block ×3, first 2 shown]
	ds_load_b128 v[54:57], v13
	v_add_nc_u32_e32 v12, 0xfffffe00, v12
	s_wait_dscnt 0x3
	v_mul_f64_e32 v[14:15], v[26:27], v[44:45]
	v_mul_f64_e32 v[44:45], v[24:25], v[44:45]
	s_wait_dscnt 0x2
	v_mul_f64_e32 v[58:59], v[26:27], v[48:49]
	v_mul_f64_e32 v[48:49], v[24:25], v[48:49]
	;; [unrolled: 3-line block ×4, first 2 shown]
	v_fma_f64 v[14:15], v[24:25], v[42:43], -v[14:15]
	v_fmac_f64_e32 v[44:45], v[26:27], v[42:43]
	v_fma_f64 v[42:43], v[24:25], v[46:47], -v[58:59]
	v_fmac_f64_e32 v[48:49], v[26:27], v[46:47]
	;; [unrolled: 2-line block ×4, first 2 shown]
	v_add_f64_e64 v[20:21], v[20:21], -v[14:15]
	v_add_f64_e64 v[22:23], v[22:23], -v[44:45]
	;; [unrolled: 1-line block ×8, first 2 shown]
	s_cbranch_scc0 .LBB238_49
.LBB238_50:                             ;   in Loop: Header=BB238_48 Depth=2
	s_lshl_b32 s38, s27, 4
	s_lshl_b32 s37, s27, 9
	s_delay_alu instid0(SALU_CYCLE_1) | instskip(NEXT) | instid1(SALU_CYCLE_1)
	s_add_co_i32 s37, s38, s37
	v_mov_b32_e32 v12, s37
	ds_load_b128 v[24:27], v12
                                        ; implicit-def: $vgpr14_vgpr15
	s_wait_dscnt 0x0
	v_cmp_ngt_f64_e64 s39, |v[24:25]|, |v[26:27]|
	s_and_b32 vcc_lo, exec_lo, s39
	s_mov_b32 s39, -1
	s_cbranch_vccz .LBB238_52
; %bb.51:                               ;   in Loop: Header=BB238_48 Depth=2
	v_div_scale_f64 v[12:13], null, v[26:27], v[26:27], v[24:25]
	v_div_scale_f64 v[44:45], vcc_lo, v[24:25], v[26:27], v[24:25]
	s_mov_b32 s39, 0
	v_rcp_f64_e32 v[14:15], v[12:13]
	v_nop
	s_delay_alu instid0(TRANS32_DEP_1) | instskip(NEXT) | instid1(VALU_DEP_1)
	v_fma_f64 v[42:43], -v[12:13], v[14:15], 1.0
	v_fmac_f64_e32 v[14:15], v[14:15], v[42:43]
	s_delay_alu instid0(VALU_DEP_1) | instskip(NEXT) | instid1(VALU_DEP_1)
	v_fma_f64 v[42:43], -v[12:13], v[14:15], 1.0
	v_fmac_f64_e32 v[14:15], v[14:15], v[42:43]
	s_delay_alu instid0(VALU_DEP_1) | instskip(NEXT) | instid1(VALU_DEP_1)
	v_mul_f64_e32 v[42:43], v[44:45], v[14:15]
	v_fma_f64 v[12:13], -v[12:13], v[42:43], v[44:45]
	s_delay_alu instid0(VALU_DEP_1) | instskip(NEXT) | instid1(VALU_DEP_1)
	v_div_fmas_f64 v[12:13], v[12:13], v[14:15], v[42:43]
	v_div_fixup_f64 v[12:13], v[12:13], v[26:27], v[24:25]
	s_delay_alu instid0(VALU_DEP_1) | instskip(NEXT) | instid1(VALU_DEP_1)
	v_fma_f64 v[14:15], v[24:25], v[12:13], v[26:27]
	v_div_scale_f64 v[42:43], null, v[14:15], v[14:15], 1.0
	v_div_scale_f64 v[48:49], vcc_lo, 1.0, v[14:15], 1.0
	s_delay_alu instid0(VALU_DEP_2) | instskip(SKIP_1) | instid1(TRANS32_DEP_1)
	v_rcp_f64_e32 v[44:45], v[42:43]
	v_nop
	v_fma_f64 v[46:47], -v[42:43], v[44:45], 1.0
	s_delay_alu instid0(VALU_DEP_1) | instskip(NEXT) | instid1(VALU_DEP_1)
	v_fmac_f64_e32 v[44:45], v[44:45], v[46:47]
	v_fma_f64 v[46:47], -v[42:43], v[44:45], 1.0
	s_delay_alu instid0(VALU_DEP_1) | instskip(NEXT) | instid1(VALU_DEP_1)
	v_fmac_f64_e32 v[44:45], v[44:45], v[46:47]
	v_mul_f64_e32 v[46:47], v[48:49], v[44:45]
	s_delay_alu instid0(VALU_DEP_1) | instskip(NEXT) | instid1(VALU_DEP_1)
	v_fma_f64 v[42:43], -v[42:43], v[46:47], v[48:49]
	v_div_fmas_f64 v[42:43], v[42:43], v[44:45], v[46:47]
	v_fma_f64 v[44:45], v[20:21], v[12:13], v[22:23]
	s_delay_alu instid0(VALU_DEP_2) | instskip(SKIP_1) | instid1(VALU_DEP_2)
	v_div_fixup_f64 v[14:15], v[42:43], v[14:15], 1.0
	v_fma_f64 v[42:43], v[22:23], v[12:13], -v[20:21]
	v_mul_f64_e32 v[12:13], v[44:45], v[14:15]
	s_delay_alu instid0(VALU_DEP_2)
	v_mul_f64_e32 v[14:15], v[42:43], v[14:15]
.LBB238_52:                             ;   in Loop: Header=BB238_48 Depth=2
	s_and_not1_b32 vcc_lo, exec_lo, s39
	s_cbranch_vccnz .LBB238_54
; %bb.53:                               ;   in Loop: Header=BB238_48 Depth=2
	v_div_scale_f64 v[12:13], null, v[24:25], v[24:25], v[26:27]
	v_div_scale_f64 v[44:45], vcc_lo, v[26:27], v[24:25], v[26:27]
	s_delay_alu instid0(VALU_DEP_2) | instskip(SKIP_1) | instid1(TRANS32_DEP_1)
	v_rcp_f64_e32 v[14:15], v[12:13]
	v_nop
	v_fma_f64 v[42:43], -v[12:13], v[14:15], 1.0
	s_delay_alu instid0(VALU_DEP_1) | instskip(NEXT) | instid1(VALU_DEP_1)
	v_fmac_f64_e32 v[14:15], v[14:15], v[42:43]
	v_fma_f64 v[42:43], -v[12:13], v[14:15], 1.0
	s_delay_alu instid0(VALU_DEP_1) | instskip(NEXT) | instid1(VALU_DEP_1)
	v_fmac_f64_e32 v[14:15], v[14:15], v[42:43]
	v_mul_f64_e32 v[42:43], v[44:45], v[14:15]
	s_delay_alu instid0(VALU_DEP_1) | instskip(NEXT) | instid1(VALU_DEP_1)
	v_fma_f64 v[12:13], -v[12:13], v[42:43], v[44:45]
	v_div_fmas_f64 v[12:13], v[12:13], v[14:15], v[42:43]
	s_delay_alu instid0(VALU_DEP_1) | instskip(NEXT) | instid1(VALU_DEP_1)
	v_div_fixup_f64 v[12:13], v[12:13], v[24:25], v[26:27]
	v_fmac_f64_e32 v[24:25], v[26:27], v[12:13]
	s_delay_alu instid0(VALU_DEP_1) | instskip(SKIP_1) | instid1(VALU_DEP_2)
	v_div_scale_f64 v[14:15], null, v[24:25], v[24:25], 1.0
	v_div_scale_f64 v[44:45], vcc_lo, 1.0, v[24:25], 1.0
	v_rcp_f64_e32 v[26:27], v[14:15]
	v_nop
	s_delay_alu instid0(TRANS32_DEP_1) | instskip(NEXT) | instid1(VALU_DEP_1)
	v_fma_f64 v[42:43], -v[14:15], v[26:27], 1.0
	v_fmac_f64_e32 v[26:27], v[26:27], v[42:43]
	s_delay_alu instid0(VALU_DEP_1) | instskip(NEXT) | instid1(VALU_DEP_1)
	v_fma_f64 v[42:43], -v[14:15], v[26:27], 1.0
	v_fmac_f64_e32 v[26:27], v[26:27], v[42:43]
	s_delay_alu instid0(VALU_DEP_1) | instskip(NEXT) | instid1(VALU_DEP_1)
	v_mul_f64_e32 v[42:43], v[44:45], v[26:27]
	v_fma_f64 v[14:15], -v[14:15], v[42:43], v[44:45]
	s_delay_alu instid0(VALU_DEP_1) | instskip(SKIP_2) | instid1(VALU_DEP_3)
	v_div_fmas_f64 v[14:15], v[14:15], v[26:27], v[42:43]
	v_fma_f64 v[26:27], v[22:23], v[12:13], v[20:21]
	v_fma_f64 v[20:21], -v[20:21], v[12:13], v[22:23]
	v_div_fixup_f64 v[14:15], v[14:15], v[24:25], 1.0
	s_delay_alu instid0(VALU_DEP_1) | instskip(NEXT) | instid1(VALU_DEP_3)
	v_mul_f64_e32 v[12:13], v[26:27], v[14:15]
	v_mul_f64_e32 v[14:15], v[20:21], v[14:15]
.LBB238_54:                             ;   in Loop: Header=BB238_48 Depth=2
	s_add_co_i32 s39, s37, -16
	ds_store_b128 v40, v[12:15]
	v_mov_b32_e32 v20, s39
	s_lshl_b32 s39, s36, 9
	s_delay_alu instid0(SALU_CYCLE_1) | instskip(NEXT) | instid1(SALU_CYCLE_1)
	s_add_co_i32 s39, s38, s39
	s_add_co_i32 s39, s39, -16
	ds_load_b128 v[24:27], v20
	s_wait_dscnt 0x0
	v_dual_mul_f64 v[42:43], v[14:15], v[26:27] :: v_dual_mov_b32 v20, s39
	v_mul_f64_e32 v[26:27], v[12:13], v[26:27]
	ds_load_b128 v[20:23], v20
	s_wait_dscnt 0x0
	v_cmp_ngt_f64_e64 s40, |v[20:21]|, |v[22:23]|
	v_fma_f64 v[42:43], v[12:13], v[24:25], -v[42:43]
	v_fmac_f64_e32 v[26:27], v[14:15], v[24:25]
	s_and_b32 vcc_lo, exec_lo, s40
	s_mov_b32 s40, -1
	s_delay_alu instid0(VALU_DEP_2) | instskip(NEXT) | instid1(VALU_DEP_2)
	v_add_f64_e64 v[24:25], v[16:17], -v[42:43]
	v_add_f64_e64 v[26:27], v[18:19], -v[26:27]
                                        ; implicit-def: $vgpr18_vgpr19
	s_cbranch_vccz .LBB238_56
; %bb.55:                               ;   in Loop: Header=BB238_48 Depth=2
	v_div_scale_f64 v[16:17], null, v[22:23], v[22:23], v[20:21]
	v_div_scale_f64 v[42:43], vcc_lo, v[20:21], v[22:23], v[20:21]
	s_mov_b32 s40, 0
	v_rcp_f64_e32 v[18:19], v[16:17]
	v_nop
	s_delay_alu instid0(TRANS32_DEP_1) | instskip(NEXT) | instid1(VALU_DEP_1)
	v_fma_f64 v[40:41], -v[16:17], v[18:19], 1.0
	v_fmac_f64_e32 v[18:19], v[18:19], v[40:41]
	s_delay_alu instid0(VALU_DEP_1) | instskip(NEXT) | instid1(VALU_DEP_1)
	v_fma_f64 v[40:41], -v[16:17], v[18:19], 1.0
	v_fmac_f64_e32 v[18:19], v[18:19], v[40:41]
	s_delay_alu instid0(VALU_DEP_1) | instskip(NEXT) | instid1(VALU_DEP_1)
	v_mul_f64_e32 v[40:41], v[42:43], v[18:19]
	v_fma_f64 v[16:17], -v[16:17], v[40:41], v[42:43]
	s_delay_alu instid0(VALU_DEP_1) | instskip(NEXT) | instid1(VALU_DEP_1)
	v_div_fmas_f64 v[16:17], v[16:17], v[18:19], v[40:41]
	v_div_fixup_f64 v[16:17], v[16:17], v[22:23], v[20:21]
	s_delay_alu instid0(VALU_DEP_1) | instskip(NEXT) | instid1(VALU_DEP_1)
	v_fma_f64 v[18:19], v[20:21], v[16:17], v[22:23]
	v_div_scale_f64 v[40:41], null, v[18:19], v[18:19], 1.0
	v_div_scale_f64 v[46:47], vcc_lo, 1.0, v[18:19], 1.0
	s_delay_alu instid0(VALU_DEP_2) | instskip(SKIP_1) | instid1(TRANS32_DEP_1)
	v_rcp_f64_e32 v[42:43], v[40:41]
	v_nop
	v_fma_f64 v[44:45], -v[40:41], v[42:43], 1.0
	s_delay_alu instid0(VALU_DEP_1) | instskip(NEXT) | instid1(VALU_DEP_1)
	v_fmac_f64_e32 v[42:43], v[42:43], v[44:45]
	v_fma_f64 v[44:45], -v[40:41], v[42:43], 1.0
	s_delay_alu instid0(VALU_DEP_1) | instskip(NEXT) | instid1(VALU_DEP_1)
	v_fmac_f64_e32 v[42:43], v[42:43], v[44:45]
	v_mul_f64_e32 v[44:45], v[46:47], v[42:43]
	s_delay_alu instid0(VALU_DEP_1) | instskip(NEXT) | instid1(VALU_DEP_1)
	v_fma_f64 v[40:41], -v[40:41], v[44:45], v[46:47]
	v_div_fmas_f64 v[40:41], v[40:41], v[42:43], v[44:45]
	v_fma_f64 v[42:43], v[16:17], v[24:25], v[26:27]
	s_delay_alu instid0(VALU_DEP_2) | instskip(SKIP_1) | instid1(VALU_DEP_2)
	v_div_fixup_f64 v[18:19], v[40:41], v[18:19], 1.0
	v_fma_f64 v[40:41], v[16:17], v[26:27], -v[24:25]
	v_mul_f64_e32 v[16:17], v[42:43], v[18:19]
	s_delay_alu instid0(VALU_DEP_2)
	v_mul_f64_e32 v[18:19], v[40:41], v[18:19]
.LBB238_56:                             ;   in Loop: Header=BB238_48 Depth=2
	s_and_not1_b32 vcc_lo, exec_lo, s40
	s_cbranch_vccnz .LBB238_58
; %bb.57:                               ;   in Loop: Header=BB238_48 Depth=2
	v_div_scale_f64 v[16:17], null, v[20:21], v[20:21], v[22:23]
	v_div_scale_f64 v[42:43], vcc_lo, v[22:23], v[20:21], v[22:23]
	s_delay_alu instid0(VALU_DEP_2) | instskip(SKIP_1) | instid1(TRANS32_DEP_1)
	v_rcp_f64_e32 v[18:19], v[16:17]
	v_nop
	v_fma_f64 v[40:41], -v[16:17], v[18:19], 1.0
	s_delay_alu instid0(VALU_DEP_1) | instskip(NEXT) | instid1(VALU_DEP_1)
	v_fmac_f64_e32 v[18:19], v[18:19], v[40:41]
	v_fma_f64 v[40:41], -v[16:17], v[18:19], 1.0
	s_delay_alu instid0(VALU_DEP_1) | instskip(NEXT) | instid1(VALU_DEP_1)
	v_fmac_f64_e32 v[18:19], v[18:19], v[40:41]
	v_mul_f64_e32 v[40:41], v[42:43], v[18:19]
	s_delay_alu instid0(VALU_DEP_1) | instskip(NEXT) | instid1(VALU_DEP_1)
	v_fma_f64 v[16:17], -v[16:17], v[40:41], v[42:43]
	v_div_fmas_f64 v[16:17], v[16:17], v[18:19], v[40:41]
	s_delay_alu instid0(VALU_DEP_1) | instskip(NEXT) | instid1(VALU_DEP_1)
	v_div_fixup_f64 v[16:17], v[16:17], v[20:21], v[22:23]
	v_fmac_f64_e32 v[20:21], v[22:23], v[16:17]
	s_delay_alu instid0(VALU_DEP_1) | instskip(SKIP_1) | instid1(VALU_DEP_2)
	v_div_scale_f64 v[18:19], null, v[20:21], v[20:21], 1.0
	v_div_scale_f64 v[42:43], vcc_lo, 1.0, v[20:21], 1.0
	v_rcp_f64_e32 v[22:23], v[18:19]
	v_nop
	s_delay_alu instid0(TRANS32_DEP_1) | instskip(NEXT) | instid1(VALU_DEP_1)
	v_fma_f64 v[40:41], -v[18:19], v[22:23], 1.0
	v_fmac_f64_e32 v[22:23], v[22:23], v[40:41]
	s_delay_alu instid0(VALU_DEP_1) | instskip(NEXT) | instid1(VALU_DEP_1)
	v_fma_f64 v[40:41], -v[18:19], v[22:23], 1.0
	v_fmac_f64_e32 v[22:23], v[22:23], v[40:41]
	s_delay_alu instid0(VALU_DEP_1) | instskip(NEXT) | instid1(VALU_DEP_1)
	v_mul_f64_e32 v[40:41], v[42:43], v[22:23]
	v_fma_f64 v[18:19], -v[18:19], v[40:41], v[42:43]
	s_delay_alu instid0(VALU_DEP_1) | instskip(SKIP_1) | instid1(VALU_DEP_2)
	v_div_fmas_f64 v[18:19], v[18:19], v[22:23], v[40:41]
	v_fma_f64 v[22:23], v[16:17], v[26:27], v[24:25]
	v_div_fixup_f64 v[18:19], v[18:19], v[20:21], 1.0
	v_fma_f64 v[20:21], -v[16:17], v[24:25], v[26:27]
	s_delay_alu instid0(VALU_DEP_2) | instskip(NEXT) | instid1(VALU_DEP_2)
	v_mul_f64_e32 v[16:17], v[22:23], v[18:19]
	v_mul_f64_e32 v[18:19], v[20:21], v[18:19]
.LBB238_58:                             ;   in Loop: Header=BB238_48 Depth=2
	s_sub_co_i32 s40, s37, 32
	ds_store_b128 v39, v[16:19]
	v_mov_b32_e32 v20, s40
	s_lshl_b32 s40, s36, 4
	s_lshl_b32 s36, s29, 4
	s_sub_co_i32 s39, s39, s40
	s_lshl_b32 s29, s29, 9
	s_add_co_i32 s40, s39, s36
	s_add_co_i32 s38, s38, s29
	v_mov_b32_e32 v24, s40
	ds_load_b128 v[20:23], v20
	s_sub_co_i32 s29, s38, 32
	ds_load_b128 v[24:27], v24
	s_wait_dscnt 0x1
	v_mul_f64_e32 v[40:41], v[14:15], v[22:23]
	v_mul_f64_e32 v[22:23], v[12:13], v[22:23]
	s_wait_dscnt 0x0
	v_mul_f64_e32 v[42:43], v[18:19], v[26:27]
	v_mul_f64_e32 v[26:27], v[16:17], v[26:27]
	s_delay_alu instid0(VALU_DEP_4) | instskip(NEXT) | instid1(VALU_DEP_4)
	v_fma_f64 v[40:41], v[12:13], v[20:21], -v[40:41]
	v_fmac_f64_e32 v[22:23], v[14:15], v[20:21]
	s_delay_alu instid0(VALU_DEP_4) | instskip(NEXT) | instid1(VALU_DEP_4)
	v_fma_f64 v[20:21], v[16:17], v[24:25], -v[42:43]
	v_fmac_f64_e32 v[26:27], v[18:19], v[24:25]
	s_delay_alu instid0(VALU_DEP_4) | instskip(NEXT) | instid1(VALU_DEP_4)
	v_add_f64_e64 v[24:25], v[8:9], -v[40:41]
	v_dual_add_f64 v[22:23], v[10:11], -v[22:23] :: v_dual_mov_b32 v8, s29
	ds_load_b128 v[8:11], v8
	s_wait_dscnt 0x0
	v_cmp_ngt_f64_e64 s38, |v[8:9]|, |v[10:11]|
	v_add_f64_e64 v[24:25], v[24:25], -v[20:21]
	v_add_f64_e64 v[26:27], v[22:23], -v[26:27]
                                        ; implicit-def: $vgpr22_vgpr23
	s_and_b32 vcc_lo, exec_lo, s38
	s_mov_b32 s38, -1
	s_cbranch_vccz .LBB238_60
; %bb.59:                               ;   in Loop: Header=BB238_48 Depth=2
	v_div_scale_f64 v[20:21], null, v[10:11], v[10:11], v[8:9]
	v_div_scale_f64 v[42:43], vcc_lo, v[8:9], v[10:11], v[8:9]
	s_mov_b32 s38, 0
	v_rcp_f64_e32 v[22:23], v[20:21]
	v_nop
	s_delay_alu instid0(TRANS32_DEP_1) | instskip(NEXT) | instid1(VALU_DEP_1)
	v_fma_f64 v[40:41], -v[20:21], v[22:23], 1.0
	v_fmac_f64_e32 v[22:23], v[22:23], v[40:41]
	s_delay_alu instid0(VALU_DEP_1) | instskip(NEXT) | instid1(VALU_DEP_1)
	v_fma_f64 v[40:41], -v[20:21], v[22:23], 1.0
	v_fmac_f64_e32 v[22:23], v[22:23], v[40:41]
	s_delay_alu instid0(VALU_DEP_1) | instskip(NEXT) | instid1(VALU_DEP_1)
	v_mul_f64_e32 v[40:41], v[42:43], v[22:23]
	v_fma_f64 v[20:21], -v[20:21], v[40:41], v[42:43]
	s_delay_alu instid0(VALU_DEP_1) | instskip(NEXT) | instid1(VALU_DEP_1)
	v_div_fmas_f64 v[20:21], v[20:21], v[22:23], v[40:41]
	v_div_fixup_f64 v[20:21], v[20:21], v[10:11], v[8:9]
	s_delay_alu instid0(VALU_DEP_1) | instskip(NEXT) | instid1(VALU_DEP_1)
	v_fma_f64 v[22:23], v[8:9], v[20:21], v[10:11]
	v_div_scale_f64 v[40:41], null, v[22:23], v[22:23], 1.0
	v_div_scale_f64 v[46:47], vcc_lo, 1.0, v[22:23], 1.0
	s_delay_alu instid0(VALU_DEP_2) | instskip(SKIP_1) | instid1(TRANS32_DEP_1)
	v_rcp_f64_e32 v[42:43], v[40:41]
	v_nop
	v_fma_f64 v[44:45], -v[40:41], v[42:43], 1.0
	s_delay_alu instid0(VALU_DEP_1) | instskip(NEXT) | instid1(VALU_DEP_1)
	v_fmac_f64_e32 v[42:43], v[42:43], v[44:45]
	v_fma_f64 v[44:45], -v[40:41], v[42:43], 1.0
	s_delay_alu instid0(VALU_DEP_1) | instskip(NEXT) | instid1(VALU_DEP_1)
	v_fmac_f64_e32 v[42:43], v[42:43], v[44:45]
	v_mul_f64_e32 v[44:45], v[46:47], v[42:43]
	s_delay_alu instid0(VALU_DEP_1) | instskip(NEXT) | instid1(VALU_DEP_1)
	v_fma_f64 v[40:41], -v[40:41], v[44:45], v[46:47]
	v_div_fmas_f64 v[40:41], v[40:41], v[42:43], v[44:45]
	v_fma_f64 v[42:43], v[20:21], v[24:25], v[26:27]
	s_delay_alu instid0(VALU_DEP_2) | instskip(SKIP_1) | instid1(VALU_DEP_2)
	v_div_fixup_f64 v[22:23], v[40:41], v[22:23], 1.0
	v_fma_f64 v[40:41], v[20:21], v[26:27], -v[24:25]
	v_mul_f64_e32 v[20:21], v[42:43], v[22:23]
	s_delay_alu instid0(VALU_DEP_2)
	v_mul_f64_e32 v[22:23], v[40:41], v[22:23]
.LBB238_60:                             ;   in Loop: Header=BB238_48 Depth=2
	s_and_not1_b32 vcc_lo, exec_lo, s38
	s_cbranch_vccnz .LBB238_62
; %bb.61:                               ;   in Loop: Header=BB238_48 Depth=2
	v_div_scale_f64 v[20:21], null, v[8:9], v[8:9], v[10:11]
	v_div_scale_f64 v[42:43], vcc_lo, v[10:11], v[8:9], v[10:11]
	s_delay_alu instid0(VALU_DEP_2) | instskip(SKIP_1) | instid1(TRANS32_DEP_1)
	v_rcp_f64_e32 v[22:23], v[20:21]
	v_nop
	v_fma_f64 v[40:41], -v[20:21], v[22:23], 1.0
	s_delay_alu instid0(VALU_DEP_1) | instskip(NEXT) | instid1(VALU_DEP_1)
	v_fmac_f64_e32 v[22:23], v[22:23], v[40:41]
	v_fma_f64 v[40:41], -v[20:21], v[22:23], 1.0
	s_delay_alu instid0(VALU_DEP_1) | instskip(NEXT) | instid1(VALU_DEP_1)
	v_fmac_f64_e32 v[22:23], v[22:23], v[40:41]
	v_mul_f64_e32 v[40:41], v[42:43], v[22:23]
	s_delay_alu instid0(VALU_DEP_1) | instskip(NEXT) | instid1(VALU_DEP_1)
	v_fma_f64 v[20:21], -v[20:21], v[40:41], v[42:43]
	v_div_fmas_f64 v[20:21], v[20:21], v[22:23], v[40:41]
	s_delay_alu instid0(VALU_DEP_1) | instskip(NEXT) | instid1(VALU_DEP_1)
	v_div_fixup_f64 v[20:21], v[20:21], v[8:9], v[10:11]
	v_fmac_f64_e32 v[8:9], v[10:11], v[20:21]
	s_delay_alu instid0(VALU_DEP_1) | instskip(SKIP_1) | instid1(VALU_DEP_2)
	v_div_scale_f64 v[10:11], null, v[8:9], v[8:9], 1.0
	v_div_scale_f64 v[42:43], vcc_lo, 1.0, v[8:9], 1.0
	v_rcp_f64_e32 v[22:23], v[10:11]
	v_nop
	s_delay_alu instid0(TRANS32_DEP_1) | instskip(NEXT) | instid1(VALU_DEP_1)
	v_fma_f64 v[40:41], -v[10:11], v[22:23], 1.0
	v_fmac_f64_e32 v[22:23], v[22:23], v[40:41]
	s_delay_alu instid0(VALU_DEP_1) | instskip(NEXT) | instid1(VALU_DEP_1)
	v_fma_f64 v[40:41], -v[10:11], v[22:23], 1.0
	v_fmac_f64_e32 v[22:23], v[22:23], v[40:41]
	s_delay_alu instid0(VALU_DEP_1) | instskip(NEXT) | instid1(VALU_DEP_1)
	v_mul_f64_e32 v[40:41], v[42:43], v[22:23]
	v_fma_f64 v[10:11], -v[10:11], v[40:41], v[42:43]
	s_delay_alu instid0(VALU_DEP_1) | instskip(SKIP_1) | instid1(VALU_DEP_2)
	v_div_fmas_f64 v[10:11], v[10:11], v[22:23], v[40:41]
	v_fma_f64 v[22:23], v[20:21], v[26:27], v[24:25]
	v_div_fixup_f64 v[8:9], v[10:11], v[8:9], 1.0
	v_fma_f64 v[10:11], -v[20:21], v[24:25], v[26:27]
	s_delay_alu instid0(VALU_DEP_2) | instskip(NEXT) | instid1(VALU_DEP_2)
	v_mul_f64_e32 v[20:21], v[22:23], v[8:9]
	v_mul_f64_e32 v[22:23], v[10:11], v[8:9]
.LBB238_62:                             ;   in Loop: Header=BB238_48 Depth=2
	s_sub_co_i32 s37, s37, 48
	s_lshl_b32 s28, s28, 4
	v_mov_b32_e32 v8, s37
	s_add_co_i32 s37, s39, s28
	s_sub_co_i32 s36, s29, s36
	v_mov_b32_e32 v24, s37
	s_add_co_i32 s28, s36, s28
	ds_load_b128 v[8:11], v8
	ds_store_b128 v38, v[20:23]
	ds_load_b128 v[24:27], v24
	s_wait_dscnt 0x2
	v_mul_f64_e32 v[40:41], v[14:15], v[10:11]
	v_mul_f64_e32 v[42:43], v[12:13], v[10:11]
	s_wait_dscnt 0x0
	v_mul_f64_e32 v[44:45], v[18:19], v[26:27]
	v_mul_f64_e32 v[26:27], v[16:17], v[26:27]
	s_delay_alu instid0(VALU_DEP_4) | instskip(NEXT) | instid1(VALU_DEP_4)
	v_fma_f64 v[40:41], v[12:13], v[8:9], -v[40:41]
	v_fmac_f64_e32 v[42:43], v[14:15], v[8:9]
	s_delay_alu instid0(VALU_DEP_4) | instskip(NEXT) | instid1(VALU_DEP_4)
	v_dual_fma_f64 v[16:17], v[16:17], v[24:25], -v[44:45] :: v_dual_mov_b32 v8, s28
	v_fmac_f64_e32 v[26:27], v[18:19], v[24:25]
	s_add_co_i32 s28, s29, 0xfffffdf0
	ds_load_b128 v[12:15], v8
	v_mov_b32_e32 v8, s28
	ds_load_b128 v[8:11], v8
	s_wait_dscnt 0x1
	v_mul_f64_e32 v[46:47], v[22:23], v[14:15]
	v_mul_f64_e32 v[14:15], v[20:21], v[14:15]
	v_add_f64_e64 v[4:5], v[4:5], -v[40:41]
	v_add_f64_e64 v[6:7], v[6:7], -v[42:43]
	s_wait_dscnt 0x0
	v_cmp_ngt_f64_e64 s28, |v[8:9]|, |v[10:11]|
	v_fma_f64 v[18:19], v[20:21], v[12:13], -v[46:47]
	v_fmac_f64_e32 v[14:15], v[22:23], v[12:13]
	v_add_f64_e64 v[4:5], v[4:5], -v[16:17]
	v_add_f64_e64 v[6:7], v[6:7], -v[26:27]
	s_and_b32 vcc_lo, exec_lo, s28
	s_mov_b32 s28, -1
	s_delay_alu instid0(VALU_DEP_2) | instskip(NEXT) | instid1(VALU_DEP_2)
	v_add_f64_e64 v[12:13], v[4:5], -v[18:19]
	v_add_f64_e64 v[14:15], v[6:7], -v[14:15]
                                        ; implicit-def: $vgpr6_vgpr7
	s_cbranch_vccz .LBB238_64
; %bb.63:                               ;   in Loop: Header=BB238_48 Depth=2
	v_div_scale_f64 v[4:5], null, v[10:11], v[10:11], v[8:9]
	v_div_scale_f64 v[18:19], vcc_lo, v[8:9], v[10:11], v[8:9]
	s_mov_b32 s28, 0
	v_rcp_f64_e32 v[6:7], v[4:5]
	v_nop
	s_delay_alu instid0(TRANS32_DEP_1) | instskip(NEXT) | instid1(VALU_DEP_1)
	v_fma_f64 v[16:17], -v[4:5], v[6:7], 1.0
	v_fmac_f64_e32 v[6:7], v[6:7], v[16:17]
	s_delay_alu instid0(VALU_DEP_1) | instskip(NEXT) | instid1(VALU_DEP_1)
	v_fma_f64 v[16:17], -v[4:5], v[6:7], 1.0
	v_fmac_f64_e32 v[6:7], v[6:7], v[16:17]
	s_delay_alu instid0(VALU_DEP_1) | instskip(NEXT) | instid1(VALU_DEP_1)
	v_mul_f64_e32 v[16:17], v[18:19], v[6:7]
	v_fma_f64 v[4:5], -v[4:5], v[16:17], v[18:19]
	s_delay_alu instid0(VALU_DEP_1) | instskip(NEXT) | instid1(VALU_DEP_1)
	v_div_fmas_f64 v[4:5], v[4:5], v[6:7], v[16:17]
	v_div_fixup_f64 v[4:5], v[4:5], v[10:11], v[8:9]
	s_delay_alu instid0(VALU_DEP_1) | instskip(NEXT) | instid1(VALU_DEP_1)
	v_fma_f64 v[6:7], v[8:9], v[4:5], v[10:11]
	v_div_scale_f64 v[16:17], null, v[6:7], v[6:7], 1.0
	v_div_scale_f64 v[22:23], vcc_lo, 1.0, v[6:7], 1.0
	s_delay_alu instid0(VALU_DEP_2) | instskip(SKIP_1) | instid1(TRANS32_DEP_1)
	v_rcp_f64_e32 v[18:19], v[16:17]
	v_nop
	v_fma_f64 v[20:21], -v[16:17], v[18:19], 1.0
	s_delay_alu instid0(VALU_DEP_1) | instskip(NEXT) | instid1(VALU_DEP_1)
	v_fmac_f64_e32 v[18:19], v[18:19], v[20:21]
	v_fma_f64 v[20:21], -v[16:17], v[18:19], 1.0
	s_delay_alu instid0(VALU_DEP_1) | instskip(NEXT) | instid1(VALU_DEP_1)
	v_fmac_f64_e32 v[18:19], v[18:19], v[20:21]
	v_mul_f64_e32 v[20:21], v[22:23], v[18:19]
	s_delay_alu instid0(VALU_DEP_1) | instskip(NEXT) | instid1(VALU_DEP_1)
	v_fma_f64 v[16:17], -v[16:17], v[20:21], v[22:23]
	v_div_fmas_f64 v[16:17], v[16:17], v[18:19], v[20:21]
	v_fma_f64 v[18:19], v[4:5], v[12:13], v[14:15]
	s_delay_alu instid0(VALU_DEP_2) | instskip(SKIP_1) | instid1(VALU_DEP_2)
	v_div_fixup_f64 v[6:7], v[16:17], v[6:7], 1.0
	v_fma_f64 v[16:17], v[4:5], v[14:15], -v[12:13]
	v_mul_f64_e32 v[4:5], v[18:19], v[6:7]
	s_delay_alu instid0(VALU_DEP_2)
	v_mul_f64_e32 v[6:7], v[16:17], v[6:7]
.LBB238_64:                             ;   in Loop: Header=BB238_48 Depth=2
	s_and_not1_b32 vcc_lo, exec_lo, s28
	s_cbranch_vccnz .LBB238_66
; %bb.65:                               ;   in Loop: Header=BB238_48 Depth=2
	v_div_scale_f64 v[4:5], null, v[8:9], v[8:9], v[10:11]
	v_div_scale_f64 v[18:19], vcc_lo, v[10:11], v[8:9], v[10:11]
	s_delay_alu instid0(VALU_DEP_2) | instskip(SKIP_1) | instid1(TRANS32_DEP_1)
	v_rcp_f64_e32 v[6:7], v[4:5]
	v_nop
	v_fma_f64 v[16:17], -v[4:5], v[6:7], 1.0
	s_delay_alu instid0(VALU_DEP_1) | instskip(NEXT) | instid1(VALU_DEP_1)
	v_fmac_f64_e32 v[6:7], v[6:7], v[16:17]
	v_fma_f64 v[16:17], -v[4:5], v[6:7], 1.0
	s_delay_alu instid0(VALU_DEP_1) | instskip(NEXT) | instid1(VALU_DEP_1)
	v_fmac_f64_e32 v[6:7], v[6:7], v[16:17]
	v_mul_f64_e32 v[16:17], v[18:19], v[6:7]
	s_delay_alu instid0(VALU_DEP_1) | instskip(NEXT) | instid1(VALU_DEP_1)
	v_fma_f64 v[4:5], -v[4:5], v[16:17], v[18:19]
	v_div_fmas_f64 v[4:5], v[4:5], v[6:7], v[16:17]
	s_delay_alu instid0(VALU_DEP_1) | instskip(NEXT) | instid1(VALU_DEP_1)
	v_div_fixup_f64 v[4:5], v[4:5], v[8:9], v[10:11]
	v_fmac_f64_e32 v[8:9], v[10:11], v[4:5]
	s_delay_alu instid0(VALU_DEP_1) | instskip(SKIP_1) | instid1(VALU_DEP_2)
	v_div_scale_f64 v[6:7], null, v[8:9], v[8:9], 1.0
	v_div_scale_f64 v[18:19], vcc_lo, 1.0, v[8:9], 1.0
	v_rcp_f64_e32 v[10:11], v[6:7]
	v_nop
	s_delay_alu instid0(TRANS32_DEP_1) | instskip(NEXT) | instid1(VALU_DEP_1)
	v_fma_f64 v[16:17], -v[6:7], v[10:11], 1.0
	v_fmac_f64_e32 v[10:11], v[10:11], v[16:17]
	s_delay_alu instid0(VALU_DEP_1) | instskip(NEXT) | instid1(VALU_DEP_1)
	v_fma_f64 v[16:17], -v[6:7], v[10:11], 1.0
	v_fmac_f64_e32 v[10:11], v[10:11], v[16:17]
	s_delay_alu instid0(VALU_DEP_1) | instskip(NEXT) | instid1(VALU_DEP_1)
	v_mul_f64_e32 v[16:17], v[18:19], v[10:11]
	v_fma_f64 v[6:7], -v[6:7], v[16:17], v[18:19]
	s_delay_alu instid0(VALU_DEP_1) | instskip(SKIP_1) | instid1(VALU_DEP_2)
	v_div_fmas_f64 v[6:7], v[6:7], v[10:11], v[16:17]
	v_fma_f64 v[10:11], v[4:5], v[14:15], v[12:13]
	v_div_fixup_f64 v[6:7], v[6:7], v[8:9], 1.0
	v_fma_f64 v[8:9], -v[4:5], v[12:13], v[14:15]
	s_delay_alu instid0(VALU_DEP_2) | instskip(NEXT) | instid1(VALU_DEP_2)
	v_mul_f64_e32 v[4:5], v[10:11], v[6:7]
	v_mul_f64_e32 v[6:7], v[8:9], v[6:7]
.LBB238_66:                             ;   in Loop: Header=BB238_48 Depth=2
	s_add_co_i32 s28, s27, -4
	s_sub_co_i32 s26, s26, 64
	s_cmp_lt_i32 s27, 7
	ds_store_b128 v37, v[4:7]
	s_cbranch_scc1 .LBB238_68
; %bb.67:                               ;   in Loop: Header=BB238_48 Depth=2
	s_mov_b32 s27, s28
	s_branch .LBB238_48
.LBB238_68:                             ;   in Loop: Header=BB238_3 Depth=1
	s_cmp_lt_i32 s28, 0
	s_cbranch_scc1 .LBB238_77
; %bb.69:                               ;   in Loop: Header=BB238_3 Depth=1
	s_lshl_b32 s26, s28, 4
	s_delay_alu instid0(SALU_CYCLE_1)
	s_add_co_i32 s26, s21, s26
	s_branch .LBB238_71
.LBB238_70:                             ;   in Loop: Header=BB238_71 Depth=2
	s_add_co_i32 s27, s28, -1
	s_add_co_i32 s26, s26, -16
	s_cmp_lt_i32 s28, 1
	s_mov_b32 s28, s27
	ds_store_b128 v16, v[12:15]
	s_cbranch_scc1 .LBB238_77
.LBB238_71:                             ;   Parent Loop BB238_3 Depth=1
                                        ; =>  This Loop Header: Depth=2
                                        ;       Child Loop BB238_72 Depth 3
	s_lshl_b32 s27, s28, 9
	s_cmp_le_i32 s33, s28
	v_dual_add_nc_u32 v16, s27, v34 :: v_dual_mov_b32 v8, v29
	s_mov_b32 s29, s26
	s_mov_b32 s36, s33
	ds_load_b128 v[4:7], v16
	s_cbranch_scc1 .LBB238_73
.LBB238_72:                             ;   Parent Loop BB238_3 Depth=1
                                        ;     Parent Loop BB238_71 Depth=2
                                        ; =>    This Inner Loop Header: Depth=3
	v_mov_b32_e32 v9, s29
	s_add_co_i32 s36, s36, -1
	s_addk_co_i32 s29, 0xfe00
	s_cmp_le_i32 s36, s28
	ds_load_b128 v[10:13], v8
	ds_load_b128 v[18:21], v9
	v_add_nc_u32_e32 v8, 0xfffffe00, v8
	s_wait_dscnt 0x0
	v_mul_f64_e32 v[14:15], v[20:21], v[12:13]
	v_mul_f64_e32 v[12:13], v[18:19], v[12:13]
	s_delay_alu instid0(VALU_DEP_2) | instskip(NEXT) | instid1(VALU_DEP_2)
	v_fma_f64 v[14:15], v[18:19], v[10:11], -v[14:15]
	v_fmac_f64_e32 v[12:13], v[20:21], v[10:11]
	s_delay_alu instid0(VALU_DEP_2) | instskip(NEXT) | instid1(VALU_DEP_2)
	v_add_f64_e64 v[4:5], v[4:5], -v[14:15]
	v_add_f64_e64 v[6:7], v[6:7], -v[12:13]
	s_cbranch_scc0 .LBB238_72
.LBB238_73:                             ;   in Loop: Header=BB238_71 Depth=2
	s_lshl_b32 s29, s28, 4
                                        ; implicit-def: $vgpr12_vgpr13
	s_delay_alu instid0(SALU_CYCLE_1) | instskip(NEXT) | instid1(SALU_CYCLE_1)
	s_add_co_i32 s27, s29, s27
	v_mov_b32_e32 v8, s27
	ds_load_b128 v[8:11], v8
	s_wait_dscnt 0x0
	v_cmp_ngt_f64_e64 s27, |v[8:9]|, |v[10:11]|
	s_and_b32 vcc_lo, exec_lo, s27
	s_mov_b32 s27, -1
	s_cbranch_vccz .LBB238_75
; %bb.74:                               ;   in Loop: Header=BB238_71 Depth=2
	v_div_scale_f64 v[12:13], null, v[10:11], v[10:11], v[8:9]
	v_div_scale_f64 v[20:21], vcc_lo, v[8:9], v[10:11], v[8:9]
	s_mov_b32 s27, 0
	v_rcp_f64_e32 v[14:15], v[12:13]
	v_nop
	s_delay_alu instid0(TRANS32_DEP_1) | instskip(NEXT) | instid1(VALU_DEP_1)
	v_fma_f64 v[18:19], -v[12:13], v[14:15], 1.0
	v_fmac_f64_e32 v[14:15], v[14:15], v[18:19]
	s_delay_alu instid0(VALU_DEP_1) | instskip(NEXT) | instid1(VALU_DEP_1)
	v_fma_f64 v[18:19], -v[12:13], v[14:15], 1.0
	v_fmac_f64_e32 v[14:15], v[14:15], v[18:19]
	s_delay_alu instid0(VALU_DEP_1) | instskip(NEXT) | instid1(VALU_DEP_1)
	v_mul_f64_e32 v[18:19], v[20:21], v[14:15]
	v_fma_f64 v[12:13], -v[12:13], v[18:19], v[20:21]
	s_delay_alu instid0(VALU_DEP_1) | instskip(NEXT) | instid1(VALU_DEP_1)
	v_div_fmas_f64 v[12:13], v[12:13], v[14:15], v[18:19]
	v_div_fixup_f64 v[12:13], v[12:13], v[10:11], v[8:9]
	s_delay_alu instid0(VALU_DEP_1) | instskip(NEXT) | instid1(VALU_DEP_1)
	v_fma_f64 v[14:15], v[8:9], v[12:13], v[10:11]
	v_div_scale_f64 v[18:19], null, v[14:15], v[14:15], 1.0
	v_div_scale_f64 v[24:25], vcc_lo, 1.0, v[14:15], 1.0
	s_delay_alu instid0(VALU_DEP_2) | instskip(SKIP_1) | instid1(TRANS32_DEP_1)
	v_rcp_f64_e32 v[20:21], v[18:19]
	v_nop
	v_fma_f64 v[22:23], -v[18:19], v[20:21], 1.0
	s_delay_alu instid0(VALU_DEP_1) | instskip(NEXT) | instid1(VALU_DEP_1)
	v_fmac_f64_e32 v[20:21], v[20:21], v[22:23]
	v_fma_f64 v[22:23], -v[18:19], v[20:21], 1.0
	s_delay_alu instid0(VALU_DEP_1) | instskip(NEXT) | instid1(VALU_DEP_1)
	v_fmac_f64_e32 v[20:21], v[20:21], v[22:23]
	v_mul_f64_e32 v[22:23], v[24:25], v[20:21]
	s_delay_alu instid0(VALU_DEP_1) | instskip(NEXT) | instid1(VALU_DEP_1)
	v_fma_f64 v[18:19], -v[18:19], v[22:23], v[24:25]
	v_div_fmas_f64 v[18:19], v[18:19], v[20:21], v[22:23]
	v_fma_f64 v[20:21], v[4:5], v[12:13], v[6:7]
	s_delay_alu instid0(VALU_DEP_2) | instskip(SKIP_1) | instid1(VALU_DEP_2)
	v_div_fixup_f64 v[14:15], v[18:19], v[14:15], 1.0
	v_fma_f64 v[18:19], v[6:7], v[12:13], -v[4:5]
	v_mul_f64_e32 v[12:13], v[20:21], v[14:15]
	s_delay_alu instid0(VALU_DEP_2)
	v_mul_f64_e32 v[14:15], v[18:19], v[14:15]
.LBB238_75:                             ;   in Loop: Header=BB238_71 Depth=2
	s_and_not1_b32 vcc_lo, exec_lo, s27
	s_cbranch_vccnz .LBB238_70
; %bb.76:                               ;   in Loop: Header=BB238_71 Depth=2
	v_div_scale_f64 v[12:13], null, v[8:9], v[8:9], v[10:11]
	v_div_scale_f64 v[20:21], vcc_lo, v[10:11], v[8:9], v[10:11]
	s_delay_alu instid0(VALU_DEP_2) | instskip(SKIP_1) | instid1(TRANS32_DEP_1)
	v_rcp_f64_e32 v[14:15], v[12:13]
	v_nop
	v_fma_f64 v[18:19], -v[12:13], v[14:15], 1.0
	s_delay_alu instid0(VALU_DEP_1) | instskip(NEXT) | instid1(VALU_DEP_1)
	v_fmac_f64_e32 v[14:15], v[14:15], v[18:19]
	v_fma_f64 v[18:19], -v[12:13], v[14:15], 1.0
	s_delay_alu instid0(VALU_DEP_1) | instskip(NEXT) | instid1(VALU_DEP_1)
	v_fmac_f64_e32 v[14:15], v[14:15], v[18:19]
	v_mul_f64_e32 v[18:19], v[20:21], v[14:15]
	s_delay_alu instid0(VALU_DEP_1) | instskip(NEXT) | instid1(VALU_DEP_1)
	v_fma_f64 v[12:13], -v[12:13], v[18:19], v[20:21]
	v_div_fmas_f64 v[12:13], v[12:13], v[14:15], v[18:19]
	s_delay_alu instid0(VALU_DEP_1) | instskip(NEXT) | instid1(VALU_DEP_1)
	v_div_fixup_f64 v[12:13], v[12:13], v[8:9], v[10:11]
	v_fmac_f64_e32 v[8:9], v[10:11], v[12:13]
	s_delay_alu instid0(VALU_DEP_1) | instskip(SKIP_1) | instid1(VALU_DEP_2)
	v_div_scale_f64 v[10:11], null, v[8:9], v[8:9], 1.0
	v_div_scale_f64 v[20:21], vcc_lo, 1.0, v[8:9], 1.0
	v_rcp_f64_e32 v[14:15], v[10:11]
	v_nop
	s_delay_alu instid0(TRANS32_DEP_1) | instskip(NEXT) | instid1(VALU_DEP_1)
	v_fma_f64 v[18:19], -v[10:11], v[14:15], 1.0
	v_fmac_f64_e32 v[14:15], v[14:15], v[18:19]
	s_delay_alu instid0(VALU_DEP_1) | instskip(NEXT) | instid1(VALU_DEP_1)
	v_fma_f64 v[18:19], -v[10:11], v[14:15], 1.0
	v_fmac_f64_e32 v[14:15], v[14:15], v[18:19]
	s_delay_alu instid0(VALU_DEP_1) | instskip(NEXT) | instid1(VALU_DEP_1)
	v_mul_f64_e32 v[18:19], v[20:21], v[14:15]
	v_fma_f64 v[10:11], -v[10:11], v[18:19], v[20:21]
	s_delay_alu instid0(VALU_DEP_1) | instskip(SKIP_2) | instid1(VALU_DEP_3)
	v_div_fmas_f64 v[10:11], v[10:11], v[14:15], v[18:19]
	v_fma_f64 v[14:15], v[6:7], v[12:13], v[4:5]
	v_fma_f64 v[4:5], -v[4:5], v[12:13], v[6:7]
	v_div_fixup_f64 v[8:9], v[10:11], v[8:9], 1.0
	s_delay_alu instid0(VALU_DEP_1) | instskip(NEXT) | instid1(VALU_DEP_3)
	v_mul_f64_e32 v[12:13], v[14:15], v[8:9]
	v_mul_f64_e32 v[14:15], v[4:5], v[8:9]
	s_branch .LBB238_70
.LBB238_77:                             ;   in Loop: Header=BB238_3 Depth=1
	s_mov_b32 s26, 0
.LBB238_78:                             ;   in Loop: Header=BB238_3 Depth=1
	s_delay_alu instid0(SALU_CYCLE_1)
	s_and_not1_b32 vcc_lo, exec_lo, s26
	s_cbranch_vccnz .LBB238_110
; %bb.79:                               ;   in Loop: Header=BB238_3 Depth=1
	s_mov_b32 s28, s33
	s_and_not1_b32 vcc_lo, exec_lo, s34
	s_mov_b32 s26, s22
	s_mov_b32 s27, s33
	s_cbranch_vccnz .LBB238_101
.LBB238_80:                             ;   Parent Loop BB238_3 Depth=1
                                        ; =>  This Loop Header: Depth=2
                                        ;       Child Loop BB238_81 Depth 3
	s_add_co_i32 s37, s27, -1
	v_lshl_add_u32 v40, s27, 9, v34
	s_add_co_i32 s29, s27, -2
	v_lshl_add_u32 v39, s37, 9, v34
	;; [unrolled: 2-line block ×3, first 2 shown]
	v_lshl_add_u32 v37, s28, 9, v34
	ds_load_b128 v[20:23], v40
	ds_load_b128 v[16:19], v39
	ds_load_b128 v[8:11], v38
	ds_load_b128 v[4:7], v37
	v_mov_b32_e32 v12, v29
	s_cmp_le_i32 s33, s27
	s_mov_b32 s36, s26
	s_mov_b32 s38, s33
	s_cbranch_scc1 .LBB238_82
.LBB238_81:                             ;   Parent Loop BB238_3 Depth=1
                                        ;     Parent Loop BB238_80 Depth=2
                                        ; =>    This Inner Loop Header: Depth=3
	v_mov_b32_e32 v13, s36
	s_add_co_i32 s38, s38, -1
	s_add_co_i32 s36, s36, -16
	s_cmp_le_i32 s38, s27
	ds_load_b128 v[24:27], v12
	ds_load_b128 v[42:45], v13 offset:1536
	ds_load_b128 v[46:49], v13 offset:1024
	;; [unrolled: 1-line block ×3, first 2 shown]
	ds_load_b128 v[54:57], v13
	v_add_nc_u32_e32 v12, 0xfffffe00, v12
	s_wait_dscnt 0x3
	v_mul_f64_e32 v[14:15], v[26:27], v[44:45]
	v_mul_f64_e32 v[44:45], v[24:25], v[44:45]
	s_wait_dscnt 0x2
	v_mul_f64_e32 v[58:59], v[26:27], v[48:49]
	v_mul_f64_e32 v[48:49], v[24:25], v[48:49]
	;; [unrolled: 3-line block ×4, first 2 shown]
	v_fma_f64 v[14:15], v[24:25], v[42:43], -v[14:15]
	v_fmac_f64_e32 v[44:45], v[26:27], v[42:43]
	v_fma_f64 v[42:43], v[24:25], v[46:47], -v[58:59]
	v_fmac_f64_e32 v[48:49], v[26:27], v[46:47]
	v_fma_f64 v[46:47], v[24:25], v[50:51], -v[60:61]
	v_fmac_f64_e32 v[52:53], v[26:27], v[50:51]
	v_fma_f64 v[24:25], v[24:25], v[54:55], -v[62:63]
	v_fmac_f64_e32 v[56:57], v[26:27], v[54:55]
	v_add_f64_e64 v[20:21], v[20:21], -v[14:15]
	v_add_f64_e64 v[22:23], v[22:23], -v[44:45]
	;; [unrolled: 1-line block ×8, first 2 shown]
	s_cbranch_scc0 .LBB238_81
.LBB238_82:                             ;   in Loop: Header=BB238_80 Depth=2
	s_lshl_b32 s38, s37, 5
	s_lshl_b32 s39, s29, 5
	;; [unrolled: 1-line block ×3, first 2 shown]
; %bb.83:                               ;   in Loop: Header=BB238_80 Depth=2
	s_mul_i32 s40, s27, 0x210
	s_delay_alu instid0(SALU_CYCLE_1)
	v_mov_b32_e32 v12, s40
	ds_load_b128 v[24:27], v12
                                        ; implicit-def: $vgpr14_vgpr15
	s_wait_dscnt 0x0
	v_cmp_ngt_f64_e64 s40, |v[24:25]|, |v[26:27]|
	s_and_b32 vcc_lo, exec_lo, s40
	s_mov_b32 s40, -1
	s_cbranch_vccz .LBB238_85
; %bb.84:                               ;   in Loop: Header=BB238_80 Depth=2
	v_div_scale_f64 v[12:13], null, v[26:27], v[26:27], v[24:25]
	v_div_scale_f64 v[44:45], vcc_lo, v[24:25], v[26:27], v[24:25]
	s_mov_b32 s40, 0
	v_rcp_f64_e32 v[14:15], v[12:13]
	v_nop
	s_delay_alu instid0(TRANS32_DEP_1) | instskip(NEXT) | instid1(VALU_DEP_1)
	v_fma_f64 v[42:43], -v[12:13], v[14:15], 1.0
	v_fmac_f64_e32 v[14:15], v[14:15], v[42:43]
	s_delay_alu instid0(VALU_DEP_1) | instskip(NEXT) | instid1(VALU_DEP_1)
	v_fma_f64 v[42:43], -v[12:13], v[14:15], 1.0
	v_fmac_f64_e32 v[14:15], v[14:15], v[42:43]
	s_delay_alu instid0(VALU_DEP_1) | instskip(NEXT) | instid1(VALU_DEP_1)
	v_mul_f64_e32 v[42:43], v[44:45], v[14:15]
	v_fma_f64 v[12:13], -v[12:13], v[42:43], v[44:45]
	s_delay_alu instid0(VALU_DEP_1) | instskip(NEXT) | instid1(VALU_DEP_1)
	v_div_fmas_f64 v[12:13], v[12:13], v[14:15], v[42:43]
	v_div_fixup_f64 v[12:13], v[12:13], v[26:27], v[24:25]
	s_delay_alu instid0(VALU_DEP_1) | instskip(NEXT) | instid1(VALU_DEP_1)
	v_fma_f64 v[14:15], v[24:25], v[12:13], v[26:27]
	v_div_scale_f64 v[42:43], null, v[14:15], v[14:15], 1.0
	v_div_scale_f64 v[48:49], vcc_lo, 1.0, v[14:15], 1.0
	s_delay_alu instid0(VALU_DEP_2) | instskip(SKIP_1) | instid1(TRANS32_DEP_1)
	v_rcp_f64_e32 v[44:45], v[42:43]
	v_nop
	v_fma_f64 v[46:47], -v[42:43], v[44:45], 1.0
	s_delay_alu instid0(VALU_DEP_1) | instskip(NEXT) | instid1(VALU_DEP_1)
	v_fmac_f64_e32 v[44:45], v[44:45], v[46:47]
	v_fma_f64 v[46:47], -v[42:43], v[44:45], 1.0
	s_delay_alu instid0(VALU_DEP_1) | instskip(NEXT) | instid1(VALU_DEP_1)
	v_fmac_f64_e32 v[44:45], v[44:45], v[46:47]
	v_mul_f64_e32 v[46:47], v[48:49], v[44:45]
	s_delay_alu instid0(VALU_DEP_1) | instskip(NEXT) | instid1(VALU_DEP_1)
	v_fma_f64 v[42:43], -v[42:43], v[46:47], v[48:49]
	v_div_fmas_f64 v[42:43], v[42:43], v[44:45], v[46:47]
	v_fma_f64 v[44:45], v[20:21], v[12:13], v[22:23]
	s_delay_alu instid0(VALU_DEP_2) | instskip(SKIP_1) | instid1(VALU_DEP_2)
	v_div_fixup_f64 v[14:15], v[42:43], v[14:15], 1.0
	v_fma_f64 v[42:43], v[22:23], v[12:13], -v[20:21]
	v_mul_f64_e32 v[12:13], v[44:45], v[14:15]
	s_delay_alu instid0(VALU_DEP_2)
	v_mul_f64_e32 v[14:15], v[42:43], v[14:15]
.LBB238_85:                             ;   in Loop: Header=BB238_80 Depth=2
	s_and_not1_b32 vcc_lo, exec_lo, s40
	s_cbranch_vccnz .LBB238_87
; %bb.86:                               ;   in Loop: Header=BB238_80 Depth=2
	v_div_scale_f64 v[12:13], null, v[24:25], v[24:25], v[26:27]
	v_div_scale_f64 v[44:45], vcc_lo, v[26:27], v[24:25], v[26:27]
	s_delay_alu instid0(VALU_DEP_2) | instskip(SKIP_1) | instid1(TRANS32_DEP_1)
	v_rcp_f64_e32 v[14:15], v[12:13]
	v_nop
	v_fma_f64 v[42:43], -v[12:13], v[14:15], 1.0
	s_delay_alu instid0(VALU_DEP_1) | instskip(NEXT) | instid1(VALU_DEP_1)
	v_fmac_f64_e32 v[14:15], v[14:15], v[42:43]
	v_fma_f64 v[42:43], -v[12:13], v[14:15], 1.0
	s_delay_alu instid0(VALU_DEP_1) | instskip(NEXT) | instid1(VALU_DEP_1)
	v_fmac_f64_e32 v[14:15], v[14:15], v[42:43]
	v_mul_f64_e32 v[42:43], v[44:45], v[14:15]
	s_delay_alu instid0(VALU_DEP_1) | instskip(NEXT) | instid1(VALU_DEP_1)
	v_fma_f64 v[12:13], -v[12:13], v[42:43], v[44:45]
	v_div_fmas_f64 v[12:13], v[12:13], v[14:15], v[42:43]
	s_delay_alu instid0(VALU_DEP_1) | instskip(NEXT) | instid1(VALU_DEP_1)
	v_div_fixup_f64 v[12:13], v[12:13], v[24:25], v[26:27]
	v_fmac_f64_e32 v[24:25], v[26:27], v[12:13]
	s_delay_alu instid0(VALU_DEP_1) | instskip(SKIP_1) | instid1(VALU_DEP_2)
	v_div_scale_f64 v[14:15], null, v[24:25], v[24:25], 1.0
	v_div_scale_f64 v[44:45], vcc_lo, 1.0, v[24:25], 1.0
	v_rcp_f64_e32 v[26:27], v[14:15]
	v_nop
	s_delay_alu instid0(TRANS32_DEP_1) | instskip(NEXT) | instid1(VALU_DEP_1)
	v_fma_f64 v[42:43], -v[14:15], v[26:27], 1.0
	v_fmac_f64_e32 v[26:27], v[26:27], v[42:43]
	s_delay_alu instid0(VALU_DEP_1) | instskip(NEXT) | instid1(VALU_DEP_1)
	v_fma_f64 v[42:43], -v[14:15], v[26:27], 1.0
	v_fmac_f64_e32 v[26:27], v[26:27], v[42:43]
	s_delay_alu instid0(VALU_DEP_1) | instskip(NEXT) | instid1(VALU_DEP_1)
	v_mul_f64_e32 v[42:43], v[44:45], v[26:27]
	v_fma_f64 v[14:15], -v[14:15], v[42:43], v[44:45]
	s_delay_alu instid0(VALU_DEP_1) | instskip(SKIP_2) | instid1(VALU_DEP_3)
	v_div_fmas_f64 v[14:15], v[14:15], v[26:27], v[42:43]
	v_fma_f64 v[26:27], v[22:23], v[12:13], v[20:21]
	v_fma_f64 v[20:21], -v[20:21], v[12:13], v[22:23]
	v_div_fixup_f64 v[14:15], v[14:15], v[24:25], 1.0
	s_delay_alu instid0(VALU_DEP_1) | instskip(NEXT) | instid1(VALU_DEP_3)
	v_mul_f64_e32 v[12:13], v[26:27], v[14:15]
	v_mul_f64_e32 v[14:15], v[20:21], v[14:15]
.LBB238_87:                             ;   in Loop: Header=BB238_80 Depth=2
	s_lshl_b32 s40, s38, 4
	s_lshl_b32 s38, s27, 4
	;; [unrolled: 1-line block ×3, first 2 shown]
	s_add_co_i32 s41, s40, s38
	s_add_co_i32 s37, s40, s37
	v_mov_b32_e32 v20, s41
	ds_store_b128 v40, v[12:15]
	ds_load_b128 v[24:27], v20
	s_wait_dscnt 0x0
	v_dual_mul_f64 v[42:43], v[14:15], v[26:27] :: v_dual_mov_b32 v20, s37
	v_mul_f64_e32 v[26:27], v[12:13], v[26:27]
	ds_load_b128 v[20:23], v20
	s_wait_dscnt 0x0
	v_cmp_ngt_f64_e64 s37, |v[20:21]|, |v[22:23]|
	v_fma_f64 v[42:43], v[12:13], v[24:25], -v[42:43]
	v_fmac_f64_e32 v[26:27], v[14:15], v[24:25]
	s_and_b32 vcc_lo, exec_lo, s37
	s_mov_b32 s37, -1
	s_delay_alu instid0(VALU_DEP_2) | instskip(NEXT) | instid1(VALU_DEP_2)
	v_add_f64_e64 v[24:25], v[16:17], -v[42:43]
	v_add_f64_e64 v[26:27], v[18:19], -v[26:27]
                                        ; implicit-def: $vgpr18_vgpr19
	s_cbranch_vccz .LBB238_89
; %bb.88:                               ;   in Loop: Header=BB238_80 Depth=2
	v_div_scale_f64 v[16:17], null, v[22:23], v[22:23], v[20:21]
	v_div_scale_f64 v[42:43], vcc_lo, v[20:21], v[22:23], v[20:21]
	s_mov_b32 s37, 0
	v_rcp_f64_e32 v[18:19], v[16:17]
	v_nop
	s_delay_alu instid0(TRANS32_DEP_1) | instskip(NEXT) | instid1(VALU_DEP_1)
	v_fma_f64 v[40:41], -v[16:17], v[18:19], 1.0
	v_fmac_f64_e32 v[18:19], v[18:19], v[40:41]
	s_delay_alu instid0(VALU_DEP_1) | instskip(NEXT) | instid1(VALU_DEP_1)
	v_fma_f64 v[40:41], -v[16:17], v[18:19], 1.0
	v_fmac_f64_e32 v[18:19], v[18:19], v[40:41]
	s_delay_alu instid0(VALU_DEP_1) | instskip(NEXT) | instid1(VALU_DEP_1)
	v_mul_f64_e32 v[40:41], v[42:43], v[18:19]
	v_fma_f64 v[16:17], -v[16:17], v[40:41], v[42:43]
	s_delay_alu instid0(VALU_DEP_1) | instskip(NEXT) | instid1(VALU_DEP_1)
	v_div_fmas_f64 v[16:17], v[16:17], v[18:19], v[40:41]
	v_div_fixup_f64 v[16:17], v[16:17], v[22:23], v[20:21]
	s_delay_alu instid0(VALU_DEP_1) | instskip(NEXT) | instid1(VALU_DEP_1)
	v_fma_f64 v[18:19], v[20:21], v[16:17], v[22:23]
	v_div_scale_f64 v[40:41], null, v[18:19], v[18:19], 1.0
	v_div_scale_f64 v[46:47], vcc_lo, 1.0, v[18:19], 1.0
	s_delay_alu instid0(VALU_DEP_2) | instskip(SKIP_1) | instid1(TRANS32_DEP_1)
	v_rcp_f64_e32 v[42:43], v[40:41]
	v_nop
	v_fma_f64 v[44:45], -v[40:41], v[42:43], 1.0
	s_delay_alu instid0(VALU_DEP_1) | instskip(NEXT) | instid1(VALU_DEP_1)
	v_fmac_f64_e32 v[42:43], v[42:43], v[44:45]
	v_fma_f64 v[44:45], -v[40:41], v[42:43], 1.0
	s_delay_alu instid0(VALU_DEP_1) | instskip(NEXT) | instid1(VALU_DEP_1)
	v_fmac_f64_e32 v[42:43], v[42:43], v[44:45]
	v_mul_f64_e32 v[44:45], v[46:47], v[42:43]
	s_delay_alu instid0(VALU_DEP_1) | instskip(NEXT) | instid1(VALU_DEP_1)
	v_fma_f64 v[40:41], -v[40:41], v[44:45], v[46:47]
	v_div_fmas_f64 v[40:41], v[40:41], v[42:43], v[44:45]
	v_fma_f64 v[42:43], v[16:17], v[24:25], v[26:27]
	s_delay_alu instid0(VALU_DEP_2) | instskip(SKIP_1) | instid1(VALU_DEP_2)
	v_div_fixup_f64 v[18:19], v[40:41], v[18:19], 1.0
	v_fma_f64 v[40:41], v[16:17], v[26:27], -v[24:25]
	v_mul_f64_e32 v[16:17], v[42:43], v[18:19]
	s_delay_alu instid0(VALU_DEP_2)
	v_mul_f64_e32 v[18:19], v[40:41], v[18:19]
.LBB238_89:                             ;   in Loop: Header=BB238_80 Depth=2
	s_and_not1_b32 vcc_lo, exec_lo, s37
	s_cbranch_vccnz .LBB238_91
; %bb.90:                               ;   in Loop: Header=BB238_80 Depth=2
	v_div_scale_f64 v[16:17], null, v[20:21], v[20:21], v[22:23]
	v_div_scale_f64 v[42:43], vcc_lo, v[22:23], v[20:21], v[22:23]
	s_delay_alu instid0(VALU_DEP_2) | instskip(SKIP_1) | instid1(TRANS32_DEP_1)
	v_rcp_f64_e32 v[18:19], v[16:17]
	v_nop
	v_fma_f64 v[40:41], -v[16:17], v[18:19], 1.0
	s_delay_alu instid0(VALU_DEP_1) | instskip(NEXT) | instid1(VALU_DEP_1)
	v_fmac_f64_e32 v[18:19], v[18:19], v[40:41]
	v_fma_f64 v[40:41], -v[16:17], v[18:19], 1.0
	s_delay_alu instid0(VALU_DEP_1) | instskip(NEXT) | instid1(VALU_DEP_1)
	v_fmac_f64_e32 v[18:19], v[18:19], v[40:41]
	v_mul_f64_e32 v[40:41], v[42:43], v[18:19]
	s_delay_alu instid0(VALU_DEP_1) | instskip(NEXT) | instid1(VALU_DEP_1)
	v_fma_f64 v[16:17], -v[16:17], v[40:41], v[42:43]
	v_div_fmas_f64 v[16:17], v[16:17], v[18:19], v[40:41]
	s_delay_alu instid0(VALU_DEP_1) | instskip(NEXT) | instid1(VALU_DEP_1)
	v_div_fixup_f64 v[16:17], v[16:17], v[20:21], v[22:23]
	v_fmac_f64_e32 v[20:21], v[22:23], v[16:17]
	s_delay_alu instid0(VALU_DEP_1) | instskip(SKIP_1) | instid1(VALU_DEP_2)
	v_div_scale_f64 v[18:19], null, v[20:21], v[20:21], 1.0
	v_div_scale_f64 v[42:43], vcc_lo, 1.0, v[20:21], 1.0
	v_rcp_f64_e32 v[22:23], v[18:19]
	v_nop
	s_delay_alu instid0(TRANS32_DEP_1) | instskip(NEXT) | instid1(VALU_DEP_1)
	v_fma_f64 v[40:41], -v[18:19], v[22:23], 1.0
	v_fmac_f64_e32 v[22:23], v[22:23], v[40:41]
	s_delay_alu instid0(VALU_DEP_1) | instskip(NEXT) | instid1(VALU_DEP_1)
	v_fma_f64 v[40:41], -v[18:19], v[22:23], 1.0
	v_fmac_f64_e32 v[22:23], v[22:23], v[40:41]
	s_delay_alu instid0(VALU_DEP_1) | instskip(NEXT) | instid1(VALU_DEP_1)
	v_mul_f64_e32 v[40:41], v[42:43], v[22:23]
	v_fma_f64 v[18:19], -v[18:19], v[40:41], v[42:43]
	s_delay_alu instid0(VALU_DEP_1) | instskip(SKIP_1) | instid1(VALU_DEP_2)
	v_div_fmas_f64 v[18:19], v[18:19], v[22:23], v[40:41]
	v_fma_f64 v[22:23], v[16:17], v[26:27], v[24:25]
	v_div_fixup_f64 v[18:19], v[18:19], v[20:21], 1.0
	v_fma_f64 v[20:21], -v[16:17], v[24:25], v[26:27]
	s_delay_alu instid0(VALU_DEP_2) | instskip(NEXT) | instid1(VALU_DEP_2)
	v_mul_f64_e32 v[16:17], v[22:23], v[18:19]
	v_mul_f64_e32 v[18:19], v[20:21], v[18:19]
.LBB238_91:                             ;   in Loop: Header=BB238_80 Depth=2
	s_lshl_b32 s37, s39, 4
	s_lshl_b32 s29, s29, 4
	s_add_co_i32 s39, s37, s38
	s_add_co_i32 s29, s37, s29
	v_mov_b32_e32 v20, s39
	s_add_co_i32 s39, s39, -16
	ds_store_b128 v39, v[16:19]
	v_mov_b32_e32 v24, s39
	ds_load_b128 v[20:23], v20
	ds_load_b128 v[24:27], v24
	s_wait_dscnt 0x1
	v_mul_f64_e32 v[40:41], v[14:15], v[22:23]
	v_mul_f64_e32 v[22:23], v[12:13], v[22:23]
	s_wait_dscnt 0x0
	v_mul_f64_e32 v[42:43], v[18:19], v[26:27]
	v_mul_f64_e32 v[26:27], v[16:17], v[26:27]
	s_delay_alu instid0(VALU_DEP_4) | instskip(NEXT) | instid1(VALU_DEP_4)
	v_fma_f64 v[40:41], v[12:13], v[20:21], -v[40:41]
	v_fmac_f64_e32 v[22:23], v[14:15], v[20:21]
	s_delay_alu instid0(VALU_DEP_4) | instskip(NEXT) | instid1(VALU_DEP_4)
	v_fma_f64 v[20:21], v[16:17], v[24:25], -v[42:43]
	v_fmac_f64_e32 v[26:27], v[18:19], v[24:25]
	s_delay_alu instid0(VALU_DEP_4) | instskip(NEXT) | instid1(VALU_DEP_4)
	v_add_f64_e64 v[24:25], v[8:9], -v[40:41]
	v_dual_add_f64 v[22:23], v[10:11], -v[22:23] :: v_dual_mov_b32 v8, s29
	ds_load_b128 v[8:11], v8
	s_wait_dscnt 0x0
	v_cmp_ngt_f64_e64 s29, |v[8:9]|, |v[10:11]|
	v_add_f64_e64 v[24:25], v[24:25], -v[20:21]
	v_add_f64_e64 v[26:27], v[22:23], -v[26:27]
                                        ; implicit-def: $vgpr22_vgpr23
	s_and_b32 vcc_lo, exec_lo, s29
	s_mov_b32 s29, -1
	s_cbranch_vccz .LBB238_93
; %bb.92:                               ;   in Loop: Header=BB238_80 Depth=2
	v_div_scale_f64 v[20:21], null, v[10:11], v[10:11], v[8:9]
	v_div_scale_f64 v[42:43], vcc_lo, v[8:9], v[10:11], v[8:9]
	s_mov_b32 s29, 0
	v_rcp_f64_e32 v[22:23], v[20:21]
	v_nop
	s_delay_alu instid0(TRANS32_DEP_1) | instskip(NEXT) | instid1(VALU_DEP_1)
	v_fma_f64 v[40:41], -v[20:21], v[22:23], 1.0
	v_fmac_f64_e32 v[22:23], v[22:23], v[40:41]
	s_delay_alu instid0(VALU_DEP_1) | instskip(NEXT) | instid1(VALU_DEP_1)
	v_fma_f64 v[40:41], -v[20:21], v[22:23], 1.0
	v_fmac_f64_e32 v[22:23], v[22:23], v[40:41]
	s_delay_alu instid0(VALU_DEP_1) | instskip(NEXT) | instid1(VALU_DEP_1)
	v_mul_f64_e32 v[40:41], v[42:43], v[22:23]
	v_fma_f64 v[20:21], -v[20:21], v[40:41], v[42:43]
	s_delay_alu instid0(VALU_DEP_1) | instskip(NEXT) | instid1(VALU_DEP_1)
	v_div_fmas_f64 v[20:21], v[20:21], v[22:23], v[40:41]
	v_div_fixup_f64 v[20:21], v[20:21], v[10:11], v[8:9]
	s_delay_alu instid0(VALU_DEP_1) | instskip(NEXT) | instid1(VALU_DEP_1)
	v_fma_f64 v[22:23], v[8:9], v[20:21], v[10:11]
	v_div_scale_f64 v[40:41], null, v[22:23], v[22:23], 1.0
	v_div_scale_f64 v[46:47], vcc_lo, 1.0, v[22:23], 1.0
	s_delay_alu instid0(VALU_DEP_2) | instskip(SKIP_1) | instid1(TRANS32_DEP_1)
	v_rcp_f64_e32 v[42:43], v[40:41]
	v_nop
	v_fma_f64 v[44:45], -v[40:41], v[42:43], 1.0
	s_delay_alu instid0(VALU_DEP_1) | instskip(NEXT) | instid1(VALU_DEP_1)
	v_fmac_f64_e32 v[42:43], v[42:43], v[44:45]
	v_fma_f64 v[44:45], -v[40:41], v[42:43], 1.0
	s_delay_alu instid0(VALU_DEP_1) | instskip(NEXT) | instid1(VALU_DEP_1)
	v_fmac_f64_e32 v[42:43], v[42:43], v[44:45]
	v_mul_f64_e32 v[44:45], v[46:47], v[42:43]
	s_delay_alu instid0(VALU_DEP_1) | instskip(NEXT) | instid1(VALU_DEP_1)
	v_fma_f64 v[40:41], -v[40:41], v[44:45], v[46:47]
	v_div_fmas_f64 v[40:41], v[40:41], v[42:43], v[44:45]
	v_fma_f64 v[42:43], v[20:21], v[24:25], v[26:27]
	s_delay_alu instid0(VALU_DEP_2) | instskip(SKIP_1) | instid1(VALU_DEP_2)
	v_div_fixup_f64 v[22:23], v[40:41], v[22:23], 1.0
	v_fma_f64 v[40:41], v[20:21], v[26:27], -v[24:25]
	v_mul_f64_e32 v[20:21], v[42:43], v[22:23]
	s_delay_alu instid0(VALU_DEP_2)
	v_mul_f64_e32 v[22:23], v[40:41], v[22:23]
.LBB238_93:                             ;   in Loop: Header=BB238_80 Depth=2
	s_and_not1_b32 vcc_lo, exec_lo, s29
	s_cbranch_vccnz .LBB238_95
; %bb.94:                               ;   in Loop: Header=BB238_80 Depth=2
	v_div_scale_f64 v[20:21], null, v[8:9], v[8:9], v[10:11]
	v_div_scale_f64 v[42:43], vcc_lo, v[10:11], v[8:9], v[10:11]
	s_delay_alu instid0(VALU_DEP_2) | instskip(SKIP_1) | instid1(TRANS32_DEP_1)
	v_rcp_f64_e32 v[22:23], v[20:21]
	v_nop
	v_fma_f64 v[40:41], -v[20:21], v[22:23], 1.0
	s_delay_alu instid0(VALU_DEP_1) | instskip(NEXT) | instid1(VALU_DEP_1)
	v_fmac_f64_e32 v[22:23], v[22:23], v[40:41]
	v_fma_f64 v[40:41], -v[20:21], v[22:23], 1.0
	s_delay_alu instid0(VALU_DEP_1) | instskip(NEXT) | instid1(VALU_DEP_1)
	v_fmac_f64_e32 v[22:23], v[22:23], v[40:41]
	v_mul_f64_e32 v[40:41], v[42:43], v[22:23]
	s_delay_alu instid0(VALU_DEP_1) | instskip(NEXT) | instid1(VALU_DEP_1)
	v_fma_f64 v[20:21], -v[20:21], v[40:41], v[42:43]
	v_div_fmas_f64 v[20:21], v[20:21], v[22:23], v[40:41]
	s_delay_alu instid0(VALU_DEP_1) | instskip(NEXT) | instid1(VALU_DEP_1)
	v_div_fixup_f64 v[20:21], v[20:21], v[8:9], v[10:11]
	v_fmac_f64_e32 v[8:9], v[10:11], v[20:21]
	s_delay_alu instid0(VALU_DEP_1) | instskip(SKIP_1) | instid1(VALU_DEP_2)
	v_div_scale_f64 v[10:11], null, v[8:9], v[8:9], 1.0
	v_div_scale_f64 v[42:43], vcc_lo, 1.0, v[8:9], 1.0
	v_rcp_f64_e32 v[22:23], v[10:11]
	v_nop
	s_delay_alu instid0(TRANS32_DEP_1) | instskip(NEXT) | instid1(VALU_DEP_1)
	v_fma_f64 v[40:41], -v[10:11], v[22:23], 1.0
	v_fmac_f64_e32 v[22:23], v[22:23], v[40:41]
	s_delay_alu instid0(VALU_DEP_1) | instskip(NEXT) | instid1(VALU_DEP_1)
	v_fma_f64 v[40:41], -v[10:11], v[22:23], 1.0
	v_fmac_f64_e32 v[22:23], v[22:23], v[40:41]
	s_delay_alu instid0(VALU_DEP_1) | instskip(NEXT) | instid1(VALU_DEP_1)
	v_mul_f64_e32 v[40:41], v[42:43], v[22:23]
	v_fma_f64 v[10:11], -v[10:11], v[40:41], v[42:43]
	s_delay_alu instid0(VALU_DEP_1) | instskip(SKIP_1) | instid1(VALU_DEP_2)
	v_div_fmas_f64 v[10:11], v[10:11], v[22:23], v[40:41]
	v_fma_f64 v[22:23], v[20:21], v[26:27], v[24:25]
	v_div_fixup_f64 v[8:9], v[10:11], v[8:9], 1.0
	v_fma_f64 v[10:11], -v[20:21], v[24:25], v[26:27]
	s_delay_alu instid0(VALU_DEP_2) | instskip(NEXT) | instid1(VALU_DEP_2)
	v_mul_f64_e32 v[20:21], v[22:23], v[8:9]
	v_mul_f64_e32 v[22:23], v[10:11], v[8:9]
.LBB238_95:                             ;   in Loop: Header=BB238_80 Depth=2
	s_lshl_b32 s29, s36, 4
	s_lshl_b32 s28, s28, 4
	s_add_co_i32 s36, s29, s38
	s_add_co_i32 s28, s29, s28
	s_add_co_i32 s37, s36, -16
	s_delay_alu instid0(SALU_CYCLE_1)
	v_dual_mov_b32 v8, s36 :: v_dual_mov_b32 v24, s37
	s_sub_co_i32 s36, s36, 32
	ds_store_b128 v38, v[20:23]
	ds_load_b128 v[8:11], v8
	ds_load_b128 v[24:27], v24
	s_wait_dscnt 0x1
	v_mul_f64_e32 v[40:41], v[14:15], v[10:11]
	v_mul_f64_e32 v[42:43], v[12:13], v[10:11]
	s_wait_dscnt 0x0
	v_mul_f64_e32 v[44:45], v[18:19], v[26:27]
	v_mul_f64_e32 v[26:27], v[16:17], v[26:27]
	s_delay_alu instid0(VALU_DEP_4) | instskip(NEXT) | instid1(VALU_DEP_4)
	v_fma_f64 v[40:41], v[12:13], v[8:9], -v[40:41]
	v_fmac_f64_e32 v[42:43], v[14:15], v[8:9]
	s_delay_alu instid0(VALU_DEP_4) | instskip(NEXT) | instid1(VALU_DEP_4)
	v_dual_fma_f64 v[16:17], v[16:17], v[24:25], -v[44:45] :: v_dual_mov_b32 v8, s36
	v_fmac_f64_e32 v[26:27], v[18:19], v[24:25]
	ds_load_b128 v[12:15], v8
	v_mov_b32_e32 v8, s28
	ds_load_b128 v[8:11], v8
	s_wait_dscnt 0x1
	v_mul_f64_e32 v[46:47], v[22:23], v[14:15]
	v_mul_f64_e32 v[14:15], v[20:21], v[14:15]
	v_add_f64_e64 v[4:5], v[4:5], -v[40:41]
	v_add_f64_e64 v[6:7], v[6:7], -v[42:43]
	s_wait_dscnt 0x0
	v_cmp_ngt_f64_e64 s28, |v[8:9]|, |v[10:11]|
	v_fma_f64 v[18:19], v[20:21], v[12:13], -v[46:47]
	v_fmac_f64_e32 v[14:15], v[22:23], v[12:13]
	v_add_f64_e64 v[4:5], v[4:5], -v[16:17]
	v_add_f64_e64 v[6:7], v[6:7], -v[26:27]
	s_and_b32 vcc_lo, exec_lo, s28
	s_mov_b32 s28, -1
	s_delay_alu instid0(VALU_DEP_2) | instskip(NEXT) | instid1(VALU_DEP_2)
	v_add_f64_e64 v[12:13], v[4:5], -v[18:19]
	v_add_f64_e64 v[14:15], v[6:7], -v[14:15]
                                        ; implicit-def: $vgpr6_vgpr7
	s_cbranch_vccz .LBB238_97
; %bb.96:                               ;   in Loop: Header=BB238_80 Depth=2
	v_div_scale_f64 v[4:5], null, v[10:11], v[10:11], v[8:9]
	v_div_scale_f64 v[18:19], vcc_lo, v[8:9], v[10:11], v[8:9]
	s_mov_b32 s28, 0
	v_rcp_f64_e32 v[6:7], v[4:5]
	v_nop
	s_delay_alu instid0(TRANS32_DEP_1) | instskip(NEXT) | instid1(VALU_DEP_1)
	v_fma_f64 v[16:17], -v[4:5], v[6:7], 1.0
	v_fmac_f64_e32 v[6:7], v[6:7], v[16:17]
	s_delay_alu instid0(VALU_DEP_1) | instskip(NEXT) | instid1(VALU_DEP_1)
	v_fma_f64 v[16:17], -v[4:5], v[6:7], 1.0
	v_fmac_f64_e32 v[6:7], v[6:7], v[16:17]
	s_delay_alu instid0(VALU_DEP_1) | instskip(NEXT) | instid1(VALU_DEP_1)
	v_mul_f64_e32 v[16:17], v[18:19], v[6:7]
	v_fma_f64 v[4:5], -v[4:5], v[16:17], v[18:19]
	s_delay_alu instid0(VALU_DEP_1) | instskip(NEXT) | instid1(VALU_DEP_1)
	v_div_fmas_f64 v[4:5], v[4:5], v[6:7], v[16:17]
	v_div_fixup_f64 v[4:5], v[4:5], v[10:11], v[8:9]
	s_delay_alu instid0(VALU_DEP_1) | instskip(NEXT) | instid1(VALU_DEP_1)
	v_fma_f64 v[6:7], v[8:9], v[4:5], v[10:11]
	v_div_scale_f64 v[16:17], null, v[6:7], v[6:7], 1.0
	v_div_scale_f64 v[22:23], vcc_lo, 1.0, v[6:7], 1.0
	s_delay_alu instid0(VALU_DEP_2) | instskip(SKIP_1) | instid1(TRANS32_DEP_1)
	v_rcp_f64_e32 v[18:19], v[16:17]
	v_nop
	v_fma_f64 v[20:21], -v[16:17], v[18:19], 1.0
	s_delay_alu instid0(VALU_DEP_1) | instskip(NEXT) | instid1(VALU_DEP_1)
	v_fmac_f64_e32 v[18:19], v[18:19], v[20:21]
	v_fma_f64 v[20:21], -v[16:17], v[18:19], 1.0
	s_delay_alu instid0(VALU_DEP_1) | instskip(NEXT) | instid1(VALU_DEP_1)
	v_fmac_f64_e32 v[18:19], v[18:19], v[20:21]
	v_mul_f64_e32 v[20:21], v[22:23], v[18:19]
	s_delay_alu instid0(VALU_DEP_1) | instskip(NEXT) | instid1(VALU_DEP_1)
	v_fma_f64 v[16:17], -v[16:17], v[20:21], v[22:23]
	v_div_fmas_f64 v[16:17], v[16:17], v[18:19], v[20:21]
	v_fma_f64 v[18:19], v[4:5], v[12:13], v[14:15]
	s_delay_alu instid0(VALU_DEP_2) | instskip(SKIP_1) | instid1(VALU_DEP_2)
	v_div_fixup_f64 v[6:7], v[16:17], v[6:7], 1.0
	v_fma_f64 v[16:17], v[4:5], v[14:15], -v[12:13]
	v_mul_f64_e32 v[4:5], v[18:19], v[6:7]
	s_delay_alu instid0(VALU_DEP_2)
	v_mul_f64_e32 v[6:7], v[16:17], v[6:7]
.LBB238_97:                             ;   in Loop: Header=BB238_80 Depth=2
	s_and_not1_b32 vcc_lo, exec_lo, s28
	s_cbranch_vccnz .LBB238_99
; %bb.98:                               ;   in Loop: Header=BB238_80 Depth=2
	v_div_scale_f64 v[4:5], null, v[8:9], v[8:9], v[10:11]
	v_div_scale_f64 v[18:19], vcc_lo, v[10:11], v[8:9], v[10:11]
	s_delay_alu instid0(VALU_DEP_2) | instskip(SKIP_1) | instid1(TRANS32_DEP_1)
	v_rcp_f64_e32 v[6:7], v[4:5]
	v_nop
	v_fma_f64 v[16:17], -v[4:5], v[6:7], 1.0
	s_delay_alu instid0(VALU_DEP_1) | instskip(NEXT) | instid1(VALU_DEP_1)
	v_fmac_f64_e32 v[6:7], v[6:7], v[16:17]
	v_fma_f64 v[16:17], -v[4:5], v[6:7], 1.0
	s_delay_alu instid0(VALU_DEP_1) | instskip(NEXT) | instid1(VALU_DEP_1)
	v_fmac_f64_e32 v[6:7], v[6:7], v[16:17]
	v_mul_f64_e32 v[16:17], v[18:19], v[6:7]
	s_delay_alu instid0(VALU_DEP_1) | instskip(NEXT) | instid1(VALU_DEP_1)
	v_fma_f64 v[4:5], -v[4:5], v[16:17], v[18:19]
	v_div_fmas_f64 v[4:5], v[4:5], v[6:7], v[16:17]
	s_delay_alu instid0(VALU_DEP_1) | instskip(NEXT) | instid1(VALU_DEP_1)
	v_div_fixup_f64 v[4:5], v[4:5], v[8:9], v[10:11]
	v_fmac_f64_e32 v[8:9], v[10:11], v[4:5]
	s_delay_alu instid0(VALU_DEP_1) | instskip(SKIP_1) | instid1(VALU_DEP_2)
	v_div_scale_f64 v[6:7], null, v[8:9], v[8:9], 1.0
	v_div_scale_f64 v[18:19], vcc_lo, 1.0, v[8:9], 1.0
	v_rcp_f64_e32 v[10:11], v[6:7]
	v_nop
	s_delay_alu instid0(TRANS32_DEP_1) | instskip(NEXT) | instid1(VALU_DEP_1)
	v_fma_f64 v[16:17], -v[6:7], v[10:11], 1.0
	v_fmac_f64_e32 v[10:11], v[10:11], v[16:17]
	s_delay_alu instid0(VALU_DEP_1) | instskip(NEXT) | instid1(VALU_DEP_1)
	v_fma_f64 v[16:17], -v[6:7], v[10:11], 1.0
	v_fmac_f64_e32 v[10:11], v[10:11], v[16:17]
	s_delay_alu instid0(VALU_DEP_1) | instskip(NEXT) | instid1(VALU_DEP_1)
	v_mul_f64_e32 v[16:17], v[18:19], v[10:11]
	v_fma_f64 v[6:7], -v[6:7], v[16:17], v[18:19]
	s_delay_alu instid0(VALU_DEP_1) | instskip(SKIP_1) | instid1(VALU_DEP_2)
	v_div_fmas_f64 v[6:7], v[6:7], v[10:11], v[16:17]
	v_fma_f64 v[10:11], v[4:5], v[14:15], v[12:13]
	v_div_fixup_f64 v[6:7], v[6:7], v[8:9], 1.0
	v_fma_f64 v[8:9], -v[4:5], v[12:13], v[14:15]
	s_delay_alu instid0(VALU_DEP_2) | instskip(NEXT) | instid1(VALU_DEP_2)
	v_mul_f64_e32 v[4:5], v[10:11], v[6:7]
	v_mul_f64_e32 v[6:7], v[8:9], v[6:7]
.LBB238_99:                             ;   in Loop: Header=BB238_80 Depth=2
	s_add_co_i32 s28, s27, -4
	s_addk_co_i32 s26, 0xf800
	s_cmp_lt_i32 s27, 7
	ds_store_b128 v37, v[4:7]
	s_cbranch_scc1 .LBB238_101
; %bb.100:                              ;   in Loop: Header=BB238_80 Depth=2
	s_mov_b32 s27, s28
	s_branch .LBB238_80
.LBB238_101:                            ;   in Loop: Header=BB238_3 Depth=1
	s_cmp_lt_i32 s28, 0
	s_cbranch_scc1 .LBB238_110
; %bb.102:                              ;   in Loop: Header=BB238_3 Depth=1
	s_lshl_b32 s26, s28, 9
	s_delay_alu instid0(SALU_CYCLE_1)
	s_add_co_i32 s26, s23, s26
	s_branch .LBB238_104
.LBB238_103:                            ;   in Loop: Header=BB238_104 Depth=2
	v_sub_co_u32 v4, s27, s28, 1
	s_and_b32 vcc_lo, exec_lo, s27
	s_addk_co_i32 s26, 0xfe00
	ds_store_b128 v16, v[12:15]
	v_readfirstlane_b32 s28, v4
	s_cbranch_vccnz .LBB238_110
.LBB238_104:                            ;   Parent Loop BB238_3 Depth=1
                                        ; =>  This Loop Header: Depth=2
                                        ;       Child Loop BB238_105 Depth 3
	v_lshl_add_u32 v16, s28, 9, v34
	v_mov_b32_e32 v8, v29
	s_cmp_le_i32 s33, s28
	s_mov_b32 s27, s26
	s_mov_b32 s29, s33
	ds_load_b128 v[4:7], v16
	s_cbranch_scc1 .LBB238_106
.LBB238_105:                            ;   Parent Loop BB238_3 Depth=1
                                        ;     Parent Loop BB238_104 Depth=2
                                        ; =>    This Inner Loop Header: Depth=3
	v_mov_b32_e32 v9, s27
	s_add_co_i32 s29, s29, -1
	s_add_co_i32 s27, s27, -16
	s_cmp_le_u32 s29, s28
	ds_load_b128 v[10:13], v8
	ds_load_b128 v[18:21], v9
	v_add_nc_u32_e32 v8, 0xfffffe00, v8
	s_wait_dscnt 0x0
	v_mul_f64_e32 v[14:15], v[20:21], v[12:13]
	v_mul_f64_e32 v[12:13], v[18:19], v[12:13]
	s_delay_alu instid0(VALU_DEP_2) | instskip(NEXT) | instid1(VALU_DEP_2)
	v_fma_f64 v[14:15], v[18:19], v[10:11], -v[14:15]
	v_fmac_f64_e32 v[12:13], v[20:21], v[10:11]
	s_delay_alu instid0(VALU_DEP_2) | instskip(NEXT) | instid1(VALU_DEP_2)
	v_add_f64_e64 v[4:5], v[4:5], -v[14:15]
	v_add_f64_e64 v[6:7], v[6:7], -v[12:13]
	s_cbranch_scc0 .LBB238_105
.LBB238_106:                            ;   in Loop: Header=BB238_104 Depth=2
	s_mul_i32 s27, s28, 0x210
                                        ; implicit-def: $vgpr12_vgpr13
	s_delay_alu instid0(SALU_CYCLE_1)
	v_mov_b32_e32 v8, s27
	ds_load_b128 v[8:11], v8
	s_wait_dscnt 0x0
	v_cmp_ngt_f64_e64 s27, |v[8:9]|, |v[10:11]|
	s_and_b32 vcc_lo, exec_lo, s27
	s_mov_b32 s27, -1
	s_cbranch_vccz .LBB238_108
; %bb.107:                              ;   in Loop: Header=BB238_104 Depth=2
	v_div_scale_f64 v[12:13], null, v[10:11], v[10:11], v[8:9]
	v_div_scale_f64 v[20:21], vcc_lo, v[8:9], v[10:11], v[8:9]
	s_mov_b32 s27, 0
	v_rcp_f64_e32 v[14:15], v[12:13]
	v_nop
	s_delay_alu instid0(TRANS32_DEP_1) | instskip(NEXT) | instid1(VALU_DEP_1)
	v_fma_f64 v[18:19], -v[12:13], v[14:15], 1.0
	v_fmac_f64_e32 v[14:15], v[14:15], v[18:19]
	s_delay_alu instid0(VALU_DEP_1) | instskip(NEXT) | instid1(VALU_DEP_1)
	v_fma_f64 v[18:19], -v[12:13], v[14:15], 1.0
	v_fmac_f64_e32 v[14:15], v[14:15], v[18:19]
	s_delay_alu instid0(VALU_DEP_1) | instskip(NEXT) | instid1(VALU_DEP_1)
	v_mul_f64_e32 v[18:19], v[20:21], v[14:15]
	v_fma_f64 v[12:13], -v[12:13], v[18:19], v[20:21]
	s_delay_alu instid0(VALU_DEP_1) | instskip(NEXT) | instid1(VALU_DEP_1)
	v_div_fmas_f64 v[12:13], v[12:13], v[14:15], v[18:19]
	v_div_fixup_f64 v[12:13], v[12:13], v[10:11], v[8:9]
	s_delay_alu instid0(VALU_DEP_1) | instskip(NEXT) | instid1(VALU_DEP_1)
	v_fma_f64 v[14:15], v[8:9], v[12:13], v[10:11]
	v_div_scale_f64 v[18:19], null, v[14:15], v[14:15], 1.0
	v_div_scale_f64 v[24:25], vcc_lo, 1.0, v[14:15], 1.0
	s_delay_alu instid0(VALU_DEP_2) | instskip(SKIP_1) | instid1(TRANS32_DEP_1)
	v_rcp_f64_e32 v[20:21], v[18:19]
	v_nop
	v_fma_f64 v[22:23], -v[18:19], v[20:21], 1.0
	s_delay_alu instid0(VALU_DEP_1) | instskip(NEXT) | instid1(VALU_DEP_1)
	v_fmac_f64_e32 v[20:21], v[20:21], v[22:23]
	v_fma_f64 v[22:23], -v[18:19], v[20:21], 1.0
	s_delay_alu instid0(VALU_DEP_1) | instskip(NEXT) | instid1(VALU_DEP_1)
	v_fmac_f64_e32 v[20:21], v[20:21], v[22:23]
	v_mul_f64_e32 v[22:23], v[24:25], v[20:21]
	s_delay_alu instid0(VALU_DEP_1) | instskip(NEXT) | instid1(VALU_DEP_1)
	v_fma_f64 v[18:19], -v[18:19], v[22:23], v[24:25]
	v_div_fmas_f64 v[18:19], v[18:19], v[20:21], v[22:23]
	v_fma_f64 v[20:21], v[4:5], v[12:13], v[6:7]
	s_delay_alu instid0(VALU_DEP_2) | instskip(SKIP_1) | instid1(VALU_DEP_2)
	v_div_fixup_f64 v[14:15], v[18:19], v[14:15], 1.0
	v_fma_f64 v[18:19], v[6:7], v[12:13], -v[4:5]
	v_mul_f64_e32 v[12:13], v[20:21], v[14:15]
	s_delay_alu instid0(VALU_DEP_2)
	v_mul_f64_e32 v[14:15], v[18:19], v[14:15]
.LBB238_108:                            ;   in Loop: Header=BB238_104 Depth=2
	s_and_not1_b32 vcc_lo, exec_lo, s27
	s_cbranch_vccnz .LBB238_103
; %bb.109:                              ;   in Loop: Header=BB238_104 Depth=2
	v_div_scale_f64 v[12:13], null, v[8:9], v[8:9], v[10:11]
	v_div_scale_f64 v[20:21], vcc_lo, v[10:11], v[8:9], v[10:11]
	s_delay_alu instid0(VALU_DEP_2) | instskip(SKIP_1) | instid1(TRANS32_DEP_1)
	v_rcp_f64_e32 v[14:15], v[12:13]
	v_nop
	v_fma_f64 v[18:19], -v[12:13], v[14:15], 1.0
	s_delay_alu instid0(VALU_DEP_1) | instskip(NEXT) | instid1(VALU_DEP_1)
	v_fmac_f64_e32 v[14:15], v[14:15], v[18:19]
	v_fma_f64 v[18:19], -v[12:13], v[14:15], 1.0
	s_delay_alu instid0(VALU_DEP_1) | instskip(NEXT) | instid1(VALU_DEP_1)
	v_fmac_f64_e32 v[14:15], v[14:15], v[18:19]
	v_mul_f64_e32 v[18:19], v[20:21], v[14:15]
	s_delay_alu instid0(VALU_DEP_1) | instskip(NEXT) | instid1(VALU_DEP_1)
	v_fma_f64 v[12:13], -v[12:13], v[18:19], v[20:21]
	v_div_fmas_f64 v[12:13], v[12:13], v[14:15], v[18:19]
	s_delay_alu instid0(VALU_DEP_1) | instskip(NEXT) | instid1(VALU_DEP_1)
	v_div_fixup_f64 v[12:13], v[12:13], v[8:9], v[10:11]
	v_fmac_f64_e32 v[8:9], v[10:11], v[12:13]
	s_delay_alu instid0(VALU_DEP_1) | instskip(SKIP_1) | instid1(VALU_DEP_2)
	v_div_scale_f64 v[10:11], null, v[8:9], v[8:9], 1.0
	v_div_scale_f64 v[20:21], vcc_lo, 1.0, v[8:9], 1.0
	v_rcp_f64_e32 v[14:15], v[10:11]
	v_nop
	s_delay_alu instid0(TRANS32_DEP_1) | instskip(NEXT) | instid1(VALU_DEP_1)
	v_fma_f64 v[18:19], -v[10:11], v[14:15], 1.0
	v_fmac_f64_e32 v[14:15], v[14:15], v[18:19]
	s_delay_alu instid0(VALU_DEP_1) | instskip(NEXT) | instid1(VALU_DEP_1)
	v_fma_f64 v[18:19], -v[10:11], v[14:15], 1.0
	v_fmac_f64_e32 v[14:15], v[14:15], v[18:19]
	s_delay_alu instid0(VALU_DEP_1) | instskip(NEXT) | instid1(VALU_DEP_1)
	v_mul_f64_e32 v[18:19], v[20:21], v[14:15]
	v_fma_f64 v[10:11], -v[10:11], v[18:19], v[20:21]
	s_delay_alu instid0(VALU_DEP_1) | instskip(SKIP_2) | instid1(VALU_DEP_3)
	v_div_fmas_f64 v[10:11], v[10:11], v[14:15], v[18:19]
	v_fma_f64 v[14:15], v[6:7], v[12:13], v[4:5]
	v_fma_f64 v[4:5], -v[4:5], v[12:13], v[6:7]
	v_div_fixup_f64 v[8:9], v[10:11], v[8:9], 1.0
	s_delay_alu instid0(VALU_DEP_1) | instskip(NEXT) | instid1(VALU_DEP_3)
	v_mul_f64_e32 v[12:13], v[14:15], v[8:9]
	v_mul_f64_e32 v[14:15], v[4:5], v[8:9]
	s_branch .LBB238_103
.LBB238_110:                            ;   in Loop: Header=BB238_3 Depth=1
	s_mov_b32 s26, 0
.LBB238_111:                            ;   in Loop: Header=BB238_3 Depth=1
	s_delay_alu instid0(SALU_CYCLE_1)
	s_and_not1_b32 vcc_lo, exec_lo, s26
	s_cbranch_vccnz .LBB238_143
; %bb.112:                              ;   in Loop: Header=BB238_3 Depth=1
	s_and_not1_b32 vcc_lo, exec_lo, s34
	s_mov_b32 s28, 0
	s_cbranch_vccnz .LBB238_134
; %bb.113:                              ;   in Loop: Header=BB238_3 Depth=1
	s_mov_b32 s26, 0
	s_mov_b32 s27, 0
.LBB238_114:                            ;   Parent Loop BB238_3 Depth=1
                                        ; =>  This Loop Header: Depth=2
                                        ;       Child Loop BB238_115 Depth 3
	s_delay_alu instid0(SALU_CYCLE_1)
	s_or_b32 s37, s27, 1
	v_lshl_add_u32 v40, s27, 9, v34
	s_or_b32 s29, s27, 2
	s_or_b32 s28, s27, 3
	v_lshl_add_u32 v39, s37, 9, v34
	v_lshl_add_u32 v38, s29, 9, v34
	;; [unrolled: 1-line block ×3, first 2 shown]
	ds_load_b128 v[20:23], v40
	ds_load_b128 v[16:19], v39
	;; [unrolled: 1-line block ×4, first 2 shown]
	v_mov_b32_e32 v12, v34
	s_cmp_eq_u32 s27, 0
	s_mov_b32 s36, s26
	s_mov_b32 s38, s27
	s_cbranch_scc1 .LBB238_116
.LBB238_115:                            ;   Parent Loop BB238_3 Depth=1
                                        ;     Parent Loop BB238_114 Depth=2
                                        ; =>    This Inner Loop Header: Depth=3
	v_mov_b32_e32 v13, s36
	s_add_co_i32 s38, s38, -1
	s_add_co_i32 s36, s36, 16
	s_cmp_eq_u32 s38, 0
	ds_load_b128 v[24:27], v12
	ds_load_b128 v[42:45], v13
	ds_load_b128 v[46:49], v13 offset:512
	ds_load_b128 v[50:53], v13 offset:1024
	;; [unrolled: 1-line block ×3, first 2 shown]
	v_add_nc_u32_e32 v12, 0x200, v12
	s_wait_dscnt 0x3
	v_mul_f64_e32 v[14:15], v[26:27], v[44:45]
	v_mul_f64_e32 v[44:45], v[24:25], v[44:45]
	s_wait_dscnt 0x2
	v_mul_f64_e32 v[58:59], v[26:27], v[48:49]
	v_mul_f64_e32 v[48:49], v[24:25], v[48:49]
	;; [unrolled: 3-line block ×4, first 2 shown]
	v_fma_f64 v[14:15], v[24:25], v[42:43], -v[14:15]
	v_fmac_f64_e32 v[44:45], v[26:27], v[42:43]
	v_fma_f64 v[42:43], v[24:25], v[46:47], -v[58:59]
	v_fmac_f64_e32 v[48:49], v[26:27], v[46:47]
	;; [unrolled: 2-line block ×4, first 2 shown]
	v_add_f64_e64 v[20:21], v[20:21], -v[14:15]
	v_add_f64_e64 v[22:23], v[22:23], -v[44:45]
	;; [unrolled: 1-line block ×8, first 2 shown]
	s_cbranch_scc0 .LBB238_115
.LBB238_116:                            ;   in Loop: Header=BB238_114 Depth=2
	s_mul_i32 s40, s27, 0x210
	s_lshl_b32 s38, s37, 5
	v_mov_b32_e32 v12, s40
	s_lshl_b32 s39, s29, 5
	s_lshl_b32 s36, s28, 5
	ds_load_b128 v[24:27], v12
                                        ; implicit-def: $vgpr14_vgpr15
	s_wait_dscnt 0x0
	v_cmp_ngt_f64_e64 s40, |v[24:25]|, |v[26:27]|
	s_and_b32 vcc_lo, exec_lo, s40
	s_mov_b32 s40, -1
	s_cbranch_vccz .LBB238_118
; %bb.117:                              ;   in Loop: Header=BB238_114 Depth=2
	v_div_scale_f64 v[12:13], null, v[26:27], v[26:27], v[24:25]
	v_div_scale_f64 v[44:45], vcc_lo, v[24:25], v[26:27], v[24:25]
	s_mov_b32 s40, 0
	v_rcp_f64_e32 v[14:15], v[12:13]
	v_nop
	s_delay_alu instid0(TRANS32_DEP_1) | instskip(NEXT) | instid1(VALU_DEP_1)
	v_fma_f64 v[42:43], -v[12:13], v[14:15], 1.0
	v_fmac_f64_e32 v[14:15], v[14:15], v[42:43]
	s_delay_alu instid0(VALU_DEP_1) | instskip(NEXT) | instid1(VALU_DEP_1)
	v_fma_f64 v[42:43], -v[12:13], v[14:15], 1.0
	v_fmac_f64_e32 v[14:15], v[14:15], v[42:43]
	s_delay_alu instid0(VALU_DEP_1) | instskip(NEXT) | instid1(VALU_DEP_1)
	v_mul_f64_e32 v[42:43], v[44:45], v[14:15]
	v_fma_f64 v[12:13], -v[12:13], v[42:43], v[44:45]
	s_delay_alu instid0(VALU_DEP_1) | instskip(NEXT) | instid1(VALU_DEP_1)
	v_div_fmas_f64 v[12:13], v[12:13], v[14:15], v[42:43]
	v_div_fixup_f64 v[12:13], v[12:13], v[26:27], v[24:25]
	s_delay_alu instid0(VALU_DEP_1) | instskip(NEXT) | instid1(VALU_DEP_1)
	v_fma_f64 v[14:15], v[24:25], v[12:13], v[26:27]
	v_div_scale_f64 v[42:43], null, v[14:15], v[14:15], 1.0
	v_div_scale_f64 v[48:49], vcc_lo, 1.0, v[14:15], 1.0
	s_delay_alu instid0(VALU_DEP_2) | instskip(SKIP_1) | instid1(TRANS32_DEP_1)
	v_rcp_f64_e32 v[44:45], v[42:43]
	v_nop
	v_fma_f64 v[46:47], -v[42:43], v[44:45], 1.0
	s_delay_alu instid0(VALU_DEP_1) | instskip(NEXT) | instid1(VALU_DEP_1)
	v_fmac_f64_e32 v[44:45], v[44:45], v[46:47]
	v_fma_f64 v[46:47], -v[42:43], v[44:45], 1.0
	s_delay_alu instid0(VALU_DEP_1) | instskip(NEXT) | instid1(VALU_DEP_1)
	v_fmac_f64_e32 v[44:45], v[44:45], v[46:47]
	v_mul_f64_e32 v[46:47], v[48:49], v[44:45]
	s_delay_alu instid0(VALU_DEP_1) | instskip(NEXT) | instid1(VALU_DEP_1)
	v_fma_f64 v[42:43], -v[42:43], v[46:47], v[48:49]
	v_div_fmas_f64 v[42:43], v[42:43], v[44:45], v[46:47]
	v_fma_f64 v[44:45], v[20:21], v[12:13], v[22:23]
	s_delay_alu instid0(VALU_DEP_2) | instskip(SKIP_1) | instid1(VALU_DEP_2)
	v_div_fixup_f64 v[14:15], v[42:43], v[14:15], 1.0
	v_fma_f64 v[42:43], v[22:23], v[12:13], -v[20:21]
	v_mul_f64_e32 v[12:13], v[44:45], v[14:15]
	s_delay_alu instid0(VALU_DEP_2)
	v_mul_f64_e32 v[14:15], v[42:43], v[14:15]
.LBB238_118:                            ;   in Loop: Header=BB238_114 Depth=2
	s_and_not1_b32 vcc_lo, exec_lo, s40
	s_cbranch_vccnz .LBB238_120
; %bb.119:                              ;   in Loop: Header=BB238_114 Depth=2
	v_div_scale_f64 v[12:13], null, v[24:25], v[24:25], v[26:27]
	v_div_scale_f64 v[44:45], vcc_lo, v[26:27], v[24:25], v[26:27]
	s_delay_alu instid0(VALU_DEP_2) | instskip(SKIP_1) | instid1(TRANS32_DEP_1)
	v_rcp_f64_e32 v[14:15], v[12:13]
	v_nop
	v_fma_f64 v[42:43], -v[12:13], v[14:15], 1.0
	s_delay_alu instid0(VALU_DEP_1) | instskip(NEXT) | instid1(VALU_DEP_1)
	v_fmac_f64_e32 v[14:15], v[14:15], v[42:43]
	v_fma_f64 v[42:43], -v[12:13], v[14:15], 1.0
	s_delay_alu instid0(VALU_DEP_1) | instskip(NEXT) | instid1(VALU_DEP_1)
	v_fmac_f64_e32 v[14:15], v[14:15], v[42:43]
	v_mul_f64_e32 v[42:43], v[44:45], v[14:15]
	s_delay_alu instid0(VALU_DEP_1) | instskip(NEXT) | instid1(VALU_DEP_1)
	v_fma_f64 v[12:13], -v[12:13], v[42:43], v[44:45]
	v_div_fmas_f64 v[12:13], v[12:13], v[14:15], v[42:43]
	s_delay_alu instid0(VALU_DEP_1) | instskip(NEXT) | instid1(VALU_DEP_1)
	v_div_fixup_f64 v[12:13], v[12:13], v[24:25], v[26:27]
	v_fmac_f64_e32 v[24:25], v[26:27], v[12:13]
	s_delay_alu instid0(VALU_DEP_1) | instskip(SKIP_1) | instid1(VALU_DEP_2)
	v_div_scale_f64 v[14:15], null, v[24:25], v[24:25], 1.0
	v_div_scale_f64 v[44:45], vcc_lo, 1.0, v[24:25], 1.0
	v_rcp_f64_e32 v[26:27], v[14:15]
	v_nop
	s_delay_alu instid0(TRANS32_DEP_1) | instskip(NEXT) | instid1(VALU_DEP_1)
	v_fma_f64 v[42:43], -v[14:15], v[26:27], 1.0
	v_fmac_f64_e32 v[26:27], v[26:27], v[42:43]
	s_delay_alu instid0(VALU_DEP_1) | instskip(NEXT) | instid1(VALU_DEP_1)
	v_fma_f64 v[42:43], -v[14:15], v[26:27], 1.0
	v_fmac_f64_e32 v[26:27], v[26:27], v[42:43]
	s_delay_alu instid0(VALU_DEP_1) | instskip(NEXT) | instid1(VALU_DEP_1)
	v_mul_f64_e32 v[42:43], v[44:45], v[26:27]
	v_fma_f64 v[14:15], -v[14:15], v[42:43], v[44:45]
	s_delay_alu instid0(VALU_DEP_1) | instskip(SKIP_2) | instid1(VALU_DEP_3)
	v_div_fmas_f64 v[14:15], v[14:15], v[26:27], v[42:43]
	v_fma_f64 v[26:27], v[22:23], v[12:13], v[20:21]
	v_fma_f64 v[20:21], -v[20:21], v[12:13], v[22:23]
	v_div_fixup_f64 v[14:15], v[14:15], v[24:25], 1.0
	s_delay_alu instid0(VALU_DEP_1) | instskip(NEXT) | instid1(VALU_DEP_3)
	v_mul_f64_e32 v[12:13], v[26:27], v[14:15]
	v_mul_f64_e32 v[14:15], v[20:21], v[14:15]
.LBB238_120:                            ;   in Loop: Header=BB238_114 Depth=2
	s_lshl_b32 s40, s38, 4
	s_lshl_b32 s38, s27, 4
	;; [unrolled: 1-line block ×3, first 2 shown]
	s_add_co_i32 s41, s40, s38
	s_add_co_i32 s37, s40, s37
	v_mov_b32_e32 v20, s41
	ds_store_b128 v40, v[12:15]
	ds_load_b128 v[24:27], v20
	s_wait_dscnt 0x0
	v_dual_mul_f64 v[42:43], v[14:15], v[26:27] :: v_dual_mov_b32 v20, s37
	v_mul_f64_e32 v[26:27], v[12:13], v[26:27]
	ds_load_b128 v[20:23], v20
	s_wait_dscnt 0x0
	v_cmp_ngt_f64_e64 s37, |v[20:21]|, |v[22:23]|
	v_fma_f64 v[42:43], v[12:13], v[24:25], -v[42:43]
	v_fmac_f64_e32 v[26:27], v[14:15], v[24:25]
	s_and_b32 vcc_lo, exec_lo, s37
	s_mov_b32 s37, -1
	s_delay_alu instid0(VALU_DEP_2) | instskip(NEXT) | instid1(VALU_DEP_2)
	v_add_f64_e64 v[24:25], v[16:17], -v[42:43]
	v_add_f64_e64 v[26:27], v[18:19], -v[26:27]
                                        ; implicit-def: $vgpr18_vgpr19
	s_cbranch_vccz .LBB238_122
; %bb.121:                              ;   in Loop: Header=BB238_114 Depth=2
	v_div_scale_f64 v[16:17], null, v[22:23], v[22:23], v[20:21]
	v_div_scale_f64 v[42:43], vcc_lo, v[20:21], v[22:23], v[20:21]
	s_mov_b32 s37, 0
	v_rcp_f64_e32 v[18:19], v[16:17]
	v_nop
	s_delay_alu instid0(TRANS32_DEP_1) | instskip(NEXT) | instid1(VALU_DEP_1)
	v_fma_f64 v[40:41], -v[16:17], v[18:19], 1.0
	v_fmac_f64_e32 v[18:19], v[18:19], v[40:41]
	s_delay_alu instid0(VALU_DEP_1) | instskip(NEXT) | instid1(VALU_DEP_1)
	v_fma_f64 v[40:41], -v[16:17], v[18:19], 1.0
	v_fmac_f64_e32 v[18:19], v[18:19], v[40:41]
	s_delay_alu instid0(VALU_DEP_1) | instskip(NEXT) | instid1(VALU_DEP_1)
	v_mul_f64_e32 v[40:41], v[42:43], v[18:19]
	v_fma_f64 v[16:17], -v[16:17], v[40:41], v[42:43]
	s_delay_alu instid0(VALU_DEP_1) | instskip(NEXT) | instid1(VALU_DEP_1)
	v_div_fmas_f64 v[16:17], v[16:17], v[18:19], v[40:41]
	v_div_fixup_f64 v[16:17], v[16:17], v[22:23], v[20:21]
	s_delay_alu instid0(VALU_DEP_1) | instskip(NEXT) | instid1(VALU_DEP_1)
	v_fma_f64 v[18:19], v[20:21], v[16:17], v[22:23]
	v_div_scale_f64 v[40:41], null, v[18:19], v[18:19], 1.0
	v_div_scale_f64 v[46:47], vcc_lo, 1.0, v[18:19], 1.0
	s_delay_alu instid0(VALU_DEP_2) | instskip(SKIP_1) | instid1(TRANS32_DEP_1)
	v_rcp_f64_e32 v[42:43], v[40:41]
	v_nop
	v_fma_f64 v[44:45], -v[40:41], v[42:43], 1.0
	s_delay_alu instid0(VALU_DEP_1) | instskip(NEXT) | instid1(VALU_DEP_1)
	v_fmac_f64_e32 v[42:43], v[42:43], v[44:45]
	v_fma_f64 v[44:45], -v[40:41], v[42:43], 1.0
	s_delay_alu instid0(VALU_DEP_1) | instskip(NEXT) | instid1(VALU_DEP_1)
	v_fmac_f64_e32 v[42:43], v[42:43], v[44:45]
	v_mul_f64_e32 v[44:45], v[46:47], v[42:43]
	s_delay_alu instid0(VALU_DEP_1) | instskip(NEXT) | instid1(VALU_DEP_1)
	v_fma_f64 v[40:41], -v[40:41], v[44:45], v[46:47]
	v_div_fmas_f64 v[40:41], v[40:41], v[42:43], v[44:45]
	v_fma_f64 v[42:43], v[16:17], v[24:25], v[26:27]
	s_delay_alu instid0(VALU_DEP_2) | instskip(SKIP_1) | instid1(VALU_DEP_2)
	v_div_fixup_f64 v[18:19], v[40:41], v[18:19], 1.0
	v_fma_f64 v[40:41], v[16:17], v[26:27], -v[24:25]
	v_mul_f64_e32 v[16:17], v[42:43], v[18:19]
	s_delay_alu instid0(VALU_DEP_2)
	v_mul_f64_e32 v[18:19], v[40:41], v[18:19]
.LBB238_122:                            ;   in Loop: Header=BB238_114 Depth=2
	s_and_not1_b32 vcc_lo, exec_lo, s37
	s_cbranch_vccnz .LBB238_124
; %bb.123:                              ;   in Loop: Header=BB238_114 Depth=2
	v_div_scale_f64 v[16:17], null, v[20:21], v[20:21], v[22:23]
	v_div_scale_f64 v[42:43], vcc_lo, v[22:23], v[20:21], v[22:23]
	s_delay_alu instid0(VALU_DEP_2) | instskip(SKIP_1) | instid1(TRANS32_DEP_1)
	v_rcp_f64_e32 v[18:19], v[16:17]
	v_nop
	v_fma_f64 v[40:41], -v[16:17], v[18:19], 1.0
	s_delay_alu instid0(VALU_DEP_1) | instskip(NEXT) | instid1(VALU_DEP_1)
	v_fmac_f64_e32 v[18:19], v[18:19], v[40:41]
	v_fma_f64 v[40:41], -v[16:17], v[18:19], 1.0
	s_delay_alu instid0(VALU_DEP_1) | instskip(NEXT) | instid1(VALU_DEP_1)
	v_fmac_f64_e32 v[18:19], v[18:19], v[40:41]
	v_mul_f64_e32 v[40:41], v[42:43], v[18:19]
	s_delay_alu instid0(VALU_DEP_1) | instskip(NEXT) | instid1(VALU_DEP_1)
	v_fma_f64 v[16:17], -v[16:17], v[40:41], v[42:43]
	v_div_fmas_f64 v[16:17], v[16:17], v[18:19], v[40:41]
	s_delay_alu instid0(VALU_DEP_1) | instskip(NEXT) | instid1(VALU_DEP_1)
	v_div_fixup_f64 v[16:17], v[16:17], v[20:21], v[22:23]
	v_fmac_f64_e32 v[20:21], v[22:23], v[16:17]
	s_delay_alu instid0(VALU_DEP_1) | instskip(SKIP_1) | instid1(VALU_DEP_2)
	v_div_scale_f64 v[18:19], null, v[20:21], v[20:21], 1.0
	v_div_scale_f64 v[42:43], vcc_lo, 1.0, v[20:21], 1.0
	v_rcp_f64_e32 v[22:23], v[18:19]
	v_nop
	s_delay_alu instid0(TRANS32_DEP_1) | instskip(NEXT) | instid1(VALU_DEP_1)
	v_fma_f64 v[40:41], -v[18:19], v[22:23], 1.0
	v_fmac_f64_e32 v[22:23], v[22:23], v[40:41]
	s_delay_alu instid0(VALU_DEP_1) | instskip(NEXT) | instid1(VALU_DEP_1)
	v_fma_f64 v[40:41], -v[18:19], v[22:23], 1.0
	v_fmac_f64_e32 v[22:23], v[22:23], v[40:41]
	s_delay_alu instid0(VALU_DEP_1) | instskip(NEXT) | instid1(VALU_DEP_1)
	v_mul_f64_e32 v[40:41], v[42:43], v[22:23]
	v_fma_f64 v[18:19], -v[18:19], v[40:41], v[42:43]
	s_delay_alu instid0(VALU_DEP_1) | instskip(SKIP_1) | instid1(VALU_DEP_2)
	v_div_fmas_f64 v[18:19], v[18:19], v[22:23], v[40:41]
	v_fma_f64 v[22:23], v[16:17], v[26:27], v[24:25]
	v_div_fixup_f64 v[18:19], v[18:19], v[20:21], 1.0
	v_fma_f64 v[20:21], -v[16:17], v[24:25], v[26:27]
	s_delay_alu instid0(VALU_DEP_2) | instskip(NEXT) | instid1(VALU_DEP_2)
	v_mul_f64_e32 v[16:17], v[22:23], v[18:19]
	v_mul_f64_e32 v[18:19], v[20:21], v[18:19]
.LBB238_124:                            ;   in Loop: Header=BB238_114 Depth=2
	s_lshl_b32 s37, s39, 4
	s_lshl_b32 s29, s29, 4
	s_add_co_i32 s39, s37, s38
	s_add_co_i32 s29, s37, s29
	v_mov_b32_e32 v24, s39
	ds_load_b128 v[20:23], v24
	ds_load_b128 v[24:27], v24 offset:16
	ds_store_b128 v39, v[16:19]
	s_wait_dscnt 0x2
	v_mul_f64_e32 v[40:41], v[14:15], v[22:23]
	v_mul_f64_e32 v[22:23], v[12:13], v[22:23]
	s_wait_dscnt 0x1
	v_mul_f64_e32 v[42:43], v[18:19], v[26:27]
	v_mul_f64_e32 v[26:27], v[16:17], v[26:27]
	s_delay_alu instid0(VALU_DEP_4) | instskip(NEXT) | instid1(VALU_DEP_4)
	v_fma_f64 v[40:41], v[12:13], v[20:21], -v[40:41]
	v_fmac_f64_e32 v[22:23], v[14:15], v[20:21]
	s_delay_alu instid0(VALU_DEP_4) | instskip(NEXT) | instid1(VALU_DEP_4)
	v_fma_f64 v[20:21], v[16:17], v[24:25], -v[42:43]
	v_fmac_f64_e32 v[26:27], v[18:19], v[24:25]
	s_delay_alu instid0(VALU_DEP_4) | instskip(NEXT) | instid1(VALU_DEP_4)
	v_add_f64_e64 v[24:25], v[8:9], -v[40:41]
	v_dual_add_f64 v[22:23], v[10:11], -v[22:23] :: v_dual_mov_b32 v8, s29
	ds_load_b128 v[8:11], v8
	s_wait_dscnt 0x0
	v_cmp_ngt_f64_e64 s29, |v[8:9]|, |v[10:11]|
	v_add_f64_e64 v[24:25], v[24:25], -v[20:21]
	v_add_f64_e64 v[26:27], v[22:23], -v[26:27]
                                        ; implicit-def: $vgpr22_vgpr23
	s_and_b32 vcc_lo, exec_lo, s29
	s_mov_b32 s29, -1
	s_cbranch_vccz .LBB238_126
; %bb.125:                              ;   in Loop: Header=BB238_114 Depth=2
	v_div_scale_f64 v[20:21], null, v[10:11], v[10:11], v[8:9]
	v_div_scale_f64 v[42:43], vcc_lo, v[8:9], v[10:11], v[8:9]
	s_mov_b32 s29, 0
	v_rcp_f64_e32 v[22:23], v[20:21]
	v_nop
	s_delay_alu instid0(TRANS32_DEP_1) | instskip(NEXT) | instid1(VALU_DEP_1)
	v_fma_f64 v[40:41], -v[20:21], v[22:23], 1.0
	v_fmac_f64_e32 v[22:23], v[22:23], v[40:41]
	s_delay_alu instid0(VALU_DEP_1) | instskip(NEXT) | instid1(VALU_DEP_1)
	v_fma_f64 v[40:41], -v[20:21], v[22:23], 1.0
	v_fmac_f64_e32 v[22:23], v[22:23], v[40:41]
	s_delay_alu instid0(VALU_DEP_1) | instskip(NEXT) | instid1(VALU_DEP_1)
	v_mul_f64_e32 v[40:41], v[42:43], v[22:23]
	v_fma_f64 v[20:21], -v[20:21], v[40:41], v[42:43]
	s_delay_alu instid0(VALU_DEP_1) | instskip(NEXT) | instid1(VALU_DEP_1)
	v_div_fmas_f64 v[20:21], v[20:21], v[22:23], v[40:41]
	v_div_fixup_f64 v[20:21], v[20:21], v[10:11], v[8:9]
	s_delay_alu instid0(VALU_DEP_1) | instskip(NEXT) | instid1(VALU_DEP_1)
	v_fma_f64 v[22:23], v[8:9], v[20:21], v[10:11]
	v_div_scale_f64 v[40:41], null, v[22:23], v[22:23], 1.0
	v_div_scale_f64 v[46:47], vcc_lo, 1.0, v[22:23], 1.0
	s_delay_alu instid0(VALU_DEP_2) | instskip(SKIP_1) | instid1(TRANS32_DEP_1)
	v_rcp_f64_e32 v[42:43], v[40:41]
	v_nop
	v_fma_f64 v[44:45], -v[40:41], v[42:43], 1.0
	s_delay_alu instid0(VALU_DEP_1) | instskip(NEXT) | instid1(VALU_DEP_1)
	v_fmac_f64_e32 v[42:43], v[42:43], v[44:45]
	v_fma_f64 v[44:45], -v[40:41], v[42:43], 1.0
	s_delay_alu instid0(VALU_DEP_1) | instskip(NEXT) | instid1(VALU_DEP_1)
	v_fmac_f64_e32 v[42:43], v[42:43], v[44:45]
	v_mul_f64_e32 v[44:45], v[46:47], v[42:43]
	s_delay_alu instid0(VALU_DEP_1) | instskip(NEXT) | instid1(VALU_DEP_1)
	v_fma_f64 v[40:41], -v[40:41], v[44:45], v[46:47]
	v_div_fmas_f64 v[40:41], v[40:41], v[42:43], v[44:45]
	v_fma_f64 v[42:43], v[20:21], v[24:25], v[26:27]
	s_delay_alu instid0(VALU_DEP_2) | instskip(SKIP_1) | instid1(VALU_DEP_2)
	v_div_fixup_f64 v[22:23], v[40:41], v[22:23], 1.0
	v_fma_f64 v[40:41], v[20:21], v[26:27], -v[24:25]
	v_mul_f64_e32 v[20:21], v[42:43], v[22:23]
	s_delay_alu instid0(VALU_DEP_2)
	v_mul_f64_e32 v[22:23], v[40:41], v[22:23]
.LBB238_126:                            ;   in Loop: Header=BB238_114 Depth=2
	s_and_not1_b32 vcc_lo, exec_lo, s29
	s_cbranch_vccnz .LBB238_128
; %bb.127:                              ;   in Loop: Header=BB238_114 Depth=2
	v_div_scale_f64 v[20:21], null, v[8:9], v[8:9], v[10:11]
	v_div_scale_f64 v[42:43], vcc_lo, v[10:11], v[8:9], v[10:11]
	s_delay_alu instid0(VALU_DEP_2) | instskip(SKIP_1) | instid1(TRANS32_DEP_1)
	v_rcp_f64_e32 v[22:23], v[20:21]
	v_nop
	v_fma_f64 v[40:41], -v[20:21], v[22:23], 1.0
	s_delay_alu instid0(VALU_DEP_1) | instskip(NEXT) | instid1(VALU_DEP_1)
	v_fmac_f64_e32 v[22:23], v[22:23], v[40:41]
	v_fma_f64 v[40:41], -v[20:21], v[22:23], 1.0
	s_delay_alu instid0(VALU_DEP_1) | instskip(NEXT) | instid1(VALU_DEP_1)
	v_fmac_f64_e32 v[22:23], v[22:23], v[40:41]
	v_mul_f64_e32 v[40:41], v[42:43], v[22:23]
	s_delay_alu instid0(VALU_DEP_1) | instskip(NEXT) | instid1(VALU_DEP_1)
	v_fma_f64 v[20:21], -v[20:21], v[40:41], v[42:43]
	v_div_fmas_f64 v[20:21], v[20:21], v[22:23], v[40:41]
	s_delay_alu instid0(VALU_DEP_1) | instskip(NEXT) | instid1(VALU_DEP_1)
	v_div_fixup_f64 v[20:21], v[20:21], v[8:9], v[10:11]
	v_fmac_f64_e32 v[8:9], v[10:11], v[20:21]
	s_delay_alu instid0(VALU_DEP_1) | instskip(SKIP_1) | instid1(VALU_DEP_2)
	v_div_scale_f64 v[10:11], null, v[8:9], v[8:9], 1.0
	v_div_scale_f64 v[42:43], vcc_lo, 1.0, v[8:9], 1.0
	v_rcp_f64_e32 v[22:23], v[10:11]
	v_nop
	s_delay_alu instid0(TRANS32_DEP_1) | instskip(NEXT) | instid1(VALU_DEP_1)
	v_fma_f64 v[40:41], -v[10:11], v[22:23], 1.0
	v_fmac_f64_e32 v[22:23], v[22:23], v[40:41]
	s_delay_alu instid0(VALU_DEP_1) | instskip(NEXT) | instid1(VALU_DEP_1)
	v_fma_f64 v[40:41], -v[10:11], v[22:23], 1.0
	v_fmac_f64_e32 v[22:23], v[22:23], v[40:41]
	s_delay_alu instid0(VALU_DEP_1) | instskip(NEXT) | instid1(VALU_DEP_1)
	v_mul_f64_e32 v[40:41], v[42:43], v[22:23]
	v_fma_f64 v[10:11], -v[10:11], v[40:41], v[42:43]
	s_delay_alu instid0(VALU_DEP_1) | instskip(SKIP_1) | instid1(VALU_DEP_2)
	v_div_fmas_f64 v[10:11], v[10:11], v[22:23], v[40:41]
	v_fma_f64 v[22:23], v[20:21], v[26:27], v[24:25]
	v_div_fixup_f64 v[8:9], v[10:11], v[8:9], 1.0
	v_fma_f64 v[10:11], -v[20:21], v[24:25], v[26:27]
	s_delay_alu instid0(VALU_DEP_2) | instskip(NEXT) | instid1(VALU_DEP_2)
	v_mul_f64_e32 v[20:21], v[22:23], v[8:9]
	v_mul_f64_e32 v[22:23], v[10:11], v[8:9]
.LBB238_128:                            ;   in Loop: Header=BB238_114 Depth=2
	s_lshl_b32 s29, s36, 4
	s_lshl_b32 s28, s28, 4
	s_add_co_i32 s36, s29, s38
	s_add_co_i32 s28, s29, s28
	v_mov_b32_e32 v39, s36
	ds_load_b128 v[8:11], v39
	ds_load_b128 v[24:27], v39 offset:16
	ds_store_b128 v38, v[20:23]
	s_wait_dscnt 0x2
	v_mul_f64_e32 v[40:41], v[14:15], v[10:11]
	v_mul_f64_e32 v[42:43], v[12:13], v[10:11]
	s_wait_dscnt 0x1
	v_mul_f64_e32 v[44:45], v[18:19], v[26:27]
	v_mul_f64_e32 v[26:27], v[16:17], v[26:27]
	s_delay_alu instid0(VALU_DEP_4) | instskip(NEXT) | instid1(VALU_DEP_4)
	v_fma_f64 v[40:41], v[12:13], v[8:9], -v[40:41]
	v_fmac_f64_e32 v[42:43], v[14:15], v[8:9]
	ds_load_b128 v[12:15], v39 offset:32
	v_dual_fma_f64 v[16:17], v[16:17], v[24:25], -v[44:45] :: v_dual_mov_b32 v8, s28
	v_fmac_f64_e32 v[26:27], v[18:19], v[24:25]
	ds_load_b128 v[8:11], v8
	s_wait_dscnt 0x1
	v_mul_f64_e32 v[46:47], v[22:23], v[14:15]
	v_mul_f64_e32 v[14:15], v[20:21], v[14:15]
	s_wait_dscnt 0x0
	v_cmp_ngt_f64_e64 s28, |v[8:9]|, |v[10:11]|
	v_add_f64_e64 v[4:5], v[4:5], -v[40:41]
	v_add_f64_e64 v[6:7], v[6:7], -v[42:43]
	v_fma_f64 v[18:19], v[20:21], v[12:13], -v[46:47]
	v_fmac_f64_e32 v[14:15], v[22:23], v[12:13]
	s_and_b32 vcc_lo, exec_lo, s28
	s_mov_b32 s28, -1
	s_delay_alu instid0(VALU_DEP_4) | instskip(NEXT) | instid1(VALU_DEP_4)
	v_add_f64_e64 v[4:5], v[4:5], -v[16:17]
	v_add_f64_e64 v[6:7], v[6:7], -v[26:27]
	s_delay_alu instid0(VALU_DEP_2) | instskip(NEXT) | instid1(VALU_DEP_2)
	v_add_f64_e64 v[12:13], v[4:5], -v[18:19]
	v_add_f64_e64 v[14:15], v[6:7], -v[14:15]
                                        ; implicit-def: $vgpr6_vgpr7
	s_cbranch_vccz .LBB238_130
; %bb.129:                              ;   in Loop: Header=BB238_114 Depth=2
	v_div_scale_f64 v[4:5], null, v[10:11], v[10:11], v[8:9]
	v_div_scale_f64 v[18:19], vcc_lo, v[8:9], v[10:11], v[8:9]
	s_mov_b32 s28, 0
	v_rcp_f64_e32 v[6:7], v[4:5]
	v_nop
	s_delay_alu instid0(TRANS32_DEP_1) | instskip(NEXT) | instid1(VALU_DEP_1)
	v_fma_f64 v[16:17], -v[4:5], v[6:7], 1.0
	v_fmac_f64_e32 v[6:7], v[6:7], v[16:17]
	s_delay_alu instid0(VALU_DEP_1) | instskip(NEXT) | instid1(VALU_DEP_1)
	v_fma_f64 v[16:17], -v[4:5], v[6:7], 1.0
	v_fmac_f64_e32 v[6:7], v[6:7], v[16:17]
	s_delay_alu instid0(VALU_DEP_1) | instskip(NEXT) | instid1(VALU_DEP_1)
	v_mul_f64_e32 v[16:17], v[18:19], v[6:7]
	v_fma_f64 v[4:5], -v[4:5], v[16:17], v[18:19]
	s_delay_alu instid0(VALU_DEP_1) | instskip(NEXT) | instid1(VALU_DEP_1)
	v_div_fmas_f64 v[4:5], v[4:5], v[6:7], v[16:17]
	v_div_fixup_f64 v[4:5], v[4:5], v[10:11], v[8:9]
	s_delay_alu instid0(VALU_DEP_1) | instskip(NEXT) | instid1(VALU_DEP_1)
	v_fma_f64 v[6:7], v[8:9], v[4:5], v[10:11]
	v_div_scale_f64 v[16:17], null, v[6:7], v[6:7], 1.0
	v_div_scale_f64 v[22:23], vcc_lo, 1.0, v[6:7], 1.0
	s_delay_alu instid0(VALU_DEP_2) | instskip(SKIP_1) | instid1(TRANS32_DEP_1)
	v_rcp_f64_e32 v[18:19], v[16:17]
	v_nop
	v_fma_f64 v[20:21], -v[16:17], v[18:19], 1.0
	s_delay_alu instid0(VALU_DEP_1) | instskip(NEXT) | instid1(VALU_DEP_1)
	v_fmac_f64_e32 v[18:19], v[18:19], v[20:21]
	v_fma_f64 v[20:21], -v[16:17], v[18:19], 1.0
	s_delay_alu instid0(VALU_DEP_1) | instskip(NEXT) | instid1(VALU_DEP_1)
	v_fmac_f64_e32 v[18:19], v[18:19], v[20:21]
	v_mul_f64_e32 v[20:21], v[22:23], v[18:19]
	s_delay_alu instid0(VALU_DEP_1) | instskip(NEXT) | instid1(VALU_DEP_1)
	v_fma_f64 v[16:17], -v[16:17], v[20:21], v[22:23]
	v_div_fmas_f64 v[16:17], v[16:17], v[18:19], v[20:21]
	v_fma_f64 v[18:19], v[4:5], v[12:13], v[14:15]
	s_delay_alu instid0(VALU_DEP_2) | instskip(SKIP_1) | instid1(VALU_DEP_2)
	v_div_fixup_f64 v[6:7], v[16:17], v[6:7], 1.0
	v_fma_f64 v[16:17], v[4:5], v[14:15], -v[12:13]
	v_mul_f64_e32 v[4:5], v[18:19], v[6:7]
	s_delay_alu instid0(VALU_DEP_2)
	v_mul_f64_e32 v[6:7], v[16:17], v[6:7]
.LBB238_130:                            ;   in Loop: Header=BB238_114 Depth=2
	s_and_not1_b32 vcc_lo, exec_lo, s28
	s_cbranch_vccnz .LBB238_132
; %bb.131:                              ;   in Loop: Header=BB238_114 Depth=2
	v_div_scale_f64 v[4:5], null, v[8:9], v[8:9], v[10:11]
	v_div_scale_f64 v[18:19], vcc_lo, v[10:11], v[8:9], v[10:11]
	s_delay_alu instid0(VALU_DEP_2) | instskip(SKIP_1) | instid1(TRANS32_DEP_1)
	v_rcp_f64_e32 v[6:7], v[4:5]
	v_nop
	v_fma_f64 v[16:17], -v[4:5], v[6:7], 1.0
	s_delay_alu instid0(VALU_DEP_1) | instskip(NEXT) | instid1(VALU_DEP_1)
	v_fmac_f64_e32 v[6:7], v[6:7], v[16:17]
	v_fma_f64 v[16:17], -v[4:5], v[6:7], 1.0
	s_delay_alu instid0(VALU_DEP_1) | instskip(NEXT) | instid1(VALU_DEP_1)
	v_fmac_f64_e32 v[6:7], v[6:7], v[16:17]
	v_mul_f64_e32 v[16:17], v[18:19], v[6:7]
	s_delay_alu instid0(VALU_DEP_1) | instskip(NEXT) | instid1(VALU_DEP_1)
	v_fma_f64 v[4:5], -v[4:5], v[16:17], v[18:19]
	v_div_fmas_f64 v[4:5], v[4:5], v[6:7], v[16:17]
	s_delay_alu instid0(VALU_DEP_1) | instskip(NEXT) | instid1(VALU_DEP_1)
	v_div_fixup_f64 v[4:5], v[4:5], v[8:9], v[10:11]
	v_fmac_f64_e32 v[8:9], v[10:11], v[4:5]
	s_delay_alu instid0(VALU_DEP_1) | instskip(SKIP_1) | instid1(VALU_DEP_2)
	v_div_scale_f64 v[6:7], null, v[8:9], v[8:9], 1.0
	v_div_scale_f64 v[18:19], vcc_lo, 1.0, v[8:9], 1.0
	v_rcp_f64_e32 v[10:11], v[6:7]
	v_nop
	s_delay_alu instid0(TRANS32_DEP_1) | instskip(NEXT) | instid1(VALU_DEP_1)
	v_fma_f64 v[16:17], -v[6:7], v[10:11], 1.0
	v_fmac_f64_e32 v[10:11], v[10:11], v[16:17]
	s_delay_alu instid0(VALU_DEP_1) | instskip(NEXT) | instid1(VALU_DEP_1)
	v_fma_f64 v[16:17], -v[6:7], v[10:11], 1.0
	v_fmac_f64_e32 v[10:11], v[10:11], v[16:17]
	s_delay_alu instid0(VALU_DEP_1) | instskip(NEXT) | instid1(VALU_DEP_1)
	v_mul_f64_e32 v[16:17], v[18:19], v[10:11]
	v_fma_f64 v[6:7], -v[6:7], v[16:17], v[18:19]
	s_delay_alu instid0(VALU_DEP_1) | instskip(SKIP_1) | instid1(VALU_DEP_2)
	v_div_fmas_f64 v[6:7], v[6:7], v[10:11], v[16:17]
	v_fma_f64 v[10:11], v[4:5], v[14:15], v[12:13]
	v_div_fixup_f64 v[6:7], v[6:7], v[8:9], 1.0
	v_fma_f64 v[8:9], -v[4:5], v[12:13], v[14:15]
	s_delay_alu instid0(VALU_DEP_2) | instskip(NEXT) | instid1(VALU_DEP_2)
	v_mul_f64_e32 v[4:5], v[10:11], v[6:7]
	v_mul_f64_e32 v[6:7], v[8:9], v[6:7]
.LBB238_132:                            ;   in Loop: Header=BB238_114 Depth=2
	s_add_co_i32 s28, s27, 4
	s_add_co_i32 s27, s27, 7
	s_addk_co_i32 s26, 0x800
	s_cmp_ge_i32 s27, s31
	ds_store_b128 v37, v[4:7]
	s_cbranch_scc1 .LBB238_134
; %bb.133:                              ;   in Loop: Header=BB238_114 Depth=2
	s_mov_b32 s27, s28
	s_branch .LBB238_114
.LBB238_134:                            ;   in Loop: Header=BB238_3 Depth=1
	s_cmp_ge_i32 s28, s31
	s_cbranch_scc1 .LBB238_143
; %bb.135:                              ;   in Loop: Header=BB238_3 Depth=1
	s_lshl_b32 s26, s28, 9
	s_branch .LBB238_137
.LBB238_136:                            ;   in Loop: Header=BB238_137 Depth=2
	s_add_co_i32 s28, s28, 1
	s_addk_co_i32 s26, 0x200
	s_cmp_ge_i32 s28, s31
	ds_store_b128 v16, v[12:15]
	s_cbranch_scc1 .LBB238_143
.LBB238_137:                            ;   Parent Loop BB238_3 Depth=1
                                        ; =>  This Loop Header: Depth=2
                                        ;       Child Loop BB238_138 Depth 3
	v_lshl_add_u32 v16, s28, 9, v34
	v_mov_b32_e32 v8, v34
	s_cmp_eq_u32 s28, 0
	s_mov_b32 s27, s26
	s_mov_b32 s29, s28
	ds_load_b128 v[4:7], v16
	s_cbranch_scc1 .LBB238_139
.LBB238_138:                            ;   Parent Loop BB238_3 Depth=1
                                        ;     Parent Loop BB238_137 Depth=2
                                        ; =>    This Inner Loop Header: Depth=3
	v_mov_b32_e32 v9, s27
	s_add_co_i32 s29, s29, -1
	s_add_co_i32 s27, s27, 16
	s_cmp_eq_u32 s29, 0
	ds_load_b128 v[10:13], v8
	ds_load_b128 v[18:21], v9
	v_add_nc_u32_e32 v8, 0x200, v8
	s_wait_dscnt 0x0
	v_mul_f64_e32 v[14:15], v[20:21], v[12:13]
	v_mul_f64_e32 v[12:13], v[18:19], v[12:13]
	s_delay_alu instid0(VALU_DEP_2) | instskip(NEXT) | instid1(VALU_DEP_2)
	v_fma_f64 v[14:15], v[18:19], v[10:11], -v[14:15]
	v_fmac_f64_e32 v[12:13], v[20:21], v[10:11]
	s_delay_alu instid0(VALU_DEP_2) | instskip(NEXT) | instid1(VALU_DEP_2)
	v_add_f64_e64 v[4:5], v[4:5], -v[14:15]
	v_add_f64_e64 v[6:7], v[6:7], -v[12:13]
	s_cbranch_scc0 .LBB238_138
.LBB238_139:                            ;   in Loop: Header=BB238_137 Depth=2
	s_mul_i32 s27, s28, 0x210
                                        ; implicit-def: $vgpr12_vgpr13
	s_delay_alu instid0(SALU_CYCLE_1)
	v_mov_b32_e32 v8, s27
	ds_load_b128 v[8:11], v8
	s_wait_dscnt 0x0
	v_cmp_ngt_f64_e64 s27, |v[8:9]|, |v[10:11]|
	s_and_b32 vcc_lo, exec_lo, s27
	s_mov_b32 s27, -1
	s_cbranch_vccz .LBB238_141
; %bb.140:                              ;   in Loop: Header=BB238_137 Depth=2
	v_div_scale_f64 v[12:13], null, v[10:11], v[10:11], v[8:9]
	v_div_scale_f64 v[20:21], vcc_lo, v[8:9], v[10:11], v[8:9]
	s_mov_b32 s27, 0
	v_rcp_f64_e32 v[14:15], v[12:13]
	v_nop
	s_delay_alu instid0(TRANS32_DEP_1) | instskip(NEXT) | instid1(VALU_DEP_1)
	v_fma_f64 v[18:19], -v[12:13], v[14:15], 1.0
	v_fmac_f64_e32 v[14:15], v[14:15], v[18:19]
	s_delay_alu instid0(VALU_DEP_1) | instskip(NEXT) | instid1(VALU_DEP_1)
	v_fma_f64 v[18:19], -v[12:13], v[14:15], 1.0
	v_fmac_f64_e32 v[14:15], v[14:15], v[18:19]
	s_delay_alu instid0(VALU_DEP_1) | instskip(NEXT) | instid1(VALU_DEP_1)
	v_mul_f64_e32 v[18:19], v[20:21], v[14:15]
	v_fma_f64 v[12:13], -v[12:13], v[18:19], v[20:21]
	s_delay_alu instid0(VALU_DEP_1) | instskip(NEXT) | instid1(VALU_DEP_1)
	v_div_fmas_f64 v[12:13], v[12:13], v[14:15], v[18:19]
	v_div_fixup_f64 v[12:13], v[12:13], v[10:11], v[8:9]
	s_delay_alu instid0(VALU_DEP_1) | instskip(NEXT) | instid1(VALU_DEP_1)
	v_fma_f64 v[14:15], v[8:9], v[12:13], v[10:11]
	v_div_scale_f64 v[18:19], null, v[14:15], v[14:15], 1.0
	v_div_scale_f64 v[24:25], vcc_lo, 1.0, v[14:15], 1.0
	s_delay_alu instid0(VALU_DEP_2) | instskip(SKIP_1) | instid1(TRANS32_DEP_1)
	v_rcp_f64_e32 v[20:21], v[18:19]
	v_nop
	v_fma_f64 v[22:23], -v[18:19], v[20:21], 1.0
	s_delay_alu instid0(VALU_DEP_1) | instskip(NEXT) | instid1(VALU_DEP_1)
	v_fmac_f64_e32 v[20:21], v[20:21], v[22:23]
	v_fma_f64 v[22:23], -v[18:19], v[20:21], 1.0
	s_delay_alu instid0(VALU_DEP_1) | instskip(NEXT) | instid1(VALU_DEP_1)
	v_fmac_f64_e32 v[20:21], v[20:21], v[22:23]
	v_mul_f64_e32 v[22:23], v[24:25], v[20:21]
	s_delay_alu instid0(VALU_DEP_1) | instskip(NEXT) | instid1(VALU_DEP_1)
	v_fma_f64 v[18:19], -v[18:19], v[22:23], v[24:25]
	v_div_fmas_f64 v[18:19], v[18:19], v[20:21], v[22:23]
	v_fma_f64 v[20:21], v[4:5], v[12:13], v[6:7]
	s_delay_alu instid0(VALU_DEP_2) | instskip(SKIP_1) | instid1(VALU_DEP_2)
	v_div_fixup_f64 v[14:15], v[18:19], v[14:15], 1.0
	v_fma_f64 v[18:19], v[6:7], v[12:13], -v[4:5]
	v_mul_f64_e32 v[12:13], v[20:21], v[14:15]
	s_delay_alu instid0(VALU_DEP_2)
	v_mul_f64_e32 v[14:15], v[18:19], v[14:15]
.LBB238_141:                            ;   in Loop: Header=BB238_137 Depth=2
	s_and_not1_b32 vcc_lo, exec_lo, s27
	s_cbranch_vccnz .LBB238_136
; %bb.142:                              ;   in Loop: Header=BB238_137 Depth=2
	v_div_scale_f64 v[12:13], null, v[8:9], v[8:9], v[10:11]
	v_div_scale_f64 v[20:21], vcc_lo, v[10:11], v[8:9], v[10:11]
	s_delay_alu instid0(VALU_DEP_2) | instskip(SKIP_1) | instid1(TRANS32_DEP_1)
	v_rcp_f64_e32 v[14:15], v[12:13]
	v_nop
	v_fma_f64 v[18:19], -v[12:13], v[14:15], 1.0
	s_delay_alu instid0(VALU_DEP_1) | instskip(NEXT) | instid1(VALU_DEP_1)
	v_fmac_f64_e32 v[14:15], v[14:15], v[18:19]
	v_fma_f64 v[18:19], -v[12:13], v[14:15], 1.0
	s_delay_alu instid0(VALU_DEP_1) | instskip(NEXT) | instid1(VALU_DEP_1)
	v_fmac_f64_e32 v[14:15], v[14:15], v[18:19]
	v_mul_f64_e32 v[18:19], v[20:21], v[14:15]
	s_delay_alu instid0(VALU_DEP_1) | instskip(NEXT) | instid1(VALU_DEP_1)
	v_fma_f64 v[12:13], -v[12:13], v[18:19], v[20:21]
	v_div_fmas_f64 v[12:13], v[12:13], v[14:15], v[18:19]
	s_delay_alu instid0(VALU_DEP_1) | instskip(NEXT) | instid1(VALU_DEP_1)
	v_div_fixup_f64 v[12:13], v[12:13], v[8:9], v[10:11]
	v_fmac_f64_e32 v[8:9], v[10:11], v[12:13]
	s_delay_alu instid0(VALU_DEP_1) | instskip(SKIP_1) | instid1(VALU_DEP_2)
	v_div_scale_f64 v[10:11], null, v[8:9], v[8:9], 1.0
	v_div_scale_f64 v[20:21], vcc_lo, 1.0, v[8:9], 1.0
	v_rcp_f64_e32 v[14:15], v[10:11]
	v_nop
	s_delay_alu instid0(TRANS32_DEP_1) | instskip(NEXT) | instid1(VALU_DEP_1)
	v_fma_f64 v[18:19], -v[10:11], v[14:15], 1.0
	v_fmac_f64_e32 v[14:15], v[14:15], v[18:19]
	s_delay_alu instid0(VALU_DEP_1) | instskip(NEXT) | instid1(VALU_DEP_1)
	v_fma_f64 v[18:19], -v[10:11], v[14:15], 1.0
	v_fmac_f64_e32 v[14:15], v[14:15], v[18:19]
	s_delay_alu instid0(VALU_DEP_1) | instskip(NEXT) | instid1(VALU_DEP_1)
	v_mul_f64_e32 v[18:19], v[20:21], v[14:15]
	v_fma_f64 v[10:11], -v[10:11], v[18:19], v[20:21]
	s_delay_alu instid0(VALU_DEP_1) | instskip(SKIP_2) | instid1(VALU_DEP_3)
	v_div_fmas_f64 v[10:11], v[10:11], v[14:15], v[18:19]
	v_fma_f64 v[14:15], v[6:7], v[12:13], v[4:5]
	v_fma_f64 v[4:5], -v[4:5], v[12:13], v[6:7]
	v_div_fixup_f64 v[8:9], v[10:11], v[8:9], 1.0
	s_delay_alu instid0(VALU_DEP_1) | instskip(NEXT) | instid1(VALU_DEP_3)
	v_mul_f64_e32 v[12:13], v[14:15], v[8:9]
	v_mul_f64_e32 v[14:15], v[4:5], v[8:9]
	s_branch .LBB238_136
.LBB238_143:                            ;   in Loop: Header=BB238_3 Depth=1
	s_and_saveexec_b32 s26, s35
	s_cbranch_execz .LBB238_2
; %bb.144:                              ;   in Loop: Header=BB238_3 Depth=1
	v_add_nc_u64_e32 v[4:5], s[16:17], v[0:1]
	v_mov_b32_e32 v6, v34
	s_mov_b32 s16, s30
.LBB238_145:                            ;   Parent Loop BB238_3 Depth=1
                                        ; =>  This Inner Loop Header: Depth=2
	ds_load_2addr_b64 v[8:11], v6 offset1:1
	v_add_nc_u32_e32 v6, 0x200, v6
	s_add_co_i32 s16, s16, -1
	s_delay_alu instid0(SALU_CYCLE_1)
	s_cmp_lg_u32 s16, 0
	s_wait_dscnt 0x0
	global_store_b128 v[4:5], v[8:11], off
	s_wait_xcnt 0x0
	v_add_nc_u64_e32 v[4:5], s[14:15], v[4:5]
	s_cbranch_scc1 .LBB238_145
	s_branch .LBB238_2
.LBB238_146:
	s_endpgm
	.section	.rodata,"a",@progbits
	.p2align	6, 0x0
	.amdhsa_kernel _ZL31rocblas_trsm_small_right_deviceI19rocblas_complex_numIdES1_PKS1_PS1_Li32EEv13rocblas_fill_18rocblas_operation_17rocblas_diagonal_iiT0_T1_lilT2_lili
		.amdhsa_group_segment_fixed_size 32768
		.amdhsa_private_segment_fixed_size 0
		.amdhsa_kernarg_size 368
		.amdhsa_user_sgpr_count 2
		.amdhsa_user_sgpr_dispatch_ptr 0
		.amdhsa_user_sgpr_queue_ptr 0
		.amdhsa_user_sgpr_kernarg_segment_ptr 1
		.amdhsa_user_sgpr_dispatch_id 0
		.amdhsa_user_sgpr_kernarg_preload_length 0
		.amdhsa_user_sgpr_kernarg_preload_offset 0
		.amdhsa_user_sgpr_private_segment_size 0
		.amdhsa_wavefront_size32 1
		.amdhsa_uses_dynamic_stack 0
		.amdhsa_enable_private_segment 0
		.amdhsa_system_sgpr_workgroup_id_x 1
		.amdhsa_system_sgpr_workgroup_id_y 0
		.amdhsa_system_sgpr_workgroup_id_z 1
		.amdhsa_system_sgpr_workgroup_info 0
		.amdhsa_system_vgpr_workitem_id 0
		.amdhsa_next_free_vgpr 257
		.amdhsa_next_free_sgpr 42
		.amdhsa_named_barrier_count 0
		.amdhsa_reserve_vcc 1
		.amdhsa_float_round_mode_32 0
		.amdhsa_float_round_mode_16_64 0
		.amdhsa_float_denorm_mode_32 3
		.amdhsa_float_denorm_mode_16_64 3
		.amdhsa_fp16_overflow 0
		.amdhsa_memory_ordered 1
		.amdhsa_forward_progress 1
		.amdhsa_inst_pref_size 118
		.amdhsa_round_robin_scheduling 0
		.amdhsa_exception_fp_ieee_invalid_op 0
		.amdhsa_exception_fp_denorm_src 0
		.amdhsa_exception_fp_ieee_div_zero 0
		.amdhsa_exception_fp_ieee_overflow 0
		.amdhsa_exception_fp_ieee_underflow 0
		.amdhsa_exception_fp_ieee_inexact 0
		.amdhsa_exception_int_div_zero 0
	.end_amdhsa_kernel
	.section	.text._ZL31rocblas_trsm_small_right_deviceI19rocblas_complex_numIdES1_PKS1_PS1_Li32EEv13rocblas_fill_18rocblas_operation_17rocblas_diagonal_iiT0_T1_lilT2_lili,"axG",@progbits,_ZL31rocblas_trsm_small_right_deviceI19rocblas_complex_numIdES1_PKS1_PS1_Li32EEv13rocblas_fill_18rocblas_operation_17rocblas_diagonal_iiT0_T1_lilT2_lili,comdat
.Lfunc_end238:
	.size	_ZL31rocblas_trsm_small_right_deviceI19rocblas_complex_numIdES1_PKS1_PS1_Li32EEv13rocblas_fill_18rocblas_operation_17rocblas_diagonal_iiT0_T1_lilT2_lili, .Lfunc_end238-_ZL31rocblas_trsm_small_right_deviceI19rocblas_complex_numIdES1_PKS1_PS1_Li32EEv13rocblas_fill_18rocblas_operation_17rocblas_diagonal_iiT0_T1_lilT2_lili
                                        ; -- End function
	.set _ZL31rocblas_trsm_small_right_deviceI19rocblas_complex_numIdES1_PKS1_PS1_Li32EEv13rocblas_fill_18rocblas_operation_17rocblas_diagonal_iiT0_T1_lilT2_lili.num_vgpr, 64
	.set _ZL31rocblas_trsm_small_right_deviceI19rocblas_complex_numIdES1_PKS1_PS1_Li32EEv13rocblas_fill_18rocblas_operation_17rocblas_diagonal_iiT0_T1_lilT2_lili.num_agpr, 0
	.set _ZL31rocblas_trsm_small_right_deviceI19rocblas_complex_numIdES1_PKS1_PS1_Li32EEv13rocblas_fill_18rocblas_operation_17rocblas_diagonal_iiT0_T1_lilT2_lili.numbered_sgpr, 42
	.set _ZL31rocblas_trsm_small_right_deviceI19rocblas_complex_numIdES1_PKS1_PS1_Li32EEv13rocblas_fill_18rocblas_operation_17rocblas_diagonal_iiT0_T1_lilT2_lili.num_named_barrier, 0
	.set _ZL31rocblas_trsm_small_right_deviceI19rocblas_complex_numIdES1_PKS1_PS1_Li32EEv13rocblas_fill_18rocblas_operation_17rocblas_diagonal_iiT0_T1_lilT2_lili.private_seg_size, 0
	.set _ZL31rocblas_trsm_small_right_deviceI19rocblas_complex_numIdES1_PKS1_PS1_Li32EEv13rocblas_fill_18rocblas_operation_17rocblas_diagonal_iiT0_T1_lilT2_lili.uses_vcc, 1
	.set _ZL31rocblas_trsm_small_right_deviceI19rocblas_complex_numIdES1_PKS1_PS1_Li32EEv13rocblas_fill_18rocblas_operation_17rocblas_diagonal_iiT0_T1_lilT2_lili.uses_flat_scratch, 0
	.set _ZL31rocblas_trsm_small_right_deviceI19rocblas_complex_numIdES1_PKS1_PS1_Li32EEv13rocblas_fill_18rocblas_operation_17rocblas_diagonal_iiT0_T1_lilT2_lili.has_dyn_sized_stack, 0
	.set _ZL31rocblas_trsm_small_right_deviceI19rocblas_complex_numIdES1_PKS1_PS1_Li32EEv13rocblas_fill_18rocblas_operation_17rocblas_diagonal_iiT0_T1_lilT2_lili.has_recursion, 0
	.set _ZL31rocblas_trsm_small_right_deviceI19rocblas_complex_numIdES1_PKS1_PS1_Li32EEv13rocblas_fill_18rocblas_operation_17rocblas_diagonal_iiT0_T1_lilT2_lili.has_indirect_call, 0
	.section	.AMDGPU.csdata,"",@progbits
; Kernel info:
; codeLenInByte = 14988
; TotalNumSgprs: 44
; NumVgprs: 64
; ScratchSize: 0
; MemoryBound: 0
; FloatMode: 240
; IeeeMode: 1
; LDSByteSize: 32768 bytes/workgroup (compile time only)
; SGPRBlocks: 0
; VGPRBlocks: 16
; NumSGPRsForWavesPerEU: 44
; NumVGPRsForWavesPerEU: 257
; NamedBarCnt: 0
; Occupancy: 3
; WaveLimiterHint : 0
; COMPUTE_PGM_RSRC2:SCRATCH_EN: 0
; COMPUTE_PGM_RSRC2:USER_SGPR: 2
; COMPUTE_PGM_RSRC2:TRAP_HANDLER: 0
; COMPUTE_PGM_RSRC2:TGID_X_EN: 1
; COMPUTE_PGM_RSRC2:TGID_Y_EN: 0
; COMPUTE_PGM_RSRC2:TGID_Z_EN: 1
; COMPUTE_PGM_RSRC2:TIDIG_COMP_CNT: 0
	.section	.text._ZL33rocblas_trsm_small_64_left_deviceI19rocblas_complex_numIdES1_PKS1_PS1_Li64EEv13rocblas_fill_18rocblas_operation_17rocblas_diagonal_iiT0_T1_lilT2_lili,"axG",@progbits,_ZL33rocblas_trsm_small_64_left_deviceI19rocblas_complex_numIdES1_PKS1_PS1_Li64EEv13rocblas_fill_18rocblas_operation_17rocblas_diagonal_iiT0_T1_lilT2_lili,comdat
	.globl	_ZL33rocblas_trsm_small_64_left_deviceI19rocblas_complex_numIdES1_PKS1_PS1_Li64EEv13rocblas_fill_18rocblas_operation_17rocblas_diagonal_iiT0_T1_lilT2_lili ; -- Begin function _ZL33rocblas_trsm_small_64_left_deviceI19rocblas_complex_numIdES1_PKS1_PS1_Li64EEv13rocblas_fill_18rocblas_operation_17rocblas_diagonal_iiT0_T1_lilT2_lili
	.p2align	8
	.type	_ZL33rocblas_trsm_small_64_left_deviceI19rocblas_complex_numIdES1_PKS1_PS1_Li64EEv13rocblas_fill_18rocblas_operation_17rocblas_diagonal_iiT0_T1_lilT2_lili,@function
_ZL33rocblas_trsm_small_64_left_deviceI19rocblas_complex_numIdES1_PKS1_PS1_Li64EEv13rocblas_fill_18rocblas_operation_17rocblas_diagonal_iiT0_T1_lilT2_lili: ; @_ZL33rocblas_trsm_small_64_left_deviceI19rocblas_complex_numIdES1_PKS1_PS1_Li64EEv13rocblas_fill_18rocblas_operation_17rocblas_diagonal_iiT0_T1_lilT2_lili
; %bb.0:
	s_load_b32 s33, s[0:1], 0x68
	s_bfe_u32 s2, ttmp6, 0x40014
	s_lshr_b32 s4, ttmp7, 16
	s_add_co_i32 s2, s2, 1
	s_bfe_u32 s5, ttmp6, 0x40008
	s_mul_i32 s2, s4, s2
	s_getreg_b32 s3, hwreg(HW_REG_IB_STS2, 6, 4)
	s_add_co_i32 s5, s5, s2
	s_cmp_eq_u32 s3, 0
	s_mov_b32 s23, 0
	s_cselect_b32 s2, s4, s5
	s_wait_kmcnt 0x0
	s_cmp_ge_u32 s2, s33
	s_cbranch_scc1 .LBB239_62
; %bb.1:
	s_clause 0x7
	s_load_b32 s24, s[0:1], 0x38
	s_load_b96 s[20:22], s[0:1], 0x50
	s_load_b256 s[4:11], s[0:1], 0x18
	s_load_b128 s[16:19], s[0:1], 0x0
	s_load_b32 s28, s[0:1], 0x70
	s_load_b64 s[26:27], s[0:1], 0x60
	s_load_b32 s31, s[0:1], 0x10
	s_load_b128 s[12:15], s[0:1], 0x40
	v_dual_mov_b32 v13, 0 :: v_dual_lshlrev_b32 v12, 4, v0
	s_delay_alu instid0(VALU_DEP_1)
	v_mad_u32_u24 v19, 0x3f0, v0, v12
	s_wait_kmcnt 0x0
	s_ashr_i32 s25, s24, 31
	s_ashr_i32 s29, s22, 31
	s_lshl_b64 s[10:11], s[10:11], 4
	s_cmp_eq_u32 s16, 0x7a
	s_add_nc_u64 s[8:9], s[8:9], s[10:11]
	s_cselect_b32 s1, -1, 0
	s_cmp_lg_u32 s16, 0x7a
	s_add_nc_u64 s[10:11], s[24:25], 1
	s_cselect_b32 s16, -1, 0
	s_cmp_eq_u32 s17, 0x71
	v_cndmask_b32_e64 v18, 0, 1, s16
	s_cselect_b32 s0, -1, 0
	s_bfe_u32 s30, ttmp6, 0x4000c
	s_min_i32 s40, s19, 64
	s_add_co_i32 s30, s30, 1
	s_and_b32 s34, ttmp6, 15
	s_mul_i32 s30, ttmp9, s30
	s_add_co_i32 s28, s28, -1
	s_add_co_i32 s41, s40, -1
	s_add_co_i32 s34, s34, s30
	s_cmp_eq_u32 s3, 0
	v_cmp_gt_i32_e32 vcc_lo, s40, v0
	s_cselect_b32 s3, ttmp9, s34
	s_delay_alu instid0(SALU_CYCLE_1) | instskip(NEXT) | instid1(SALU_CYCLE_1)
	s_lshl_b32 s30, s3, 6
	s_sub_co_i32 s31, s31, s30
	s_cmp_ge_u32 s3, s28
	s_mov_b32 s28, s22
	s_cselect_b32 s42, s31, 64
	s_ashr_i32 s31, s30, 31
	s_cmp_gt_i32 s42, 0
	s_cselect_b32 s3, -1, 0
	s_cmp_lg_u32 s17, 0x6f
	s_cselect_b32 s17, -1, 0
	s_delay_alu instid0(SALU_CYCLE_1)
	s_or_b32 s43, s16, s17
	s_or_b32 s44, s17, s1
	s_cmp_gt_i32 s19, 0
	s_mul_u64 s[16:17], s[28:29], s[30:31]
	s_cselect_b32 s45, -1, 0
	s_cmp_lg_u32 s18, 0x84
	v_cmp_gt_i32_e64 s1, s19, v0
	s_cselect_b32 s46, -1, 0
	s_lshl_b64 s[16:17], s[16:17], 4
	s_lshl_b64 s[20:21], s[20:21], 4
	s_and_b32 s47, vcc_lo, s3
	s_add_nc_u64 s[16:17], s[16:17], s[20:21]
	s_and_b32 s1, s1, s3
	s_add_nc_u64 s[14:15], s[14:15], s[16:17]
	s_lshl_b32 s3, s40, 4
	v_add_nc_u64_e32 v[14:15], s[14:15], v[12:13]
	v_add3_u32 v20, s3, v19, -16
	s_lshl_b64 s[14:15], s[26:27], 4
	s_lshl_b64 s[16:17], s[28:29], 4
	s_add_nc_u64 s[18:19], s[8:9], 8
	s_lshl_b64 s[20:21], s[12:13], 4
	s_lshl_b64 s[26:27], s[24:25], 4
	v_add_nc_u64_e32 v[16:17], 8, v[14:15]
	s_branch .LBB239_3
.LBB239_2:                              ;   in Loop: Header=BB239_3 Depth=1
	s_or_b32 exec_lo, exec_lo, s3
	s_add_co_i32 s2, s2, 0x10000
	s_delay_alu instid0(SALU_CYCLE_1)
	s_cmp_lt_u32 s2, s33
	s_cbranch_scc0 .LBB239_62
.LBB239_3:                              ; =>This Loop Header: Depth=1
                                        ;     Child Loop BB239_5 Depth 2
                                        ;     Child Loop BB239_13 Depth 2
                                        ;       Child Loop BB239_14 Depth 3
                                        ;     Child Loop BB239_51 Depth 2
                                        ;       Child Loop BB239_53 Depth 3
	;; [unrolled: 2-line block ×4, first 2 shown]
                                        ;     Child Loop BB239_61 Depth 2
	s_mov_b32 s3, s23
	s_delay_alu instid0(SALU_CYCLE_1)
	s_mul_u64 s[28:29], s[14:15], s[2:3]
	s_and_saveexec_b32 s22, s47
	s_cbranch_execz .LBB239_6
; %bb.4:                                ;   in Loop: Header=BB239_3 Depth=1
	s_delay_alu instid0(VALU_DEP_1)
	v_add_nc_u64_e32 v[0:1], s[28:29], v[16:17]
	v_mov_b32_e32 v2, v12
	s_mov_b32 s30, s42
.LBB239_5:                              ;   Parent Loop BB239_3 Depth=1
                                        ; =>  This Inner Loop Header: Depth=2
	global_load_b128 v[4:7], v[0:1], off offset:-8
	s_wait_xcnt 0x0
	v_add_nc_u64_e32 v[0:1], s[16:17], v[0:1]
	s_add_co_i32 s30, s30, -1
	s_delay_alu instid0(SALU_CYCLE_1) | instskip(SKIP_3) | instid1(VALU_DEP_2)
	s_cmp_lg_u32 s30, 0
	s_wait_loadcnt 0x0
	v_mul_f64_e32 v[10:11], s[6:7], v[6:7]
	v_mul_f64_e32 v[8:9], s[4:5], v[6:7]
	v_fma_f64 v[6:7], s[4:5], v[4:5], -v[10:11]
	s_delay_alu instid0(VALU_DEP_2)
	v_fmac_f64_e32 v[8:9], s[6:7], v[4:5]
	ds_store_b128 v2, v[6:9]
	v_add_nc_u32_e32 v2, 0x400, v2
	s_cbranch_scc1 .LBB239_5
.LBB239_6:                              ;   in Loop: Header=BB239_3 Depth=1
	s_or_b32 exec_lo, exec_lo, s22
	s_mul_u64 s[30:31], s[12:13], s[2:3]
	s_mul_u64 s[34:35], s[20:21], s[2:3]
	s_lshl_b64 s[36:37], s[30:31], 4
	s_add_nc_u64 s[30:31], s[18:19], s[34:35]
	s_add_nc_u64 s[34:35], s[8:9], s[36:37]
	s_and_b32 vcc_lo, exec_lo, s43
	s_mov_b32 s3, -1
	s_wait_dscnt 0x0
	s_barrier_signal -1
	s_barrier_wait -1
	s_cbranch_vccz .LBB239_27
; %bb.7:                                ;   in Loop: Header=BB239_3 Depth=1
	s_and_b32 vcc_lo, exec_lo, s44
	s_cbranch_vccz .LBB239_24
; %bb.8:                                ;   in Loop: Header=BB239_3 Depth=1
	v_cmp_ne_u32_e32 vcc_lo, 1, v18
	s_cbranch_vccnz .LBB239_21
; %bb.9:                                ;   in Loop: Header=BB239_3 Depth=1
	s_and_not1_b32 vcc_lo, exec_lo, s45
	s_cbranch_vccnz .LBB239_20
; %bb.10:                               ;   in Loop: Header=BB239_3 Depth=1
	s_mov_b32 s22, 0
	s_mov_b64 s[36:37], s[30:31]
	s_branch .LBB239_13
.LBB239_11:                             ;   in Loop: Header=BB239_13 Depth=2
	ds_store_b128 v21, v[6:9]
.LBB239_12:                             ;   in Loop: Header=BB239_13 Depth=2
	s_add_co_i32 s22, s22, 1
	s_add_nc_u64 s[36:37], s[36:37], s[26:27]
	s_cmp_lg_u32 s22, s40
	s_cbranch_scc0 .LBB239_20
.LBB239_13:                             ;   Parent Loop BB239_3 Depth=1
                                        ; =>  This Loop Header: Depth=2
                                        ;       Child Loop BB239_14 Depth 3
	v_lshl_add_u32 v21, s22, 4, v19
	v_mov_b32_e32 v4, v19
	s_cmp_eq_u32 s22, 0
	s_wait_xcnt 0x0
	s_mov_b64 s[38:39], s[36:37]
	s_mov_b32 s3, s22
	ds_load_b128 v[0:3], v21
	s_cbranch_scc1 .LBB239_15
.LBB239_14:                             ;   Parent Loop BB239_3 Depth=1
                                        ;     Parent Loop BB239_13 Depth=2
                                        ; =>    This Inner Loop Header: Depth=3
	global_load_b128 v[6:9], v13, s[38:39] offset:-8
	ds_load_b128 v[22:25], v4
	s_add_co_i32 s3, s3, -1
	s_wait_xcnt 0x0
	s_add_nc_u64 s[38:39], s[38:39], 16
	s_cmp_eq_u32 s3, 0
	v_add_nc_u32_e32 v4, 16, v4
	s_wait_loadcnt 0x0
	v_xor_b32_e32 v5, 0x80000000, v9
	s_wait_dscnt 0x0
	v_mul_f64_e32 v[10:11], v[6:7], v[24:25]
	s_delay_alu instid0(VALU_DEP_2) | instskip(NEXT) | instid1(VALU_DEP_1)
	v_cndmask_b32_e64 v9, v9, v5, s0
	v_mul_f64_e32 v[24:25], v[8:9], v[24:25]
	s_delay_alu instid0(VALU_DEP_1) | instskip(NEXT) | instid1(VALU_DEP_4)
	v_fma_f64 v[6:7], v[6:7], v[22:23], -v[24:25]
	v_fmac_f64_e32 v[10:11], v[8:9], v[22:23]
	s_delay_alu instid0(VALU_DEP_2) | instskip(NEXT) | instid1(VALU_DEP_2)
	v_add_f64_e64 v[0:1], v[0:1], -v[6:7]
	v_add_f64_e64 v[2:3], v[2:3], -v[10:11]
	s_cbranch_scc0 .LBB239_14
.LBB239_15:                             ;   in Loop: Header=BB239_13 Depth=2
	s_and_b32 vcc_lo, exec_lo, s46
	s_wait_dscnt 0x0
	ds_store_b128 v21, v[0:3]
	s_cbranch_vccz .LBB239_12
; %bb.16:                               ;   in Loop: Header=BB239_13 Depth=2
	s_mul_u64 s[38:39], s[10:11], s[22:23]
	s_delay_alu instid0(SALU_CYCLE_1) | instskip(NEXT) | instid1(SALU_CYCLE_1)
	s_lshl_b64 s[38:39], s[38:39], 4
	s_add_nc_u64 s[38:39], s[34:35], s[38:39]
	global_load_b128 v[4:7], v13, s[38:39]
	s_wait_loadcnt 0x0
	v_cmp_ngt_f64_e64 s3, |v[4:5]|, |v[6:7]|
	v_xor_b32_e32 v8, 0x80000000, v7
	s_delay_alu instid0(VALU_DEP_1)
	v_dual_mov_b32 v10, v6 :: v_dual_cndmask_b32 v11, v7, v8, s0
                                        ; implicit-def: $vgpr8_vgpr9
	s_and_b32 vcc_lo, exec_lo, s3
	s_mov_b32 s3, -1
	s_cbranch_vccz .LBB239_18
; %bb.17:                               ;   in Loop: Header=BB239_13 Depth=2
	s_delay_alu instid0(VALU_DEP_1) | instskip(SKIP_4) | instid1(TRANS32_DEP_1)
	v_div_scale_f64 v[6:7], null, v[10:11], v[10:11], v[4:5]
	v_div_scale_f64 v[24:25], vcc_lo, v[4:5], v[10:11], v[4:5]
	s_mov_b32 s3, 0
	v_rcp_f64_e32 v[8:9], v[6:7]
	v_nop
	v_fma_f64 v[22:23], -v[6:7], v[8:9], 1.0
	s_delay_alu instid0(VALU_DEP_1) | instskip(NEXT) | instid1(VALU_DEP_1)
	v_fmac_f64_e32 v[8:9], v[8:9], v[22:23]
	v_fma_f64 v[22:23], -v[6:7], v[8:9], 1.0
	s_delay_alu instid0(VALU_DEP_1) | instskip(NEXT) | instid1(VALU_DEP_1)
	v_fmac_f64_e32 v[8:9], v[8:9], v[22:23]
	v_mul_f64_e32 v[22:23], v[24:25], v[8:9]
	s_delay_alu instid0(VALU_DEP_1) | instskip(NEXT) | instid1(VALU_DEP_1)
	v_fma_f64 v[6:7], -v[6:7], v[22:23], v[24:25]
	v_div_fmas_f64 v[6:7], v[6:7], v[8:9], v[22:23]
	s_delay_alu instid0(VALU_DEP_1) | instskip(NEXT) | instid1(VALU_DEP_1)
	v_div_fixup_f64 v[6:7], v[6:7], v[10:11], v[4:5]
	v_fma_f64 v[8:9], v[4:5], v[6:7], v[10:11]
	s_delay_alu instid0(VALU_DEP_1) | instskip(SKIP_1) | instid1(VALU_DEP_2)
	v_div_scale_f64 v[22:23], null, v[8:9], v[8:9], 1.0
	v_div_scale_f64 v[28:29], vcc_lo, 1.0, v[8:9], 1.0
	v_rcp_f64_e32 v[24:25], v[22:23]
	v_nop
	s_delay_alu instid0(TRANS32_DEP_1) | instskip(NEXT) | instid1(VALU_DEP_1)
	v_fma_f64 v[26:27], -v[22:23], v[24:25], 1.0
	v_fmac_f64_e32 v[24:25], v[24:25], v[26:27]
	s_delay_alu instid0(VALU_DEP_1) | instskip(NEXT) | instid1(VALU_DEP_1)
	v_fma_f64 v[26:27], -v[22:23], v[24:25], 1.0
	v_fmac_f64_e32 v[24:25], v[24:25], v[26:27]
	s_delay_alu instid0(VALU_DEP_1) | instskip(NEXT) | instid1(VALU_DEP_1)
	v_mul_f64_e32 v[26:27], v[28:29], v[24:25]
	v_fma_f64 v[22:23], -v[22:23], v[26:27], v[28:29]
	s_delay_alu instid0(VALU_DEP_1) | instskip(SKIP_1) | instid1(VALU_DEP_2)
	v_div_fmas_f64 v[22:23], v[22:23], v[24:25], v[26:27]
	v_fma_f64 v[24:25], v[0:1], v[6:7], v[2:3]
	v_div_fixup_f64 v[8:9], v[22:23], v[8:9], 1.0
	v_fma_f64 v[22:23], v[2:3], v[6:7], -v[0:1]
	s_delay_alu instid0(VALU_DEP_2) | instskip(NEXT) | instid1(VALU_DEP_2)
	v_mul_f64_e32 v[6:7], v[24:25], v[8:9]
	v_mul_f64_e32 v[8:9], v[22:23], v[8:9]
.LBB239_18:                             ;   in Loop: Header=BB239_13 Depth=2
	s_and_not1_b32 vcc_lo, exec_lo, s3
	s_cbranch_vccnz .LBB239_11
; %bb.19:                               ;   in Loop: Header=BB239_13 Depth=2
	v_div_scale_f64 v[6:7], null, v[4:5], v[4:5], v[10:11]
	v_div_scale_f64 v[24:25], vcc_lo, v[10:11], v[4:5], v[10:11]
	s_delay_alu instid0(VALU_DEP_2) | instskip(SKIP_1) | instid1(TRANS32_DEP_1)
	v_rcp_f64_e32 v[8:9], v[6:7]
	v_nop
	v_fma_f64 v[22:23], -v[6:7], v[8:9], 1.0
	s_delay_alu instid0(VALU_DEP_1) | instskip(NEXT) | instid1(VALU_DEP_1)
	v_fmac_f64_e32 v[8:9], v[8:9], v[22:23]
	v_fma_f64 v[22:23], -v[6:7], v[8:9], 1.0
	s_delay_alu instid0(VALU_DEP_1) | instskip(NEXT) | instid1(VALU_DEP_1)
	v_fmac_f64_e32 v[8:9], v[8:9], v[22:23]
	v_mul_f64_e32 v[22:23], v[24:25], v[8:9]
	s_delay_alu instid0(VALU_DEP_1) | instskip(NEXT) | instid1(VALU_DEP_1)
	v_fma_f64 v[6:7], -v[6:7], v[22:23], v[24:25]
	v_div_fmas_f64 v[6:7], v[6:7], v[8:9], v[22:23]
	s_delay_alu instid0(VALU_DEP_1) | instskip(NEXT) | instid1(VALU_DEP_1)
	v_div_fixup_f64 v[6:7], v[6:7], v[4:5], v[10:11]
	v_fmac_f64_e32 v[4:5], v[10:11], v[6:7]
	s_delay_alu instid0(VALU_DEP_1) | instskip(SKIP_1) | instid1(VALU_DEP_2)
	v_div_scale_f64 v[8:9], null, v[4:5], v[4:5], 1.0
	v_div_scale_f64 v[24:25], vcc_lo, 1.0, v[4:5], 1.0
	v_rcp_f64_e32 v[10:11], v[8:9]
	v_nop
	s_delay_alu instid0(TRANS32_DEP_1) | instskip(NEXT) | instid1(VALU_DEP_1)
	v_fma_f64 v[22:23], -v[8:9], v[10:11], 1.0
	v_fmac_f64_e32 v[10:11], v[10:11], v[22:23]
	s_delay_alu instid0(VALU_DEP_1) | instskip(NEXT) | instid1(VALU_DEP_1)
	v_fma_f64 v[22:23], -v[8:9], v[10:11], 1.0
	v_fmac_f64_e32 v[10:11], v[10:11], v[22:23]
	s_delay_alu instid0(VALU_DEP_1) | instskip(NEXT) | instid1(VALU_DEP_1)
	v_mul_f64_e32 v[22:23], v[24:25], v[10:11]
	v_fma_f64 v[8:9], -v[8:9], v[22:23], v[24:25]
	s_delay_alu instid0(VALU_DEP_1) | instskip(SKIP_2) | instid1(VALU_DEP_3)
	v_div_fmas_f64 v[8:9], v[8:9], v[10:11], v[22:23]
	v_fma_f64 v[10:11], v[2:3], v[6:7], v[0:1]
	v_fma_f64 v[0:1], -v[0:1], v[6:7], v[2:3]
	v_div_fixup_f64 v[4:5], v[8:9], v[4:5], 1.0
	s_delay_alu instid0(VALU_DEP_1) | instskip(NEXT) | instid1(VALU_DEP_3)
	v_mul_f64_e32 v[6:7], v[10:11], v[4:5]
	v_mul_f64_e32 v[8:9], v[0:1], v[4:5]
	s_branch .LBB239_11
.LBB239_20:                             ;   in Loop: Header=BB239_3 Depth=1
	s_mov_b32 s3, 0
.LBB239_21:                             ;   in Loop: Header=BB239_3 Depth=1
	s_delay_alu instid0(SALU_CYCLE_1)
	s_and_not1_b32 vcc_lo, exec_lo, s3
	s_cbranch_vccnz .LBB239_23
; %bb.22:                               ;   in Loop: Header=BB239_3 Depth=1
	s_and_not1_b32 vcc_lo, exec_lo, s45
	s_mov_b32 s22, s41
	s_cbranch_vccz .LBB239_51
.LBB239_23:                             ;   in Loop: Header=BB239_3 Depth=1
	s_mov_b32 s3, 0
.LBB239_24:                             ;   in Loop: Header=BB239_3 Depth=1
	s_delay_alu instid0(SALU_CYCLE_1)
	s_and_not1_b32 vcc_lo, exec_lo, s3
	s_cbranch_vccnz .LBB239_26
; %bb.25:                               ;   in Loop: Header=BB239_3 Depth=1
	s_and_not1_b32 vcc_lo, exec_lo, s45
	s_wait_xcnt 0x0
	s_mov_b32 s36, s41
	s_cbranch_vccz .LBB239_41
.LBB239_26:                             ;   in Loop: Header=BB239_3 Depth=1
	s_mov_b32 s3, 0
.LBB239_27:                             ;   in Loop: Header=BB239_3 Depth=1
	s_delay_alu instid0(SALU_CYCLE_1)
	s_and_not1_b32 vcc_lo, exec_lo, s3
	s_cbranch_vccnz .LBB239_59
; %bb.28:                               ;   in Loop: Header=BB239_3 Depth=1
	s_and_not1_b32 vcc_lo, exec_lo, s45
	s_cbranch_vccnz .LBB239_59
; %bb.29:                               ;   in Loop: Header=BB239_3 Depth=1
	s_mov_b32 s22, 0
	s_branch .LBB239_31
.LBB239_30:                             ;   in Loop: Header=BB239_31 Depth=2
	s_add_co_i32 s22, s22, 1
	s_add_nc_u64 s[30:31], s[30:31], 16
	s_cmp_eq_u32 s22, s40
	s_cbranch_scc1 .LBB239_59
.LBB239_31:                             ;   Parent Loop BB239_3 Depth=1
                                        ; =>  This Loop Header: Depth=2
                                        ;       Child Loop BB239_33 Depth 3
	v_lshl_add_u32 v4, s22, 4, v19
	s_cmp_eq_u32 s22, 0
	s_cbranch_scc1 .LBB239_34
; %bb.32:                               ;   in Loop: Header=BB239_31 Depth=2
	ds_load_b128 v[0:3], v4
	v_mov_b32_e32 v5, v19
	s_wait_xcnt 0x0
	s_mov_b64 s[36:37], s[30:31]
	s_mov_b32 s3, s22
.LBB239_33:                             ;   Parent Loop BB239_3 Depth=1
                                        ;     Parent Loop BB239_31 Depth=2
                                        ; =>    This Inner Loop Header: Depth=3
	global_load_b128 v[6:9], v13, s[36:37] offset:-8
	ds_load_b128 v[22:25], v5
	s_add_co_i32 s3, s3, -1
	s_wait_xcnt 0x0
	s_add_nc_u64 s[36:37], s[36:37], s[26:27]
	s_cmp_eq_u32 s3, 0
	v_add_nc_u32_e32 v5, 16, v5
	s_wait_loadcnt_dscnt 0x0
	v_mul_f64_e32 v[10:11], v[8:9], v[24:25]
	v_mul_f64_e32 v[24:25], v[6:7], v[24:25]
	s_delay_alu instid0(VALU_DEP_2) | instskip(NEXT) | instid1(VALU_DEP_2)
	v_fma_f64 v[6:7], v[6:7], v[22:23], -v[10:11]
	v_fmac_f64_e32 v[24:25], v[8:9], v[22:23]
	s_delay_alu instid0(VALU_DEP_2) | instskip(NEXT) | instid1(VALU_DEP_2)
	v_add_f64_e64 v[0:1], v[0:1], -v[6:7]
	v_add_f64_e64 v[2:3], v[2:3], -v[24:25]
	ds_store_b128 v4, v[0:3]
	s_cbranch_scc0 .LBB239_33
.LBB239_34:                             ;   in Loop: Header=BB239_31 Depth=2
	s_and_b32 vcc_lo, exec_lo, s46
	s_cbranch_vccz .LBB239_30
; %bb.35:                               ;   in Loop: Header=BB239_31 Depth=2
	s_wait_xcnt 0x0
	s_mul_u64 s[36:37], s[10:11], s[22:23]
	s_delay_alu instid0(SALU_CYCLE_1) | instskip(NEXT) | instid1(SALU_CYCLE_1)
	s_lshl_b64 s[36:37], s[36:37], 4
	s_add_nc_u64 s[36:37], s[34:35], s[36:37]
	global_load_b128 v[0:3], v13, s[36:37]
	s_wait_loadcnt 0x0
	v_cmp_ngt_f64_e64 s3, |v[0:1]|, |v[2:3]|
	s_and_b32 vcc_lo, exec_lo, s3
	s_mov_b32 s3, -1
	s_cbranch_vccz .LBB239_37
; %bb.36:                               ;   in Loop: Header=BB239_31 Depth=2
	v_div_scale_f64 v[6:7], null, v[2:3], v[2:3], v[0:1]
	v_div_scale_f64 v[22:23], vcc_lo, v[0:1], v[2:3], v[0:1]
	s_mov_b32 s3, 0
	v_rcp_f64_e32 v[8:9], v[6:7]
	v_nop
	s_delay_alu instid0(TRANS32_DEP_1) | instskip(NEXT) | instid1(VALU_DEP_1)
	v_fma_f64 v[10:11], -v[6:7], v[8:9], 1.0
	v_fmac_f64_e32 v[8:9], v[8:9], v[10:11]
	s_delay_alu instid0(VALU_DEP_1) | instskip(NEXT) | instid1(VALU_DEP_1)
	v_fma_f64 v[10:11], -v[6:7], v[8:9], 1.0
	v_fmac_f64_e32 v[8:9], v[8:9], v[10:11]
	s_delay_alu instid0(VALU_DEP_1) | instskip(NEXT) | instid1(VALU_DEP_1)
	v_mul_f64_e32 v[10:11], v[22:23], v[8:9]
	v_fma_f64 v[6:7], -v[6:7], v[10:11], v[22:23]
	s_delay_alu instid0(VALU_DEP_1) | instskip(NEXT) | instid1(VALU_DEP_1)
	v_div_fmas_f64 v[6:7], v[6:7], v[8:9], v[10:11]
	v_div_fixup_f64 v[10:11], v[6:7], v[2:3], v[0:1]
	s_delay_alu instid0(VALU_DEP_1) | instskip(NEXT) | instid1(VALU_DEP_1)
	v_fma_f64 v[22:23], v[0:1], v[10:11], v[2:3]
	v_div_scale_f64 v[6:7], null, v[22:23], v[22:23], 1.0
	v_div_scale_f64 v[26:27], vcc_lo, 1.0, v[22:23], 1.0
	s_delay_alu instid0(VALU_DEP_2) | instskip(SKIP_1) | instid1(TRANS32_DEP_1)
	v_rcp_f64_e32 v[8:9], v[6:7]
	v_nop
	v_fma_f64 v[24:25], -v[6:7], v[8:9], 1.0
	s_delay_alu instid0(VALU_DEP_1) | instskip(NEXT) | instid1(VALU_DEP_1)
	v_fmac_f64_e32 v[8:9], v[8:9], v[24:25]
	v_fma_f64 v[24:25], -v[6:7], v[8:9], 1.0
	s_delay_alu instid0(VALU_DEP_1) | instskip(NEXT) | instid1(VALU_DEP_1)
	v_fmac_f64_e32 v[8:9], v[8:9], v[24:25]
	v_mul_f64_e32 v[24:25], v[26:27], v[8:9]
	s_delay_alu instid0(VALU_DEP_1) | instskip(NEXT) | instid1(VALU_DEP_1)
	v_fma_f64 v[6:7], -v[6:7], v[24:25], v[26:27]
	v_div_fmas_f64 v[24:25], v[6:7], v[8:9], v[24:25]
	ds_load_b128 v[6:9], v4
	s_wait_dscnt 0x0
	v_fma_f64 v[26:27], v[10:11], v[6:7], v[8:9]
	v_fma_f64 v[8:9], v[10:11], v[8:9], -v[6:7]
	v_div_fixup_f64 v[22:23], v[24:25], v[22:23], 1.0
	s_delay_alu instid0(VALU_DEP_1) | instskip(NEXT) | instid1(VALU_DEP_3)
	v_mul_f64_e32 v[6:7], v[22:23], v[26:27]
	v_mul_f64_e32 v[8:9], v[22:23], v[8:9]
	ds_store_b128 v4, v[6:9]
.LBB239_37:                             ;   in Loop: Header=BB239_31 Depth=2
	s_and_not1_b32 vcc_lo, exec_lo, s3
	s_cbranch_vccnz .LBB239_30
; %bb.38:                               ;   in Loop: Header=BB239_31 Depth=2
	v_div_scale_f64 v[6:7], null, v[0:1], v[0:1], v[2:3]
	v_div_scale_f64 v[22:23], vcc_lo, v[2:3], v[0:1], v[2:3]
	s_delay_alu instid0(VALU_DEP_2) | instskip(SKIP_1) | instid1(TRANS32_DEP_1)
	v_rcp_f64_e32 v[8:9], v[6:7]
	v_nop
	v_fma_f64 v[10:11], -v[6:7], v[8:9], 1.0
	s_delay_alu instid0(VALU_DEP_1) | instskip(NEXT) | instid1(VALU_DEP_1)
	v_fmac_f64_e32 v[8:9], v[8:9], v[10:11]
	v_fma_f64 v[10:11], -v[6:7], v[8:9], 1.0
	s_delay_alu instid0(VALU_DEP_1) | instskip(NEXT) | instid1(VALU_DEP_1)
	v_fmac_f64_e32 v[8:9], v[8:9], v[10:11]
	v_mul_f64_e32 v[10:11], v[22:23], v[8:9]
	s_delay_alu instid0(VALU_DEP_1) | instskip(NEXT) | instid1(VALU_DEP_1)
	v_fma_f64 v[6:7], -v[6:7], v[10:11], v[22:23]
	v_div_fmas_f64 v[6:7], v[6:7], v[8:9], v[10:11]
	s_delay_alu instid0(VALU_DEP_1) | instskip(NEXT) | instid1(VALU_DEP_1)
	v_div_fixup_f64 v[10:11], v[6:7], v[0:1], v[2:3]
	v_fmac_f64_e32 v[0:1], v[2:3], v[10:11]
	s_delay_alu instid0(VALU_DEP_1) | instskip(SKIP_1) | instid1(VALU_DEP_2)
	v_div_scale_f64 v[2:3], null, v[0:1], v[0:1], 1.0
	v_div_scale_f64 v[22:23], vcc_lo, 1.0, v[0:1], 1.0
	v_rcp_f64_e32 v[6:7], v[2:3]
	v_nop
	s_delay_alu instid0(TRANS32_DEP_1) | instskip(NEXT) | instid1(VALU_DEP_1)
	v_fma_f64 v[8:9], -v[2:3], v[6:7], 1.0
	v_fmac_f64_e32 v[6:7], v[6:7], v[8:9]
	s_delay_alu instid0(VALU_DEP_1) | instskip(NEXT) | instid1(VALU_DEP_1)
	v_fma_f64 v[8:9], -v[2:3], v[6:7], 1.0
	v_fmac_f64_e32 v[6:7], v[6:7], v[8:9]
	s_delay_alu instid0(VALU_DEP_1) | instskip(NEXT) | instid1(VALU_DEP_1)
	v_mul_f64_e32 v[8:9], v[22:23], v[6:7]
	v_fma_f64 v[2:3], -v[2:3], v[8:9], v[22:23]
	s_delay_alu instid0(VALU_DEP_1)
	v_div_fmas_f64 v[2:3], v[2:3], v[6:7], v[8:9]
	ds_load_b128 v[6:9], v4
	s_wait_dscnt 0x0
	v_fma_f64 v[22:23], v[10:11], v[8:9], v[6:7]
	v_fma_f64 v[6:7], -v[10:11], v[6:7], v[8:9]
	v_div_fixup_f64 v[2:3], v[2:3], v[0:1], 1.0
	s_delay_alu instid0(VALU_DEP_1) | instskip(NEXT) | instid1(VALU_DEP_3)
	v_mul_f64_e32 v[0:1], v[2:3], v[22:23]
	v_mul_f64_e32 v[2:3], v[2:3], v[6:7]
	ds_store_b128 v4, v[0:3]
	s_branch .LBB239_30
.LBB239_39:                             ;   in Loop: Header=BB239_41 Depth=2
	ds_store_b128 v21, v[8:11]
.LBB239_40:                             ;   in Loop: Header=BB239_41 Depth=2
	s_add_co_i32 s3, s36, -1
	s_cmp_lt_i32 s36, 1
	s_mov_b32 s36, s3
	s_cbranch_scc1 .LBB239_26
.LBB239_41:                             ;   Parent Loop BB239_3 Depth=1
                                        ; =>  This Loop Header: Depth=2
                                        ;       Child Loop BB239_43 Depth 3
	v_lshl_add_u32 v21, s36, 4, v19
	s_cmp_le_i32 s41, s36
	ds_load_b128 v[0:3], v21
	s_cbranch_scc1 .LBB239_44
; %bb.42:                               ;   in Loop: Header=BB239_41 Depth=2
	s_mov_b32 s37, s23
	v_mov_b32_e32 v4, v20
	s_wait_xcnt 0x0
	s_lshl_b64 s[38:39], s[36:37], 4
	s_mov_b32 s22, s41
	s_add_nc_u64 s[38:39], s[34:35], s[38:39]
.LBB239_43:                             ;   Parent Loop BB239_3 Depth=1
                                        ;     Parent Loop BB239_41 Depth=2
                                        ; =>    This Inner Loop Header: Depth=3
	s_wait_xcnt 0x0
	s_mul_u64 s[48:49], s[22:23], s[24:25]
	ds_load_b128 v[22:25], v4
	s_lshl_b64 s[48:49], s[48:49], 4
	s_add_co_i32 s22, s22, -1
	s_add_nc_u64 s[48:49], s[38:39], s[48:49]
	s_cmp_le_i32 s22, s36
	global_load_b128 v[6:9], v13, s[48:49]
	v_add_nc_u32_e32 v4, -16, v4
	s_wait_loadcnt_dscnt 0x0
	v_mul_f64_e32 v[10:11], v[8:9], v[24:25]
	v_mul_f64_e32 v[24:25], v[6:7], v[24:25]
	s_delay_alu instid0(VALU_DEP_2) | instskip(NEXT) | instid1(VALU_DEP_2)
	v_fma_f64 v[6:7], v[6:7], v[22:23], -v[10:11]
	v_fmac_f64_e32 v[24:25], v[8:9], v[22:23]
	s_delay_alu instid0(VALU_DEP_2) | instskip(NEXT) | instid1(VALU_DEP_2)
	v_add_f64_e64 v[0:1], v[0:1], -v[6:7]
	v_add_f64_e64 v[2:3], v[2:3], -v[24:25]
	s_cbranch_scc0 .LBB239_43
.LBB239_44:                             ;   in Loop: Header=BB239_41 Depth=2
	s_and_b32 vcc_lo, exec_lo, s46
	s_wait_dscnt 0x0
	ds_store_b128 v21, v[0:3]
	s_cbranch_vccz .LBB239_40
; %bb.45:                               ;   in Loop: Header=BB239_41 Depth=2
	s_mov_b32 s37, s23
                                        ; implicit-def: $vgpr10_vgpr11
	s_wait_xcnt 0x0
	s_mul_u64 s[38:39], s[10:11], s[36:37]
	s_delay_alu instid0(SALU_CYCLE_1) | instskip(NEXT) | instid1(SALU_CYCLE_1)
	s_lshl_b64 s[38:39], s[38:39], 4
	s_add_nc_u64 s[38:39], s[34:35], s[38:39]
	global_load_b128 v[4:7], v13, s[38:39]
	s_wait_loadcnt 0x0
	v_cmp_ngt_f64_e64 s3, |v[4:5]|, |v[6:7]|
	s_and_b32 vcc_lo, exec_lo, s3
	s_mov_b32 s3, -1
	s_cbranch_vccz .LBB239_47
; %bb.46:                               ;   in Loop: Header=BB239_41 Depth=2
	v_div_scale_f64 v[8:9], null, v[6:7], v[6:7], v[4:5]
	v_div_scale_f64 v[24:25], vcc_lo, v[4:5], v[6:7], v[4:5]
	s_mov_b32 s3, 0
	v_rcp_f64_e32 v[10:11], v[8:9]
	v_nop
	s_delay_alu instid0(TRANS32_DEP_1) | instskip(NEXT) | instid1(VALU_DEP_1)
	v_fma_f64 v[22:23], -v[8:9], v[10:11], 1.0
	v_fmac_f64_e32 v[10:11], v[10:11], v[22:23]
	s_delay_alu instid0(VALU_DEP_1) | instskip(NEXT) | instid1(VALU_DEP_1)
	v_fma_f64 v[22:23], -v[8:9], v[10:11], 1.0
	v_fmac_f64_e32 v[10:11], v[10:11], v[22:23]
	s_delay_alu instid0(VALU_DEP_1) | instskip(NEXT) | instid1(VALU_DEP_1)
	v_mul_f64_e32 v[22:23], v[24:25], v[10:11]
	v_fma_f64 v[8:9], -v[8:9], v[22:23], v[24:25]
	s_delay_alu instid0(VALU_DEP_1) | instskip(NEXT) | instid1(VALU_DEP_1)
	v_div_fmas_f64 v[8:9], v[8:9], v[10:11], v[22:23]
	v_div_fixup_f64 v[8:9], v[8:9], v[6:7], v[4:5]
	s_delay_alu instid0(VALU_DEP_1) | instskip(NEXT) | instid1(VALU_DEP_1)
	v_fma_f64 v[10:11], v[4:5], v[8:9], v[6:7]
	v_div_scale_f64 v[22:23], null, v[10:11], v[10:11], 1.0
	v_div_scale_f64 v[28:29], vcc_lo, 1.0, v[10:11], 1.0
	s_delay_alu instid0(VALU_DEP_2) | instskip(SKIP_1) | instid1(TRANS32_DEP_1)
	v_rcp_f64_e32 v[24:25], v[22:23]
	v_nop
	v_fma_f64 v[26:27], -v[22:23], v[24:25], 1.0
	s_delay_alu instid0(VALU_DEP_1) | instskip(NEXT) | instid1(VALU_DEP_1)
	v_fmac_f64_e32 v[24:25], v[24:25], v[26:27]
	v_fma_f64 v[26:27], -v[22:23], v[24:25], 1.0
	s_delay_alu instid0(VALU_DEP_1) | instskip(NEXT) | instid1(VALU_DEP_1)
	v_fmac_f64_e32 v[24:25], v[24:25], v[26:27]
	v_mul_f64_e32 v[26:27], v[28:29], v[24:25]
	s_delay_alu instid0(VALU_DEP_1) | instskip(NEXT) | instid1(VALU_DEP_1)
	v_fma_f64 v[22:23], -v[22:23], v[26:27], v[28:29]
	v_div_fmas_f64 v[22:23], v[22:23], v[24:25], v[26:27]
	v_fma_f64 v[24:25], v[0:1], v[8:9], v[2:3]
	s_delay_alu instid0(VALU_DEP_2) | instskip(SKIP_1) | instid1(VALU_DEP_2)
	v_div_fixup_f64 v[10:11], v[22:23], v[10:11], 1.0
	v_fma_f64 v[22:23], v[2:3], v[8:9], -v[0:1]
	v_mul_f64_e32 v[8:9], v[24:25], v[10:11]
	s_delay_alu instid0(VALU_DEP_2)
	v_mul_f64_e32 v[10:11], v[22:23], v[10:11]
.LBB239_47:                             ;   in Loop: Header=BB239_41 Depth=2
	s_and_not1_b32 vcc_lo, exec_lo, s3
	s_cbranch_vccnz .LBB239_39
; %bb.48:                               ;   in Loop: Header=BB239_41 Depth=2
	v_div_scale_f64 v[8:9], null, v[4:5], v[4:5], v[6:7]
	v_div_scale_f64 v[24:25], vcc_lo, v[6:7], v[4:5], v[6:7]
	s_delay_alu instid0(VALU_DEP_2) | instskip(SKIP_1) | instid1(TRANS32_DEP_1)
	v_rcp_f64_e32 v[10:11], v[8:9]
	v_nop
	v_fma_f64 v[22:23], -v[8:9], v[10:11], 1.0
	s_delay_alu instid0(VALU_DEP_1) | instskip(NEXT) | instid1(VALU_DEP_1)
	v_fmac_f64_e32 v[10:11], v[10:11], v[22:23]
	v_fma_f64 v[22:23], -v[8:9], v[10:11], 1.0
	s_delay_alu instid0(VALU_DEP_1) | instskip(NEXT) | instid1(VALU_DEP_1)
	v_fmac_f64_e32 v[10:11], v[10:11], v[22:23]
	v_mul_f64_e32 v[22:23], v[24:25], v[10:11]
	s_delay_alu instid0(VALU_DEP_1) | instskip(NEXT) | instid1(VALU_DEP_1)
	v_fma_f64 v[8:9], -v[8:9], v[22:23], v[24:25]
	v_div_fmas_f64 v[8:9], v[8:9], v[10:11], v[22:23]
	s_delay_alu instid0(VALU_DEP_1) | instskip(NEXT) | instid1(VALU_DEP_1)
	v_div_fixup_f64 v[8:9], v[8:9], v[4:5], v[6:7]
	v_fmac_f64_e32 v[4:5], v[6:7], v[8:9]
	s_delay_alu instid0(VALU_DEP_1) | instskip(SKIP_1) | instid1(VALU_DEP_2)
	v_div_scale_f64 v[6:7], null, v[4:5], v[4:5], 1.0
	v_div_scale_f64 v[24:25], vcc_lo, 1.0, v[4:5], 1.0
	v_rcp_f64_e32 v[10:11], v[6:7]
	v_nop
	s_delay_alu instid0(TRANS32_DEP_1) | instskip(NEXT) | instid1(VALU_DEP_1)
	v_fma_f64 v[22:23], -v[6:7], v[10:11], 1.0
	v_fmac_f64_e32 v[10:11], v[10:11], v[22:23]
	s_delay_alu instid0(VALU_DEP_1) | instskip(NEXT) | instid1(VALU_DEP_1)
	v_fma_f64 v[22:23], -v[6:7], v[10:11], 1.0
	v_fmac_f64_e32 v[10:11], v[10:11], v[22:23]
	s_delay_alu instid0(VALU_DEP_1) | instskip(NEXT) | instid1(VALU_DEP_1)
	v_mul_f64_e32 v[22:23], v[24:25], v[10:11]
	v_fma_f64 v[6:7], -v[6:7], v[22:23], v[24:25]
	s_delay_alu instid0(VALU_DEP_1) | instskip(SKIP_2) | instid1(VALU_DEP_3)
	v_div_fmas_f64 v[6:7], v[6:7], v[10:11], v[22:23]
	v_fma_f64 v[10:11], v[2:3], v[8:9], v[0:1]
	v_fma_f64 v[0:1], -v[0:1], v[8:9], v[2:3]
	v_div_fixup_f64 v[4:5], v[6:7], v[4:5], 1.0
	s_delay_alu instid0(VALU_DEP_1) | instskip(NEXT) | instid1(VALU_DEP_3)
	v_mul_f64_e32 v[8:9], v[10:11], v[4:5]
	v_mul_f64_e32 v[10:11], v[0:1], v[4:5]
	s_branch .LBB239_39
.LBB239_49:                             ;   in Loop: Header=BB239_51 Depth=2
	ds_store_b128 v21, v[6:9]
.LBB239_50:                             ;   in Loop: Header=BB239_51 Depth=2
	s_add_co_i32 s3, s22, -1
	s_cmp_lt_i32 s22, 1
	s_mov_b32 s22, s3
	s_cbranch_scc1 .LBB239_23
.LBB239_51:                             ;   Parent Loop BB239_3 Depth=1
                                        ; =>  This Loop Header: Depth=2
                                        ;       Child Loop BB239_53 Depth 3
	v_lshl_add_u32 v21, s22, 4, v19
	s_cmp_le_i32 s41, s22
	ds_load_b128 v[0:3], v21
	s_cbranch_scc1 .LBB239_54
; %bb.52:                               ;   in Loop: Header=BB239_51 Depth=2
	s_wait_xcnt 0x0
	s_mul_u64 s[36:37], s[22:23], s[24:25]
	v_mov_b32_e32 v4, v20
	s_lshl_b64 s[36:37], s[36:37], 4
	s_mov_b32 s3, s41
	s_add_nc_u64 s[36:37], s[34:35], s[36:37]
.LBB239_53:                             ;   Parent Loop BB239_3 Depth=1
                                        ;     Parent Loop BB239_51 Depth=2
                                        ; =>    This Inner Loop Header: Depth=3
	ds_load_b128 v[22:25], v4
	v_mov_b32_e32 v5, s3
	s_add_co_i32 s3, s3, -1
	v_add_nc_u32_e32 v4, -16, v4
	s_cmp_le_i32 s3, s22
	global_load_b128 v[6:9], v5, s[36:37] scale_offset
	s_wait_loadcnt 0x0
	s_wait_xcnt 0x0
	v_xor_b32_e32 v5, 0x80000000, v9
	s_wait_dscnt 0x0
	v_mul_f64_e32 v[10:11], v[6:7], v[24:25]
	s_delay_alu instid0(VALU_DEP_2) | instskip(NEXT) | instid1(VALU_DEP_1)
	v_cndmask_b32_e64 v9, v9, v5, s0
	v_mul_f64_e32 v[24:25], v[8:9], v[24:25]
	s_delay_alu instid0(VALU_DEP_1) | instskip(NEXT) | instid1(VALU_DEP_4)
	v_fma_f64 v[6:7], v[6:7], v[22:23], -v[24:25]
	v_fmac_f64_e32 v[10:11], v[8:9], v[22:23]
	s_delay_alu instid0(VALU_DEP_2) | instskip(NEXT) | instid1(VALU_DEP_2)
	v_add_f64_e64 v[0:1], v[0:1], -v[6:7]
	v_add_f64_e64 v[2:3], v[2:3], -v[10:11]
	s_cbranch_scc0 .LBB239_53
.LBB239_54:                             ;   in Loop: Header=BB239_51 Depth=2
	s_and_b32 vcc_lo, exec_lo, s46
	s_wait_dscnt 0x0
	ds_store_b128 v21, v[0:3]
	s_cbranch_vccz .LBB239_50
; %bb.55:                               ;   in Loop: Header=BB239_51 Depth=2
	s_wait_xcnt 0x0
	s_mul_u64 s[36:37], s[10:11], s[22:23]
	s_delay_alu instid0(SALU_CYCLE_1) | instskip(NEXT) | instid1(SALU_CYCLE_1)
	s_lshl_b64 s[36:37], s[36:37], 4
	s_add_nc_u64 s[36:37], s[34:35], s[36:37]
	global_load_b128 v[4:7], v13, s[36:37]
	s_wait_loadcnt 0x0
	v_cmp_ngt_f64_e64 s3, |v[4:5]|, |v[6:7]|
	v_xor_b32_e32 v8, 0x80000000, v7
	s_delay_alu instid0(VALU_DEP_1)
	v_dual_mov_b32 v10, v6 :: v_dual_cndmask_b32 v11, v7, v8, s0
                                        ; implicit-def: $vgpr8_vgpr9
	s_and_b32 vcc_lo, exec_lo, s3
	s_mov_b32 s3, -1
	s_cbranch_vccz .LBB239_57
; %bb.56:                               ;   in Loop: Header=BB239_51 Depth=2
	s_delay_alu instid0(VALU_DEP_1) | instskip(SKIP_4) | instid1(TRANS32_DEP_1)
	v_div_scale_f64 v[6:7], null, v[10:11], v[10:11], v[4:5]
	v_div_scale_f64 v[24:25], vcc_lo, v[4:5], v[10:11], v[4:5]
	s_mov_b32 s3, 0
	v_rcp_f64_e32 v[8:9], v[6:7]
	v_nop
	v_fma_f64 v[22:23], -v[6:7], v[8:9], 1.0
	s_delay_alu instid0(VALU_DEP_1) | instskip(NEXT) | instid1(VALU_DEP_1)
	v_fmac_f64_e32 v[8:9], v[8:9], v[22:23]
	v_fma_f64 v[22:23], -v[6:7], v[8:9], 1.0
	s_delay_alu instid0(VALU_DEP_1) | instskip(NEXT) | instid1(VALU_DEP_1)
	v_fmac_f64_e32 v[8:9], v[8:9], v[22:23]
	v_mul_f64_e32 v[22:23], v[24:25], v[8:9]
	s_delay_alu instid0(VALU_DEP_1) | instskip(NEXT) | instid1(VALU_DEP_1)
	v_fma_f64 v[6:7], -v[6:7], v[22:23], v[24:25]
	v_div_fmas_f64 v[6:7], v[6:7], v[8:9], v[22:23]
	s_delay_alu instid0(VALU_DEP_1) | instskip(NEXT) | instid1(VALU_DEP_1)
	v_div_fixup_f64 v[6:7], v[6:7], v[10:11], v[4:5]
	v_fma_f64 v[8:9], v[4:5], v[6:7], v[10:11]
	s_delay_alu instid0(VALU_DEP_1) | instskip(SKIP_1) | instid1(VALU_DEP_2)
	v_div_scale_f64 v[22:23], null, v[8:9], v[8:9], 1.0
	v_div_scale_f64 v[28:29], vcc_lo, 1.0, v[8:9], 1.0
	v_rcp_f64_e32 v[24:25], v[22:23]
	v_nop
	s_delay_alu instid0(TRANS32_DEP_1) | instskip(NEXT) | instid1(VALU_DEP_1)
	v_fma_f64 v[26:27], -v[22:23], v[24:25], 1.0
	v_fmac_f64_e32 v[24:25], v[24:25], v[26:27]
	s_delay_alu instid0(VALU_DEP_1) | instskip(NEXT) | instid1(VALU_DEP_1)
	v_fma_f64 v[26:27], -v[22:23], v[24:25], 1.0
	v_fmac_f64_e32 v[24:25], v[24:25], v[26:27]
	s_delay_alu instid0(VALU_DEP_1) | instskip(NEXT) | instid1(VALU_DEP_1)
	v_mul_f64_e32 v[26:27], v[28:29], v[24:25]
	v_fma_f64 v[22:23], -v[22:23], v[26:27], v[28:29]
	s_delay_alu instid0(VALU_DEP_1) | instskip(SKIP_1) | instid1(VALU_DEP_2)
	v_div_fmas_f64 v[22:23], v[22:23], v[24:25], v[26:27]
	v_fma_f64 v[24:25], v[0:1], v[6:7], v[2:3]
	v_div_fixup_f64 v[8:9], v[22:23], v[8:9], 1.0
	v_fma_f64 v[22:23], v[2:3], v[6:7], -v[0:1]
	s_delay_alu instid0(VALU_DEP_2) | instskip(NEXT) | instid1(VALU_DEP_2)
	v_mul_f64_e32 v[6:7], v[24:25], v[8:9]
	v_mul_f64_e32 v[8:9], v[22:23], v[8:9]
.LBB239_57:                             ;   in Loop: Header=BB239_51 Depth=2
	s_and_not1_b32 vcc_lo, exec_lo, s3
	s_cbranch_vccnz .LBB239_49
; %bb.58:                               ;   in Loop: Header=BB239_51 Depth=2
	v_div_scale_f64 v[6:7], null, v[4:5], v[4:5], v[10:11]
	v_div_scale_f64 v[24:25], vcc_lo, v[10:11], v[4:5], v[10:11]
	s_delay_alu instid0(VALU_DEP_2) | instskip(SKIP_1) | instid1(TRANS32_DEP_1)
	v_rcp_f64_e32 v[8:9], v[6:7]
	v_nop
	v_fma_f64 v[22:23], -v[6:7], v[8:9], 1.0
	s_delay_alu instid0(VALU_DEP_1) | instskip(NEXT) | instid1(VALU_DEP_1)
	v_fmac_f64_e32 v[8:9], v[8:9], v[22:23]
	v_fma_f64 v[22:23], -v[6:7], v[8:9], 1.0
	s_delay_alu instid0(VALU_DEP_1) | instskip(NEXT) | instid1(VALU_DEP_1)
	v_fmac_f64_e32 v[8:9], v[8:9], v[22:23]
	v_mul_f64_e32 v[22:23], v[24:25], v[8:9]
	s_delay_alu instid0(VALU_DEP_1) | instskip(NEXT) | instid1(VALU_DEP_1)
	v_fma_f64 v[6:7], -v[6:7], v[22:23], v[24:25]
	v_div_fmas_f64 v[6:7], v[6:7], v[8:9], v[22:23]
	s_delay_alu instid0(VALU_DEP_1) | instskip(NEXT) | instid1(VALU_DEP_1)
	v_div_fixup_f64 v[6:7], v[6:7], v[4:5], v[10:11]
	v_fmac_f64_e32 v[4:5], v[10:11], v[6:7]
	s_delay_alu instid0(VALU_DEP_1) | instskip(SKIP_1) | instid1(VALU_DEP_2)
	v_div_scale_f64 v[8:9], null, v[4:5], v[4:5], 1.0
	v_div_scale_f64 v[24:25], vcc_lo, 1.0, v[4:5], 1.0
	v_rcp_f64_e32 v[10:11], v[8:9]
	v_nop
	s_delay_alu instid0(TRANS32_DEP_1) | instskip(NEXT) | instid1(VALU_DEP_1)
	v_fma_f64 v[22:23], -v[8:9], v[10:11], 1.0
	v_fmac_f64_e32 v[10:11], v[10:11], v[22:23]
	s_delay_alu instid0(VALU_DEP_1) | instskip(NEXT) | instid1(VALU_DEP_1)
	v_fma_f64 v[22:23], -v[8:9], v[10:11], 1.0
	v_fmac_f64_e32 v[10:11], v[10:11], v[22:23]
	s_delay_alu instid0(VALU_DEP_1) | instskip(NEXT) | instid1(VALU_DEP_1)
	v_mul_f64_e32 v[22:23], v[24:25], v[10:11]
	v_fma_f64 v[8:9], -v[8:9], v[22:23], v[24:25]
	s_delay_alu instid0(VALU_DEP_1) | instskip(SKIP_2) | instid1(VALU_DEP_3)
	v_div_fmas_f64 v[8:9], v[8:9], v[10:11], v[22:23]
	v_fma_f64 v[10:11], v[2:3], v[6:7], v[0:1]
	v_fma_f64 v[0:1], -v[0:1], v[6:7], v[2:3]
	v_div_fixup_f64 v[4:5], v[8:9], v[4:5], 1.0
	s_delay_alu instid0(VALU_DEP_1) | instskip(NEXT) | instid1(VALU_DEP_3)
	v_mul_f64_e32 v[6:7], v[10:11], v[4:5]
	v_mul_f64_e32 v[8:9], v[0:1], v[4:5]
	s_branch .LBB239_49
.LBB239_59:                             ;   in Loop: Header=BB239_3 Depth=1
	s_wait_dscnt 0x0
	s_barrier_signal -1
	s_barrier_wait -1
	s_wait_xcnt 0x0
	s_and_saveexec_b32 s3, s1
	s_cbranch_execz .LBB239_2
; %bb.60:                               ;   in Loop: Header=BB239_3 Depth=1
	v_add_nc_u64_e32 v[0:1], s[28:29], v[14:15]
	v_mov_b32_e32 v2, v12
	s_mov_b32 s22, s42
.LBB239_61:                             ;   Parent Loop BB239_3 Depth=1
                                        ; =>  This Inner Loop Header: Depth=2
	ds_load_2addr_b64 v[4:7], v2 offset1:1
	v_add_nc_u32_e32 v2, 0x400, v2
	s_add_co_i32 s22, s22, -1
	s_delay_alu instid0(SALU_CYCLE_1)
	s_cmp_lg_u32 s22, 0
	s_wait_dscnt 0x0
	global_store_b128 v[0:1], v[4:7], off
	s_wait_xcnt 0x0
	v_add_nc_u64_e32 v[0:1], s[16:17], v[0:1]
	s_cbranch_scc1 .LBB239_61
	s_branch .LBB239_2
.LBB239_62:
	s_endpgm
	.section	.rodata,"a",@progbits
	.p2align	6, 0x0
	.amdhsa_kernel _ZL33rocblas_trsm_small_64_left_deviceI19rocblas_complex_numIdES1_PKS1_PS1_Li64EEv13rocblas_fill_18rocblas_operation_17rocblas_diagonal_iiT0_T1_lilT2_lili
		.amdhsa_group_segment_fixed_size 65536
		.amdhsa_private_segment_fixed_size 0
		.amdhsa_kernarg_size 368
		.amdhsa_user_sgpr_count 2
		.amdhsa_user_sgpr_dispatch_ptr 0
		.amdhsa_user_sgpr_queue_ptr 0
		.amdhsa_user_sgpr_kernarg_segment_ptr 1
		.amdhsa_user_sgpr_dispatch_id 0
		.amdhsa_user_sgpr_kernarg_preload_length 0
		.amdhsa_user_sgpr_kernarg_preload_offset 0
		.amdhsa_user_sgpr_private_segment_size 0
		.amdhsa_wavefront_size32 1
		.amdhsa_uses_dynamic_stack 0
		.amdhsa_enable_private_segment 0
		.amdhsa_system_sgpr_workgroup_id_x 1
		.amdhsa_system_sgpr_workgroup_id_y 0
		.amdhsa_system_sgpr_workgroup_id_z 1
		.amdhsa_system_sgpr_workgroup_info 0
		.amdhsa_system_vgpr_workitem_id 0
		.amdhsa_next_free_vgpr 257
		.amdhsa_next_free_sgpr 50
		.amdhsa_named_barrier_count 0
		.amdhsa_reserve_vcc 1
		.amdhsa_float_round_mode_32 0
		.amdhsa_float_round_mode_16_64 0
		.amdhsa_float_denorm_mode_32 3
		.amdhsa_float_denorm_mode_16_64 3
		.amdhsa_fp16_overflow 0
		.amdhsa_memory_ordered 1
		.amdhsa_forward_progress 1
		.amdhsa_inst_pref_size 30
		.amdhsa_round_robin_scheduling 0
		.amdhsa_exception_fp_ieee_invalid_op 0
		.amdhsa_exception_fp_denorm_src 0
		.amdhsa_exception_fp_ieee_div_zero 0
		.amdhsa_exception_fp_ieee_overflow 0
		.amdhsa_exception_fp_ieee_underflow 0
		.amdhsa_exception_fp_ieee_inexact 0
		.amdhsa_exception_int_div_zero 0
	.end_amdhsa_kernel
	.section	.text._ZL33rocblas_trsm_small_64_left_deviceI19rocblas_complex_numIdES1_PKS1_PS1_Li64EEv13rocblas_fill_18rocblas_operation_17rocblas_diagonal_iiT0_T1_lilT2_lili,"axG",@progbits,_ZL33rocblas_trsm_small_64_left_deviceI19rocblas_complex_numIdES1_PKS1_PS1_Li64EEv13rocblas_fill_18rocblas_operation_17rocblas_diagonal_iiT0_T1_lilT2_lili,comdat
.Lfunc_end239:
	.size	_ZL33rocblas_trsm_small_64_left_deviceI19rocblas_complex_numIdES1_PKS1_PS1_Li64EEv13rocblas_fill_18rocblas_operation_17rocblas_diagonal_iiT0_T1_lilT2_lili, .Lfunc_end239-_ZL33rocblas_trsm_small_64_left_deviceI19rocblas_complex_numIdES1_PKS1_PS1_Li64EEv13rocblas_fill_18rocblas_operation_17rocblas_diagonal_iiT0_T1_lilT2_lili
                                        ; -- End function
	.set _ZL33rocblas_trsm_small_64_left_deviceI19rocblas_complex_numIdES1_PKS1_PS1_Li64EEv13rocblas_fill_18rocblas_operation_17rocblas_diagonal_iiT0_T1_lilT2_lili.num_vgpr, 30
	.set _ZL33rocblas_trsm_small_64_left_deviceI19rocblas_complex_numIdES1_PKS1_PS1_Li64EEv13rocblas_fill_18rocblas_operation_17rocblas_diagonal_iiT0_T1_lilT2_lili.num_agpr, 0
	.set _ZL33rocblas_trsm_small_64_left_deviceI19rocblas_complex_numIdES1_PKS1_PS1_Li64EEv13rocblas_fill_18rocblas_operation_17rocblas_diagonal_iiT0_T1_lilT2_lili.numbered_sgpr, 50
	.set _ZL33rocblas_trsm_small_64_left_deviceI19rocblas_complex_numIdES1_PKS1_PS1_Li64EEv13rocblas_fill_18rocblas_operation_17rocblas_diagonal_iiT0_T1_lilT2_lili.num_named_barrier, 0
	.set _ZL33rocblas_trsm_small_64_left_deviceI19rocblas_complex_numIdES1_PKS1_PS1_Li64EEv13rocblas_fill_18rocblas_operation_17rocblas_diagonal_iiT0_T1_lilT2_lili.private_seg_size, 0
	.set _ZL33rocblas_trsm_small_64_left_deviceI19rocblas_complex_numIdES1_PKS1_PS1_Li64EEv13rocblas_fill_18rocblas_operation_17rocblas_diagonal_iiT0_T1_lilT2_lili.uses_vcc, 1
	.set _ZL33rocblas_trsm_small_64_left_deviceI19rocblas_complex_numIdES1_PKS1_PS1_Li64EEv13rocblas_fill_18rocblas_operation_17rocblas_diagonal_iiT0_T1_lilT2_lili.uses_flat_scratch, 0
	.set _ZL33rocblas_trsm_small_64_left_deviceI19rocblas_complex_numIdES1_PKS1_PS1_Li64EEv13rocblas_fill_18rocblas_operation_17rocblas_diagonal_iiT0_T1_lilT2_lili.has_dyn_sized_stack, 0
	.set _ZL33rocblas_trsm_small_64_left_deviceI19rocblas_complex_numIdES1_PKS1_PS1_Li64EEv13rocblas_fill_18rocblas_operation_17rocblas_diagonal_iiT0_T1_lilT2_lili.has_recursion, 0
	.set _ZL33rocblas_trsm_small_64_left_deviceI19rocblas_complex_numIdES1_PKS1_PS1_Li64EEv13rocblas_fill_18rocblas_operation_17rocblas_diagonal_iiT0_T1_lilT2_lili.has_indirect_call, 0
	.section	.AMDGPU.csdata,"",@progbits
; Kernel info:
; codeLenInByte = 3796
; TotalNumSgprs: 52
; NumVgprs: 30
; ScratchSize: 0
; MemoryBound: 0
; FloatMode: 240
; IeeeMode: 1
; LDSByteSize: 65536 bytes/workgroup (compile time only)
; SGPRBlocks: 0
; VGPRBlocks: 16
; NumSGPRsForWavesPerEU: 52
; NumVGPRsForWavesPerEU: 257
; NamedBarCnt: 0
; Occupancy: 3
; WaveLimiterHint : 0
; COMPUTE_PGM_RSRC2:SCRATCH_EN: 0
; COMPUTE_PGM_RSRC2:USER_SGPR: 2
; COMPUTE_PGM_RSRC2:TRAP_HANDLER: 0
; COMPUTE_PGM_RSRC2:TGID_X_EN: 1
; COMPUTE_PGM_RSRC2:TGID_Y_EN: 0
; COMPUTE_PGM_RSRC2:TGID_Z_EN: 1
; COMPUTE_PGM_RSRC2:TIDIG_COMP_CNT: 0
	.section	.text._ZL34rocblas_trsm_small_64_right_deviceI19rocblas_complex_numIdES1_PKS1_PS1_Li64EEv13rocblas_fill_18rocblas_operation_17rocblas_diagonal_iiT0_T1_lilT2_lili,"axG",@progbits,_ZL34rocblas_trsm_small_64_right_deviceI19rocblas_complex_numIdES1_PKS1_PS1_Li64EEv13rocblas_fill_18rocblas_operation_17rocblas_diagonal_iiT0_T1_lilT2_lili,comdat
	.globl	_ZL34rocblas_trsm_small_64_right_deviceI19rocblas_complex_numIdES1_PKS1_PS1_Li64EEv13rocblas_fill_18rocblas_operation_17rocblas_diagonal_iiT0_T1_lilT2_lili ; -- Begin function _ZL34rocblas_trsm_small_64_right_deviceI19rocblas_complex_numIdES1_PKS1_PS1_Li64EEv13rocblas_fill_18rocblas_operation_17rocblas_diagonal_iiT0_T1_lilT2_lili
	.p2align	8
	.type	_ZL34rocblas_trsm_small_64_right_deviceI19rocblas_complex_numIdES1_PKS1_PS1_Li64EEv13rocblas_fill_18rocblas_operation_17rocblas_diagonal_iiT0_T1_lilT2_lili,@function
_ZL34rocblas_trsm_small_64_right_deviceI19rocblas_complex_numIdES1_PKS1_PS1_Li64EEv13rocblas_fill_18rocblas_operation_17rocblas_diagonal_iiT0_T1_lilT2_lili: ; @_ZL34rocblas_trsm_small_64_right_deviceI19rocblas_complex_numIdES1_PKS1_PS1_Li64EEv13rocblas_fill_18rocblas_operation_17rocblas_diagonal_iiT0_T1_lilT2_lili
; %bb.0:
	s_load_b32 s33, s[0:1], 0x68
	s_bfe_u32 s2, ttmp6, 0x40014
	s_lshr_b32 s4, ttmp7, 16
	s_add_co_i32 s2, s2, 1
	s_bfe_u32 s5, ttmp6, 0x40008
	s_mul_i32 s2, s4, s2
	s_getreg_b32 s3, hwreg(HW_REG_IB_STS2, 6, 4)
	s_add_co_i32 s5, s5, s2
	s_cmp_eq_u32 s3, 0
	s_mov_b32 s23, 0
	s_cselect_b32 s2, s4, s5
	s_wait_kmcnt 0x0
	s_cmp_ge_u32 s2, s33
	s_cbranch_scc1 .LBB240_62
; %bb.1:
	s_clause 0x7
	s_load_b32 s24, s[0:1], 0x38
	s_load_b96 s[20:22], s[0:1], 0x50
	s_load_b256 s[4:11], s[0:1], 0x18
	s_load_b128 s[16:19], s[0:1], 0x0
	s_load_b32 s40, s[0:1], 0x10
	s_load_b32 s28, s[0:1], 0x70
	s_load_b64 s[26:27], s[0:1], 0x60
	s_load_b128 s[12:15], s[0:1], 0x40
	v_dual_mov_b32 v13, 0 :: v_dual_lshlrev_b32 v12, 4, v0
	s_wait_kmcnt 0x0
	s_ashr_i32 s25, s24, 31
	s_ashr_i32 s29, s22, 31
	s_lshl_b64 s[10:11], s[10:11], 4
	s_cmp_lg_u32 s16, 0x7a
	s_add_nc_u64 s[8:9], s[8:9], s[10:11]
	s_cselect_b32 s34, -1, 0
	s_cmp_eq_u32 s17, 0x71
	s_add_nc_u64 s[10:11], s[24:25], 1
	s_cselect_b32 s0, -1, 0
	s_bfe_u32 s30, ttmp6, 0x4000c
	s_min_i32 s1, s40, 64
	s_add_co_i32 s30, s30, 1
	s_and_b32 s31, ttmp6, 15
	s_mul_i32 s30, ttmp9, s30
	s_add_co_i32 s28, s28, -1
	s_add_co_i32 s41, s1, -1
	s_add_co_i32 s31, s31, s30
	s_cmp_eq_u32 s3, 0
	s_cselect_b32 s30, ttmp9, s31
	s_delay_alu instid0(SALU_CYCLE_1) | instskip(NEXT) | instid1(SALU_CYCLE_1)
	s_lshl_b32 s3, s30, 6
	s_sub_co_i32 s3, s19, s3
	s_cmp_ge_u32 s30, s28
	s_mov_b32 s28, s22
	s_cselect_b32 s3, s3, 64
	s_ashr_i32 s31, s30, 31
	v_cmp_gt_i32_e32 vcc_lo, s3, v0
	s_lshl_b64 s[30:31], s[30:31], 10
	s_cmp_lg_u32 s17, 0x6f
	v_lshl_or_b32 v0, s1, 10, v12
	s_cselect_b32 s17, -1, 0
	s_cmp_lg_u32 s16, 0x79
	s_cselect_b32 s16, -1, 0
	s_or_b32 s42, s34, s17
	s_or_b32 s43, s16, s17
	s_cmp_gt_i32 s40, 0
	v_cndmask_b32_e64 v18, 0, 1, s16
	s_cselect_b32 s19, -1, 0
	s_cmp_lg_u32 s18, 0x84
	v_cndmask_b32_e64 v19, 0, 1, s19
	s_cselect_b32 s44, -1, 0
	s_lshl_b64 s[16:17], s[20:21], 4
	v_add_nc_u32_e32 v20, 0xfffffc00, v0
	s_add_nc_u64 s[16:17], s[30:31], s[16:17]
	s_and_b32 s45, vcc_lo, s19
	s_add_nc_u64 s[14:15], s[14:15], s[16:17]
	s_lshl_b64 s[16:17], s[28:29], 4
	v_add_nc_u64_e32 v[14:15], s[14:15], v[12:13]
	s_lshl_b64 s[14:15], s[26:27], 4
	s_add_nc_u64 s[18:19], s[8:9], 8
	s_lshl_b64 s[20:21], s[12:13], 4
	s_lshl_b64 s[26:27], s[24:25], 4
	s_delay_alu instid0(VALU_DEP_1)
	v_add_nc_u64_e32 v[16:17], 8, v[14:15]
	s_branch .LBB240_3
.LBB240_2:                              ;   in Loop: Header=BB240_3 Depth=1
	s_or_b32 exec_lo, exec_lo, s3
	s_add_co_i32 s2, s2, 0x10000
	s_delay_alu instid0(SALU_CYCLE_1)
	s_cmp_lt_u32 s2, s33
	s_cbranch_scc0 .LBB240_62
.LBB240_3:                              ; =>This Loop Header: Depth=1
                                        ;     Child Loop BB240_5 Depth 2
                                        ;     Child Loop BB240_13 Depth 2
                                        ;       Child Loop BB240_14 Depth 3
                                        ;     Child Loop BB240_51 Depth 2
                                        ;       Child Loop BB240_53 Depth 3
                                        ;     Child Loop BB240_41 Depth 2
                                        ;       Child Loop BB240_43 Depth 3
                                        ;     Child Loop BB240_32 Depth 2
                                        ;       Child Loop BB240_33 Depth 3
                                        ;     Child Loop BB240_61 Depth 2
	s_mov_b32 s3, s23
	s_delay_alu instid0(SALU_CYCLE_1)
	s_mul_u64 s[28:29], s[14:15], s[2:3]
	s_and_saveexec_b32 s22, s45
	s_cbranch_execz .LBB240_6
; %bb.4:                                ;   in Loop: Header=BB240_3 Depth=1
	s_delay_alu instid0(VALU_DEP_1)
	v_add_nc_u64_e32 v[0:1], s[28:29], v[16:17]
	v_mov_b32_e32 v2, v12
	s_mov_b32 s30, s40
.LBB240_5:                              ;   Parent Loop BB240_3 Depth=1
                                        ; =>  This Inner Loop Header: Depth=2
	global_load_b128 v[4:7], v[0:1], off offset:-8
	s_wait_xcnt 0x0
	v_add_nc_u64_e32 v[0:1], s[16:17], v[0:1]
	s_add_co_i32 s30, s30, -1
	s_delay_alu instid0(SALU_CYCLE_1) | instskip(SKIP_3) | instid1(VALU_DEP_2)
	s_cmp_lg_u32 s30, 0
	s_wait_loadcnt 0x0
	v_mul_f64_e32 v[10:11], s[6:7], v[6:7]
	v_mul_f64_e32 v[8:9], s[4:5], v[6:7]
	v_fma_f64 v[6:7], s[4:5], v[4:5], -v[10:11]
	s_delay_alu instid0(VALU_DEP_2)
	v_fmac_f64_e32 v[8:9], s[6:7], v[4:5]
	ds_store_b128 v2, v[6:9]
	v_add_nc_u32_e32 v2, 0x400, v2
	s_cbranch_scc1 .LBB240_5
.LBB240_6:                              ;   in Loop: Header=BB240_3 Depth=1
	s_or_b32 exec_lo, exec_lo, s22
	s_mul_u64 s[30:31], s[12:13], s[2:3]
	s_mul_u64 s[34:35], s[20:21], s[2:3]
	s_lshl_b64 s[36:37], s[30:31], 4
	s_add_nc_u64 s[30:31], s[18:19], s[34:35]
	s_add_nc_u64 s[34:35], s[8:9], s[36:37]
	s_and_b32 vcc_lo, exec_lo, s43
	s_mov_b32 s3, -1
	s_wait_dscnt 0x0
	s_barrier_signal -1
	s_barrier_wait -1
	s_cbranch_vccz .LBB240_27
; %bb.7:                                ;   in Loop: Header=BB240_3 Depth=1
	s_and_b32 vcc_lo, exec_lo, s42
	s_cbranch_vccz .LBB240_24
; %bb.8:                                ;   in Loop: Header=BB240_3 Depth=1
	v_cmp_ne_u32_e32 vcc_lo, 1, v18
	s_cbranch_vccnz .LBB240_21
; %bb.9:                                ;   in Loop: Header=BB240_3 Depth=1
	v_cmp_ne_u32_e32 vcc_lo, 1, v19
	s_cbranch_vccnz .LBB240_20
; %bb.10:                               ;   in Loop: Header=BB240_3 Depth=1
	s_mov_b32 s22, 0
	s_mov_b64 s[36:37], s[30:31]
	s_branch .LBB240_13
.LBB240_11:                             ;   in Loop: Header=BB240_13 Depth=2
	ds_store_b128 v21, v[6:9]
.LBB240_12:                             ;   in Loop: Header=BB240_13 Depth=2
	s_add_co_i32 s22, s22, 1
	s_add_nc_u64 s[36:37], s[36:37], 16
	s_cmp_lg_u32 s22, s1
	s_cbranch_scc0 .LBB240_20
.LBB240_13:                             ;   Parent Loop BB240_3 Depth=1
                                        ; =>  This Loop Header: Depth=2
                                        ;       Child Loop BB240_14 Depth 3
	s_lshl_b32 s3, s22, 10
	s_cmp_eq_u32 s22, 0
	v_dual_mov_b32 v4, v12 :: v_dual_bitop2_b32 v0, s3, v12 bitop3:0x54
	s_wait_xcnt 0x0
	s_mov_b64 s[38:39], s[36:37]
	s_mov_b32 s46, s22
	ds_load_b128 v[0:3], v0
	s_cbranch_scc1 .LBB240_15
.LBB240_14:                             ;   Parent Loop BB240_3 Depth=1
                                        ;     Parent Loop BB240_13 Depth=2
                                        ; =>    This Inner Loop Header: Depth=3
	global_load_b128 v[6:9], v13, s[38:39] offset:-8
	ds_load_b128 v[22:25], v4
	v_add_nc_u32_e32 v4, 0x400, v4
	s_add_co_i32 s46, s46, -1
	s_wait_xcnt 0x0
	s_add_nc_u64 s[38:39], s[38:39], s[26:27]
	s_cmp_eq_u32 s46, 0
	s_wait_loadcnt 0x0
	v_xor_b32_e32 v5, 0x80000000, v9
	s_wait_dscnt 0x0
	v_mul_f64_e32 v[10:11], v[6:7], v[24:25]
	s_delay_alu instid0(VALU_DEP_2) | instskip(NEXT) | instid1(VALU_DEP_1)
	v_cndmask_b32_e64 v9, v9, v5, s0
	v_mul_f64_e32 v[24:25], v[8:9], v[24:25]
	s_delay_alu instid0(VALU_DEP_1) | instskip(NEXT) | instid1(VALU_DEP_4)
	v_fma_f64 v[6:7], v[6:7], v[22:23], -v[24:25]
	v_fmac_f64_e32 v[10:11], v[8:9], v[22:23]
	s_delay_alu instid0(VALU_DEP_2) | instskip(NEXT) | instid1(VALU_DEP_2)
	v_add_f64_e64 v[0:1], v[0:1], -v[6:7]
	v_add_f64_e64 v[2:3], v[2:3], -v[10:11]
	s_cbranch_scc0 .LBB240_14
.LBB240_15:                             ;   in Loop: Header=BB240_13 Depth=2
	v_add_nc_u32_e32 v21, s3, v12
	s_and_b32 vcc_lo, exec_lo, s44
	s_wait_dscnt 0x0
	ds_store_b128 v21, v[0:3]
	s_cbranch_vccz .LBB240_12
; %bb.16:                               ;   in Loop: Header=BB240_13 Depth=2
	s_mul_u64 s[38:39], s[10:11], s[22:23]
	s_delay_alu instid0(SALU_CYCLE_1) | instskip(NEXT) | instid1(SALU_CYCLE_1)
	s_lshl_b64 s[38:39], s[38:39], 4
	s_add_nc_u64 s[38:39], s[34:35], s[38:39]
	global_load_b128 v[4:7], v13, s[38:39]
	s_wait_loadcnt 0x0
	v_cmp_ngt_f64_e64 s3, |v[4:5]|, |v[6:7]|
	v_xor_b32_e32 v8, 0x80000000, v7
	s_delay_alu instid0(VALU_DEP_1)
	v_dual_mov_b32 v10, v6 :: v_dual_cndmask_b32 v11, v7, v8, s0
                                        ; implicit-def: $vgpr8_vgpr9
	s_and_b32 vcc_lo, exec_lo, s3
	s_mov_b32 s3, -1
	s_cbranch_vccz .LBB240_18
; %bb.17:                               ;   in Loop: Header=BB240_13 Depth=2
	s_delay_alu instid0(VALU_DEP_1) | instskip(SKIP_4) | instid1(TRANS32_DEP_1)
	v_div_scale_f64 v[6:7], null, v[10:11], v[10:11], v[4:5]
	v_div_scale_f64 v[24:25], vcc_lo, v[4:5], v[10:11], v[4:5]
	s_mov_b32 s3, 0
	v_rcp_f64_e32 v[8:9], v[6:7]
	v_nop
	v_fma_f64 v[22:23], -v[6:7], v[8:9], 1.0
	s_delay_alu instid0(VALU_DEP_1) | instskip(NEXT) | instid1(VALU_DEP_1)
	v_fmac_f64_e32 v[8:9], v[8:9], v[22:23]
	v_fma_f64 v[22:23], -v[6:7], v[8:9], 1.0
	s_delay_alu instid0(VALU_DEP_1) | instskip(NEXT) | instid1(VALU_DEP_1)
	v_fmac_f64_e32 v[8:9], v[8:9], v[22:23]
	v_mul_f64_e32 v[22:23], v[24:25], v[8:9]
	s_delay_alu instid0(VALU_DEP_1) | instskip(NEXT) | instid1(VALU_DEP_1)
	v_fma_f64 v[6:7], -v[6:7], v[22:23], v[24:25]
	v_div_fmas_f64 v[6:7], v[6:7], v[8:9], v[22:23]
	s_delay_alu instid0(VALU_DEP_1) | instskip(NEXT) | instid1(VALU_DEP_1)
	v_div_fixup_f64 v[6:7], v[6:7], v[10:11], v[4:5]
	v_fma_f64 v[8:9], v[4:5], v[6:7], v[10:11]
	s_delay_alu instid0(VALU_DEP_1) | instskip(SKIP_1) | instid1(VALU_DEP_2)
	v_div_scale_f64 v[22:23], null, v[8:9], v[8:9], 1.0
	v_div_scale_f64 v[28:29], vcc_lo, 1.0, v[8:9], 1.0
	v_rcp_f64_e32 v[24:25], v[22:23]
	v_nop
	s_delay_alu instid0(TRANS32_DEP_1) | instskip(NEXT) | instid1(VALU_DEP_1)
	v_fma_f64 v[26:27], -v[22:23], v[24:25], 1.0
	v_fmac_f64_e32 v[24:25], v[24:25], v[26:27]
	s_delay_alu instid0(VALU_DEP_1) | instskip(NEXT) | instid1(VALU_DEP_1)
	v_fma_f64 v[26:27], -v[22:23], v[24:25], 1.0
	v_fmac_f64_e32 v[24:25], v[24:25], v[26:27]
	s_delay_alu instid0(VALU_DEP_1) | instskip(NEXT) | instid1(VALU_DEP_1)
	v_mul_f64_e32 v[26:27], v[28:29], v[24:25]
	v_fma_f64 v[22:23], -v[22:23], v[26:27], v[28:29]
	s_delay_alu instid0(VALU_DEP_1) | instskip(SKIP_1) | instid1(VALU_DEP_2)
	v_div_fmas_f64 v[22:23], v[22:23], v[24:25], v[26:27]
	v_fma_f64 v[24:25], v[0:1], v[6:7], v[2:3]
	v_div_fixup_f64 v[8:9], v[22:23], v[8:9], 1.0
	v_fma_f64 v[22:23], v[2:3], v[6:7], -v[0:1]
	s_delay_alu instid0(VALU_DEP_2) | instskip(NEXT) | instid1(VALU_DEP_2)
	v_mul_f64_e32 v[6:7], v[24:25], v[8:9]
	v_mul_f64_e32 v[8:9], v[22:23], v[8:9]
.LBB240_18:                             ;   in Loop: Header=BB240_13 Depth=2
	s_and_not1_b32 vcc_lo, exec_lo, s3
	s_cbranch_vccnz .LBB240_11
; %bb.19:                               ;   in Loop: Header=BB240_13 Depth=2
	v_div_scale_f64 v[6:7], null, v[4:5], v[4:5], v[10:11]
	v_div_scale_f64 v[24:25], vcc_lo, v[10:11], v[4:5], v[10:11]
	s_delay_alu instid0(VALU_DEP_2) | instskip(SKIP_1) | instid1(TRANS32_DEP_1)
	v_rcp_f64_e32 v[8:9], v[6:7]
	v_nop
	v_fma_f64 v[22:23], -v[6:7], v[8:9], 1.0
	s_delay_alu instid0(VALU_DEP_1) | instskip(NEXT) | instid1(VALU_DEP_1)
	v_fmac_f64_e32 v[8:9], v[8:9], v[22:23]
	v_fma_f64 v[22:23], -v[6:7], v[8:9], 1.0
	s_delay_alu instid0(VALU_DEP_1) | instskip(NEXT) | instid1(VALU_DEP_1)
	v_fmac_f64_e32 v[8:9], v[8:9], v[22:23]
	v_mul_f64_e32 v[22:23], v[24:25], v[8:9]
	s_delay_alu instid0(VALU_DEP_1) | instskip(NEXT) | instid1(VALU_DEP_1)
	v_fma_f64 v[6:7], -v[6:7], v[22:23], v[24:25]
	v_div_fmas_f64 v[6:7], v[6:7], v[8:9], v[22:23]
	s_delay_alu instid0(VALU_DEP_1) | instskip(NEXT) | instid1(VALU_DEP_1)
	v_div_fixup_f64 v[6:7], v[6:7], v[4:5], v[10:11]
	v_fmac_f64_e32 v[4:5], v[10:11], v[6:7]
	s_delay_alu instid0(VALU_DEP_1) | instskip(SKIP_1) | instid1(VALU_DEP_2)
	v_div_scale_f64 v[8:9], null, v[4:5], v[4:5], 1.0
	v_div_scale_f64 v[24:25], vcc_lo, 1.0, v[4:5], 1.0
	v_rcp_f64_e32 v[10:11], v[8:9]
	v_nop
	s_delay_alu instid0(TRANS32_DEP_1) | instskip(NEXT) | instid1(VALU_DEP_1)
	v_fma_f64 v[22:23], -v[8:9], v[10:11], 1.0
	v_fmac_f64_e32 v[10:11], v[10:11], v[22:23]
	s_delay_alu instid0(VALU_DEP_1) | instskip(NEXT) | instid1(VALU_DEP_1)
	v_fma_f64 v[22:23], -v[8:9], v[10:11], 1.0
	v_fmac_f64_e32 v[10:11], v[10:11], v[22:23]
	s_delay_alu instid0(VALU_DEP_1) | instskip(NEXT) | instid1(VALU_DEP_1)
	v_mul_f64_e32 v[22:23], v[24:25], v[10:11]
	v_fma_f64 v[8:9], -v[8:9], v[22:23], v[24:25]
	s_delay_alu instid0(VALU_DEP_1) | instskip(SKIP_2) | instid1(VALU_DEP_3)
	v_div_fmas_f64 v[8:9], v[8:9], v[10:11], v[22:23]
	v_fma_f64 v[10:11], v[2:3], v[6:7], v[0:1]
	v_fma_f64 v[0:1], -v[0:1], v[6:7], v[2:3]
	v_div_fixup_f64 v[4:5], v[8:9], v[4:5], 1.0
	s_delay_alu instid0(VALU_DEP_1) | instskip(NEXT) | instid1(VALU_DEP_3)
	v_mul_f64_e32 v[6:7], v[10:11], v[4:5]
	v_mul_f64_e32 v[8:9], v[0:1], v[4:5]
	s_branch .LBB240_11
.LBB240_20:                             ;   in Loop: Header=BB240_3 Depth=1
	s_mov_b32 s3, 0
.LBB240_21:                             ;   in Loop: Header=BB240_3 Depth=1
	s_delay_alu instid0(SALU_CYCLE_1)
	s_and_not1_b32 vcc_lo, exec_lo, s3
	s_cbranch_vccnz .LBB240_23
; %bb.22:                               ;   in Loop: Header=BB240_3 Depth=1
	v_cmp_ne_u32_e32 vcc_lo, 1, v19
	s_mov_b32 s36, s41
	s_cbranch_vccz .LBB240_51
.LBB240_23:                             ;   in Loop: Header=BB240_3 Depth=1
	s_mov_b32 s3, 0
.LBB240_24:                             ;   in Loop: Header=BB240_3 Depth=1
	s_delay_alu instid0(SALU_CYCLE_1)
	s_and_not1_b32 vcc_lo, exec_lo, s3
	s_cbranch_vccnz .LBB240_26
; %bb.25:                               ;   in Loop: Header=BB240_3 Depth=1
	v_cmp_ne_u32_e32 vcc_lo, 1, v19
	s_mov_b32 s22, s41
	s_cbranch_vccz .LBB240_41
.LBB240_26:                             ;   in Loop: Header=BB240_3 Depth=1
	s_mov_b32 s3, 0
.LBB240_27:                             ;   in Loop: Header=BB240_3 Depth=1
	s_delay_alu instid0(SALU_CYCLE_1)
	s_and_not1_b32 vcc_lo, exec_lo, s3
	s_cbranch_vccnz .LBB240_59
; %bb.28:                               ;   in Loop: Header=BB240_3 Depth=1
	v_cmp_ne_u32_e32 vcc_lo, 1, v19
	s_cbranch_vccnz .LBB240_59
; %bb.29:                               ;   in Loop: Header=BB240_3 Depth=1
	s_mov_b32 s22, 0
	s_branch .LBB240_32
.LBB240_30:                             ;   in Loop: Header=BB240_32 Depth=2
	ds_store_b128 v21, v[8:11]
.LBB240_31:                             ;   in Loop: Header=BB240_32 Depth=2
	s_add_co_i32 s22, s22, 1
	s_add_nc_u64 s[30:31], s[30:31], s[26:27]
	s_cmp_eq_u32 s22, s1
	s_cbranch_scc1 .LBB240_59
.LBB240_32:                             ;   Parent Loop BB240_3 Depth=1
                                        ; =>  This Loop Header: Depth=2
                                        ;       Child Loop BB240_33 Depth 3
	s_lshl_b32 s3, s22, 10
	s_cmp_eq_u32 s22, 0
	v_dual_mov_b32 v4, v12 :: v_dual_bitop2_b32 v0, s3, v12 bitop3:0x54
	s_wait_xcnt 0x0
	s_mov_b64 s[36:37], s[30:31]
	s_mov_b32 s38, s22
	ds_load_b128 v[0:3], v0
	s_cbranch_scc1 .LBB240_34
.LBB240_33:                             ;   Parent Loop BB240_3 Depth=1
                                        ;     Parent Loop BB240_32 Depth=2
                                        ; =>    This Inner Loop Header: Depth=3
	global_load_b128 v[6:9], v13, s[36:37] offset:-8
	ds_load_b128 v[22:25], v4
	v_add_nc_u32_e32 v4, 0x400, v4
	s_add_co_i32 s38, s38, -1
	s_wait_xcnt 0x0
	s_add_nc_u64 s[36:37], s[36:37], 16
	s_cmp_eq_u32 s38, 0
	s_wait_loadcnt_dscnt 0x0
	v_mul_f64_e32 v[10:11], v[8:9], v[24:25]
	v_mul_f64_e32 v[24:25], v[6:7], v[24:25]
	s_delay_alu instid0(VALU_DEP_2) | instskip(NEXT) | instid1(VALU_DEP_2)
	v_fma_f64 v[6:7], v[6:7], v[22:23], -v[10:11]
	v_fmac_f64_e32 v[24:25], v[8:9], v[22:23]
	s_delay_alu instid0(VALU_DEP_2) | instskip(NEXT) | instid1(VALU_DEP_2)
	v_add_f64_e64 v[0:1], v[0:1], -v[6:7]
	v_add_f64_e64 v[2:3], v[2:3], -v[24:25]
	s_cbranch_scc0 .LBB240_33
.LBB240_34:                             ;   in Loop: Header=BB240_32 Depth=2
	v_add_nc_u32_e32 v21, s3, v12
	s_and_b32 vcc_lo, exec_lo, s44
	s_wait_dscnt 0x0
	ds_store_b128 v21, v[0:3]
	s_cbranch_vccz .LBB240_31
; %bb.35:                               ;   in Loop: Header=BB240_32 Depth=2
	s_mul_u64 s[36:37], s[10:11], s[22:23]
                                        ; implicit-def: $vgpr10_vgpr11
	s_delay_alu instid0(SALU_CYCLE_1) | instskip(NEXT) | instid1(SALU_CYCLE_1)
	s_lshl_b64 s[36:37], s[36:37], 4
	s_add_nc_u64 s[36:37], s[34:35], s[36:37]
	global_load_b128 v[4:7], v13, s[36:37]
	s_wait_loadcnt 0x0
	v_cmp_ngt_f64_e64 s3, |v[4:5]|, |v[6:7]|
	s_and_b32 vcc_lo, exec_lo, s3
	s_mov_b32 s3, -1
	s_cbranch_vccz .LBB240_37
; %bb.36:                               ;   in Loop: Header=BB240_32 Depth=2
	v_div_scale_f64 v[8:9], null, v[6:7], v[6:7], v[4:5]
	v_div_scale_f64 v[24:25], vcc_lo, v[4:5], v[6:7], v[4:5]
	s_mov_b32 s3, 0
	v_rcp_f64_e32 v[10:11], v[8:9]
	v_nop
	s_delay_alu instid0(TRANS32_DEP_1) | instskip(NEXT) | instid1(VALU_DEP_1)
	v_fma_f64 v[22:23], -v[8:9], v[10:11], 1.0
	v_fmac_f64_e32 v[10:11], v[10:11], v[22:23]
	s_delay_alu instid0(VALU_DEP_1) | instskip(NEXT) | instid1(VALU_DEP_1)
	v_fma_f64 v[22:23], -v[8:9], v[10:11], 1.0
	v_fmac_f64_e32 v[10:11], v[10:11], v[22:23]
	s_delay_alu instid0(VALU_DEP_1) | instskip(NEXT) | instid1(VALU_DEP_1)
	v_mul_f64_e32 v[22:23], v[24:25], v[10:11]
	v_fma_f64 v[8:9], -v[8:9], v[22:23], v[24:25]
	s_delay_alu instid0(VALU_DEP_1) | instskip(NEXT) | instid1(VALU_DEP_1)
	v_div_fmas_f64 v[8:9], v[8:9], v[10:11], v[22:23]
	v_div_fixup_f64 v[8:9], v[8:9], v[6:7], v[4:5]
	s_delay_alu instid0(VALU_DEP_1) | instskip(NEXT) | instid1(VALU_DEP_1)
	v_fma_f64 v[10:11], v[4:5], v[8:9], v[6:7]
	v_div_scale_f64 v[22:23], null, v[10:11], v[10:11], 1.0
	v_div_scale_f64 v[28:29], vcc_lo, 1.0, v[10:11], 1.0
	s_delay_alu instid0(VALU_DEP_2) | instskip(SKIP_1) | instid1(TRANS32_DEP_1)
	v_rcp_f64_e32 v[24:25], v[22:23]
	v_nop
	v_fma_f64 v[26:27], -v[22:23], v[24:25], 1.0
	s_delay_alu instid0(VALU_DEP_1) | instskip(NEXT) | instid1(VALU_DEP_1)
	v_fmac_f64_e32 v[24:25], v[24:25], v[26:27]
	v_fma_f64 v[26:27], -v[22:23], v[24:25], 1.0
	s_delay_alu instid0(VALU_DEP_1) | instskip(NEXT) | instid1(VALU_DEP_1)
	v_fmac_f64_e32 v[24:25], v[24:25], v[26:27]
	v_mul_f64_e32 v[26:27], v[28:29], v[24:25]
	s_delay_alu instid0(VALU_DEP_1) | instskip(NEXT) | instid1(VALU_DEP_1)
	v_fma_f64 v[22:23], -v[22:23], v[26:27], v[28:29]
	v_div_fmas_f64 v[22:23], v[22:23], v[24:25], v[26:27]
	v_fma_f64 v[24:25], v[0:1], v[8:9], v[2:3]
	s_delay_alu instid0(VALU_DEP_2) | instskip(SKIP_1) | instid1(VALU_DEP_2)
	v_div_fixup_f64 v[10:11], v[22:23], v[10:11], 1.0
	v_fma_f64 v[22:23], v[2:3], v[8:9], -v[0:1]
	v_mul_f64_e32 v[8:9], v[24:25], v[10:11]
	s_delay_alu instid0(VALU_DEP_2)
	v_mul_f64_e32 v[10:11], v[22:23], v[10:11]
.LBB240_37:                             ;   in Loop: Header=BB240_32 Depth=2
	s_and_not1_b32 vcc_lo, exec_lo, s3
	s_cbranch_vccnz .LBB240_30
; %bb.38:                               ;   in Loop: Header=BB240_32 Depth=2
	v_div_scale_f64 v[8:9], null, v[4:5], v[4:5], v[6:7]
	v_div_scale_f64 v[24:25], vcc_lo, v[6:7], v[4:5], v[6:7]
	s_delay_alu instid0(VALU_DEP_2) | instskip(SKIP_1) | instid1(TRANS32_DEP_1)
	v_rcp_f64_e32 v[10:11], v[8:9]
	v_nop
	v_fma_f64 v[22:23], -v[8:9], v[10:11], 1.0
	s_delay_alu instid0(VALU_DEP_1) | instskip(NEXT) | instid1(VALU_DEP_1)
	v_fmac_f64_e32 v[10:11], v[10:11], v[22:23]
	v_fma_f64 v[22:23], -v[8:9], v[10:11], 1.0
	s_delay_alu instid0(VALU_DEP_1) | instskip(NEXT) | instid1(VALU_DEP_1)
	v_fmac_f64_e32 v[10:11], v[10:11], v[22:23]
	v_mul_f64_e32 v[22:23], v[24:25], v[10:11]
	s_delay_alu instid0(VALU_DEP_1) | instskip(NEXT) | instid1(VALU_DEP_1)
	v_fma_f64 v[8:9], -v[8:9], v[22:23], v[24:25]
	v_div_fmas_f64 v[8:9], v[8:9], v[10:11], v[22:23]
	s_delay_alu instid0(VALU_DEP_1) | instskip(NEXT) | instid1(VALU_DEP_1)
	v_div_fixup_f64 v[8:9], v[8:9], v[4:5], v[6:7]
	v_fmac_f64_e32 v[4:5], v[6:7], v[8:9]
	s_delay_alu instid0(VALU_DEP_1) | instskip(SKIP_1) | instid1(VALU_DEP_2)
	v_div_scale_f64 v[6:7], null, v[4:5], v[4:5], 1.0
	v_div_scale_f64 v[24:25], vcc_lo, 1.0, v[4:5], 1.0
	v_rcp_f64_e32 v[10:11], v[6:7]
	v_nop
	s_delay_alu instid0(TRANS32_DEP_1) | instskip(NEXT) | instid1(VALU_DEP_1)
	v_fma_f64 v[22:23], -v[6:7], v[10:11], 1.0
	v_fmac_f64_e32 v[10:11], v[10:11], v[22:23]
	s_delay_alu instid0(VALU_DEP_1) | instskip(NEXT) | instid1(VALU_DEP_1)
	v_fma_f64 v[22:23], -v[6:7], v[10:11], 1.0
	v_fmac_f64_e32 v[10:11], v[10:11], v[22:23]
	s_delay_alu instid0(VALU_DEP_1) | instskip(NEXT) | instid1(VALU_DEP_1)
	v_mul_f64_e32 v[22:23], v[24:25], v[10:11]
	v_fma_f64 v[6:7], -v[6:7], v[22:23], v[24:25]
	s_delay_alu instid0(VALU_DEP_1) | instskip(SKIP_2) | instid1(VALU_DEP_3)
	v_div_fmas_f64 v[6:7], v[6:7], v[10:11], v[22:23]
	v_fma_f64 v[10:11], v[2:3], v[8:9], v[0:1]
	v_fma_f64 v[0:1], -v[0:1], v[8:9], v[2:3]
	v_div_fixup_f64 v[4:5], v[6:7], v[4:5], 1.0
	s_delay_alu instid0(VALU_DEP_1) | instskip(NEXT) | instid1(VALU_DEP_3)
	v_mul_f64_e32 v[8:9], v[10:11], v[4:5]
	v_mul_f64_e32 v[10:11], v[0:1], v[4:5]
	s_branch .LBB240_30
.LBB240_39:                             ;   in Loop: Header=BB240_41 Depth=2
	ds_store_b128 v21, v[8:11]
.LBB240_40:                             ;   in Loop: Header=BB240_41 Depth=2
	s_add_co_i32 s3, s22, -1
	s_cmp_lt_i32 s22, 1
	s_mov_b32 s22, s3
	s_cbranch_scc1 .LBB240_26
.LBB240_41:                             ;   Parent Loop BB240_3 Depth=1
                                        ; =>  This Loop Header: Depth=2
                                        ;       Child Loop BB240_43 Depth 3
	s_lshl_b32 s3, s22, 10
	s_cmp_le_i32 s41, s22
	v_or_b32_e32 v0, s3, v12
	ds_load_b128 v[0:3], v0
	s_cbranch_scc1 .LBB240_44
; %bb.42:                               ;   in Loop: Header=BB240_41 Depth=2
	s_wait_xcnt 0x0
	s_mul_u64 s[36:37], s[22:23], s[24:25]
	v_mov_b32_e32 v4, v20
	s_lshl_b64 s[36:37], s[36:37], 4
	s_wait_xcnt 0x0
	s_mov_b32 s38, s41
	s_add_nc_u64 s[36:37], s[34:35], s[36:37]
.LBB240_43:                             ;   Parent Loop BB240_3 Depth=1
                                        ;     Parent Loop BB240_41 Depth=2
                                        ; =>    This Inner Loop Header: Depth=3
	ds_load_b128 v[22:25], v4
	s_wait_xcnt 0x0
	v_dual_mov_b32 v5, s38 :: v_dual_add_nc_u32 v4, 0xfffffc00, v4
	s_add_co_i32 s38, s38, -1
	s_delay_alu instid0(SALU_CYCLE_1) | instskip(SKIP_4) | instid1(VALU_DEP_2)
	s_cmp_le_i32 s38, s22
	global_load_b128 v[6:9], v5, s[36:37] scale_offset
	s_wait_loadcnt_dscnt 0x0
	v_mul_f64_e32 v[10:11], v[8:9], v[24:25]
	v_mul_f64_e32 v[24:25], v[6:7], v[24:25]
	v_fma_f64 v[6:7], v[6:7], v[22:23], -v[10:11]
	s_delay_alu instid0(VALU_DEP_2) | instskip(NEXT) | instid1(VALU_DEP_2)
	v_fmac_f64_e32 v[24:25], v[8:9], v[22:23]
	v_add_f64_e64 v[0:1], v[0:1], -v[6:7]
	s_delay_alu instid0(VALU_DEP_2)
	v_add_f64_e64 v[2:3], v[2:3], -v[24:25]
	s_cbranch_scc0 .LBB240_43
.LBB240_44:                             ;   in Loop: Header=BB240_41 Depth=2
	v_add_nc_u32_e32 v21, s3, v12
	s_and_b32 vcc_lo, exec_lo, s44
	s_wait_dscnt 0x0
	ds_store_b128 v21, v[0:3]
	s_cbranch_vccz .LBB240_40
; %bb.45:                               ;   in Loop: Header=BB240_41 Depth=2
	s_wait_xcnt 0x0
	s_mul_u64 s[36:37], s[10:11], s[22:23]
                                        ; implicit-def: $vgpr10_vgpr11
	s_delay_alu instid0(SALU_CYCLE_1) | instskip(NEXT) | instid1(SALU_CYCLE_1)
	s_lshl_b64 s[36:37], s[36:37], 4
	s_add_nc_u64 s[36:37], s[34:35], s[36:37]
	global_load_b128 v[4:7], v13, s[36:37]
	s_wait_loadcnt 0x0
	v_cmp_ngt_f64_e64 s3, |v[4:5]|, |v[6:7]|
	s_and_b32 vcc_lo, exec_lo, s3
	s_mov_b32 s3, -1
	s_cbranch_vccz .LBB240_47
; %bb.46:                               ;   in Loop: Header=BB240_41 Depth=2
	v_div_scale_f64 v[8:9], null, v[6:7], v[6:7], v[4:5]
	v_div_scale_f64 v[24:25], vcc_lo, v[4:5], v[6:7], v[4:5]
	s_mov_b32 s3, 0
	v_rcp_f64_e32 v[10:11], v[8:9]
	v_nop
	s_delay_alu instid0(TRANS32_DEP_1) | instskip(NEXT) | instid1(VALU_DEP_1)
	v_fma_f64 v[22:23], -v[8:9], v[10:11], 1.0
	v_fmac_f64_e32 v[10:11], v[10:11], v[22:23]
	s_delay_alu instid0(VALU_DEP_1) | instskip(NEXT) | instid1(VALU_DEP_1)
	v_fma_f64 v[22:23], -v[8:9], v[10:11], 1.0
	v_fmac_f64_e32 v[10:11], v[10:11], v[22:23]
	s_delay_alu instid0(VALU_DEP_1) | instskip(NEXT) | instid1(VALU_DEP_1)
	v_mul_f64_e32 v[22:23], v[24:25], v[10:11]
	v_fma_f64 v[8:9], -v[8:9], v[22:23], v[24:25]
	s_delay_alu instid0(VALU_DEP_1) | instskip(NEXT) | instid1(VALU_DEP_1)
	v_div_fmas_f64 v[8:9], v[8:9], v[10:11], v[22:23]
	v_div_fixup_f64 v[8:9], v[8:9], v[6:7], v[4:5]
	s_delay_alu instid0(VALU_DEP_1) | instskip(NEXT) | instid1(VALU_DEP_1)
	v_fma_f64 v[10:11], v[4:5], v[8:9], v[6:7]
	v_div_scale_f64 v[22:23], null, v[10:11], v[10:11], 1.0
	v_div_scale_f64 v[28:29], vcc_lo, 1.0, v[10:11], 1.0
	s_delay_alu instid0(VALU_DEP_2) | instskip(SKIP_1) | instid1(TRANS32_DEP_1)
	v_rcp_f64_e32 v[24:25], v[22:23]
	v_nop
	v_fma_f64 v[26:27], -v[22:23], v[24:25], 1.0
	s_delay_alu instid0(VALU_DEP_1) | instskip(NEXT) | instid1(VALU_DEP_1)
	v_fmac_f64_e32 v[24:25], v[24:25], v[26:27]
	v_fma_f64 v[26:27], -v[22:23], v[24:25], 1.0
	s_delay_alu instid0(VALU_DEP_1) | instskip(NEXT) | instid1(VALU_DEP_1)
	v_fmac_f64_e32 v[24:25], v[24:25], v[26:27]
	v_mul_f64_e32 v[26:27], v[28:29], v[24:25]
	s_delay_alu instid0(VALU_DEP_1) | instskip(NEXT) | instid1(VALU_DEP_1)
	v_fma_f64 v[22:23], -v[22:23], v[26:27], v[28:29]
	v_div_fmas_f64 v[22:23], v[22:23], v[24:25], v[26:27]
	v_fma_f64 v[24:25], v[0:1], v[8:9], v[2:3]
	s_delay_alu instid0(VALU_DEP_2) | instskip(SKIP_1) | instid1(VALU_DEP_2)
	v_div_fixup_f64 v[10:11], v[22:23], v[10:11], 1.0
	v_fma_f64 v[22:23], v[2:3], v[8:9], -v[0:1]
	v_mul_f64_e32 v[8:9], v[24:25], v[10:11]
	s_delay_alu instid0(VALU_DEP_2)
	v_mul_f64_e32 v[10:11], v[22:23], v[10:11]
.LBB240_47:                             ;   in Loop: Header=BB240_41 Depth=2
	s_and_not1_b32 vcc_lo, exec_lo, s3
	s_cbranch_vccnz .LBB240_39
; %bb.48:                               ;   in Loop: Header=BB240_41 Depth=2
	v_div_scale_f64 v[8:9], null, v[4:5], v[4:5], v[6:7]
	v_div_scale_f64 v[24:25], vcc_lo, v[6:7], v[4:5], v[6:7]
	s_delay_alu instid0(VALU_DEP_2) | instskip(SKIP_1) | instid1(TRANS32_DEP_1)
	v_rcp_f64_e32 v[10:11], v[8:9]
	v_nop
	v_fma_f64 v[22:23], -v[8:9], v[10:11], 1.0
	s_delay_alu instid0(VALU_DEP_1) | instskip(NEXT) | instid1(VALU_DEP_1)
	v_fmac_f64_e32 v[10:11], v[10:11], v[22:23]
	v_fma_f64 v[22:23], -v[8:9], v[10:11], 1.0
	s_delay_alu instid0(VALU_DEP_1) | instskip(NEXT) | instid1(VALU_DEP_1)
	v_fmac_f64_e32 v[10:11], v[10:11], v[22:23]
	v_mul_f64_e32 v[22:23], v[24:25], v[10:11]
	s_delay_alu instid0(VALU_DEP_1) | instskip(NEXT) | instid1(VALU_DEP_1)
	v_fma_f64 v[8:9], -v[8:9], v[22:23], v[24:25]
	v_div_fmas_f64 v[8:9], v[8:9], v[10:11], v[22:23]
	s_delay_alu instid0(VALU_DEP_1) | instskip(NEXT) | instid1(VALU_DEP_1)
	v_div_fixup_f64 v[8:9], v[8:9], v[4:5], v[6:7]
	v_fmac_f64_e32 v[4:5], v[6:7], v[8:9]
	s_delay_alu instid0(VALU_DEP_1) | instskip(SKIP_1) | instid1(VALU_DEP_2)
	v_div_scale_f64 v[6:7], null, v[4:5], v[4:5], 1.0
	v_div_scale_f64 v[24:25], vcc_lo, 1.0, v[4:5], 1.0
	v_rcp_f64_e32 v[10:11], v[6:7]
	v_nop
	s_delay_alu instid0(TRANS32_DEP_1) | instskip(NEXT) | instid1(VALU_DEP_1)
	v_fma_f64 v[22:23], -v[6:7], v[10:11], 1.0
	v_fmac_f64_e32 v[10:11], v[10:11], v[22:23]
	s_delay_alu instid0(VALU_DEP_1) | instskip(NEXT) | instid1(VALU_DEP_1)
	v_fma_f64 v[22:23], -v[6:7], v[10:11], 1.0
	v_fmac_f64_e32 v[10:11], v[10:11], v[22:23]
	s_delay_alu instid0(VALU_DEP_1) | instskip(NEXT) | instid1(VALU_DEP_1)
	v_mul_f64_e32 v[22:23], v[24:25], v[10:11]
	v_fma_f64 v[6:7], -v[6:7], v[22:23], v[24:25]
	s_delay_alu instid0(VALU_DEP_1) | instskip(SKIP_2) | instid1(VALU_DEP_3)
	v_div_fmas_f64 v[6:7], v[6:7], v[10:11], v[22:23]
	v_fma_f64 v[10:11], v[2:3], v[8:9], v[0:1]
	v_fma_f64 v[0:1], -v[0:1], v[8:9], v[2:3]
	v_div_fixup_f64 v[4:5], v[6:7], v[4:5], 1.0
	s_delay_alu instid0(VALU_DEP_1) | instskip(NEXT) | instid1(VALU_DEP_3)
	v_mul_f64_e32 v[8:9], v[10:11], v[4:5]
	v_mul_f64_e32 v[10:11], v[0:1], v[4:5]
	s_branch .LBB240_39
.LBB240_49:                             ;   in Loop: Header=BB240_51 Depth=2
	ds_store_b128 v21, v[6:9]
.LBB240_50:                             ;   in Loop: Header=BB240_51 Depth=2
	s_add_co_i32 s3, s36, -1
	s_cmp_lt_i32 s36, 1
	s_mov_b32 s36, s3
	s_cbranch_scc1 .LBB240_23
.LBB240_51:                             ;   Parent Loop BB240_3 Depth=1
                                        ; =>  This Loop Header: Depth=2
                                        ;       Child Loop BB240_53 Depth 3
	s_lshl_b32 s3, s36, 10
	s_cmp_le_i32 s41, s36
	v_or_b32_e32 v0, s3, v12
	ds_load_b128 v[0:3], v0
	s_cbranch_scc1 .LBB240_54
; %bb.52:                               ;   in Loop: Header=BB240_51 Depth=2
	s_mov_b32 s37, s23
	v_mov_b32_e32 v4, v20
	s_wait_xcnt 0x0
	s_lshl_b64 s[38:39], s[36:37], 4
	s_mov_b32 s22, s41
	s_add_nc_u64 s[38:39], s[34:35], s[38:39]
.LBB240_53:                             ;   Parent Loop BB240_3 Depth=1
                                        ;     Parent Loop BB240_51 Depth=2
                                        ; =>    This Inner Loop Header: Depth=3
	s_wait_xcnt 0x0
	s_mul_u64 s[46:47], s[22:23], s[24:25]
	ds_load_b128 v[22:25], v4
	s_lshl_b64 s[46:47], s[46:47], 4
	v_add_nc_u32_e32 v4, 0xfffffc00, v4
	s_add_nc_u64 s[46:47], s[38:39], s[46:47]
	s_add_co_i32 s22, s22, -1
	global_load_b128 v[6:9], v13, s[46:47]
	s_cmp_le_i32 s22, s36
	s_wait_loadcnt 0x0
	v_xor_b32_e32 v5, 0x80000000, v9
	s_wait_dscnt 0x0
	v_mul_f64_e32 v[10:11], v[6:7], v[24:25]
	s_delay_alu instid0(VALU_DEP_2) | instskip(NEXT) | instid1(VALU_DEP_1)
	v_cndmask_b32_e64 v9, v9, v5, s0
	v_mul_f64_e32 v[24:25], v[8:9], v[24:25]
	s_delay_alu instid0(VALU_DEP_1) | instskip(NEXT) | instid1(VALU_DEP_4)
	v_fma_f64 v[6:7], v[6:7], v[22:23], -v[24:25]
	v_fmac_f64_e32 v[10:11], v[8:9], v[22:23]
	s_delay_alu instid0(VALU_DEP_2) | instskip(NEXT) | instid1(VALU_DEP_2)
	v_add_f64_e64 v[0:1], v[0:1], -v[6:7]
	v_add_f64_e64 v[2:3], v[2:3], -v[10:11]
	s_cbranch_scc0 .LBB240_53
.LBB240_54:                             ;   in Loop: Header=BB240_51 Depth=2
	v_add_nc_u32_e32 v21, s3, v12
	s_and_b32 vcc_lo, exec_lo, s44
	s_wait_dscnt 0x0
	ds_store_b128 v21, v[0:3]
	s_cbranch_vccz .LBB240_50
; %bb.55:                               ;   in Loop: Header=BB240_51 Depth=2
	s_mov_b32 s37, s23
	s_wait_xcnt 0x0
	s_mul_u64 s[38:39], s[10:11], s[36:37]
	s_delay_alu instid0(SALU_CYCLE_1) | instskip(NEXT) | instid1(SALU_CYCLE_1)
	s_lshl_b64 s[38:39], s[38:39], 4
	s_add_nc_u64 s[38:39], s[34:35], s[38:39]
	global_load_b128 v[4:7], v13, s[38:39]
	s_wait_loadcnt 0x0
	v_cmp_ngt_f64_e64 s3, |v[4:5]|, |v[6:7]|
	v_xor_b32_e32 v8, 0x80000000, v7
	s_delay_alu instid0(VALU_DEP_1)
	v_dual_mov_b32 v10, v6 :: v_dual_cndmask_b32 v11, v7, v8, s0
                                        ; implicit-def: $vgpr8_vgpr9
	s_and_b32 vcc_lo, exec_lo, s3
	s_mov_b32 s3, -1
	s_cbranch_vccz .LBB240_57
; %bb.56:                               ;   in Loop: Header=BB240_51 Depth=2
	s_delay_alu instid0(VALU_DEP_1) | instskip(SKIP_4) | instid1(TRANS32_DEP_1)
	v_div_scale_f64 v[6:7], null, v[10:11], v[10:11], v[4:5]
	v_div_scale_f64 v[24:25], vcc_lo, v[4:5], v[10:11], v[4:5]
	s_mov_b32 s3, 0
	v_rcp_f64_e32 v[8:9], v[6:7]
	v_nop
	v_fma_f64 v[22:23], -v[6:7], v[8:9], 1.0
	s_delay_alu instid0(VALU_DEP_1) | instskip(NEXT) | instid1(VALU_DEP_1)
	v_fmac_f64_e32 v[8:9], v[8:9], v[22:23]
	v_fma_f64 v[22:23], -v[6:7], v[8:9], 1.0
	s_delay_alu instid0(VALU_DEP_1) | instskip(NEXT) | instid1(VALU_DEP_1)
	v_fmac_f64_e32 v[8:9], v[8:9], v[22:23]
	v_mul_f64_e32 v[22:23], v[24:25], v[8:9]
	s_delay_alu instid0(VALU_DEP_1) | instskip(NEXT) | instid1(VALU_DEP_1)
	v_fma_f64 v[6:7], -v[6:7], v[22:23], v[24:25]
	v_div_fmas_f64 v[6:7], v[6:7], v[8:9], v[22:23]
	s_delay_alu instid0(VALU_DEP_1) | instskip(NEXT) | instid1(VALU_DEP_1)
	v_div_fixup_f64 v[6:7], v[6:7], v[10:11], v[4:5]
	v_fma_f64 v[8:9], v[4:5], v[6:7], v[10:11]
	s_delay_alu instid0(VALU_DEP_1) | instskip(SKIP_1) | instid1(VALU_DEP_2)
	v_div_scale_f64 v[22:23], null, v[8:9], v[8:9], 1.0
	v_div_scale_f64 v[28:29], vcc_lo, 1.0, v[8:9], 1.0
	v_rcp_f64_e32 v[24:25], v[22:23]
	v_nop
	s_delay_alu instid0(TRANS32_DEP_1) | instskip(NEXT) | instid1(VALU_DEP_1)
	v_fma_f64 v[26:27], -v[22:23], v[24:25], 1.0
	v_fmac_f64_e32 v[24:25], v[24:25], v[26:27]
	s_delay_alu instid0(VALU_DEP_1) | instskip(NEXT) | instid1(VALU_DEP_1)
	v_fma_f64 v[26:27], -v[22:23], v[24:25], 1.0
	v_fmac_f64_e32 v[24:25], v[24:25], v[26:27]
	s_delay_alu instid0(VALU_DEP_1) | instskip(NEXT) | instid1(VALU_DEP_1)
	v_mul_f64_e32 v[26:27], v[28:29], v[24:25]
	v_fma_f64 v[22:23], -v[22:23], v[26:27], v[28:29]
	s_delay_alu instid0(VALU_DEP_1) | instskip(SKIP_1) | instid1(VALU_DEP_2)
	v_div_fmas_f64 v[22:23], v[22:23], v[24:25], v[26:27]
	v_fma_f64 v[24:25], v[0:1], v[6:7], v[2:3]
	v_div_fixup_f64 v[8:9], v[22:23], v[8:9], 1.0
	v_fma_f64 v[22:23], v[2:3], v[6:7], -v[0:1]
	s_delay_alu instid0(VALU_DEP_2) | instskip(NEXT) | instid1(VALU_DEP_2)
	v_mul_f64_e32 v[6:7], v[24:25], v[8:9]
	v_mul_f64_e32 v[8:9], v[22:23], v[8:9]
.LBB240_57:                             ;   in Loop: Header=BB240_51 Depth=2
	s_and_not1_b32 vcc_lo, exec_lo, s3
	s_cbranch_vccnz .LBB240_49
; %bb.58:                               ;   in Loop: Header=BB240_51 Depth=2
	v_div_scale_f64 v[6:7], null, v[4:5], v[4:5], v[10:11]
	v_div_scale_f64 v[24:25], vcc_lo, v[10:11], v[4:5], v[10:11]
	s_delay_alu instid0(VALU_DEP_2) | instskip(SKIP_1) | instid1(TRANS32_DEP_1)
	v_rcp_f64_e32 v[8:9], v[6:7]
	v_nop
	v_fma_f64 v[22:23], -v[6:7], v[8:9], 1.0
	s_delay_alu instid0(VALU_DEP_1) | instskip(NEXT) | instid1(VALU_DEP_1)
	v_fmac_f64_e32 v[8:9], v[8:9], v[22:23]
	v_fma_f64 v[22:23], -v[6:7], v[8:9], 1.0
	s_delay_alu instid0(VALU_DEP_1) | instskip(NEXT) | instid1(VALU_DEP_1)
	v_fmac_f64_e32 v[8:9], v[8:9], v[22:23]
	v_mul_f64_e32 v[22:23], v[24:25], v[8:9]
	s_delay_alu instid0(VALU_DEP_1) | instskip(NEXT) | instid1(VALU_DEP_1)
	v_fma_f64 v[6:7], -v[6:7], v[22:23], v[24:25]
	v_div_fmas_f64 v[6:7], v[6:7], v[8:9], v[22:23]
	s_delay_alu instid0(VALU_DEP_1) | instskip(NEXT) | instid1(VALU_DEP_1)
	v_div_fixup_f64 v[6:7], v[6:7], v[4:5], v[10:11]
	v_fmac_f64_e32 v[4:5], v[10:11], v[6:7]
	s_delay_alu instid0(VALU_DEP_1) | instskip(SKIP_1) | instid1(VALU_DEP_2)
	v_div_scale_f64 v[8:9], null, v[4:5], v[4:5], 1.0
	v_div_scale_f64 v[24:25], vcc_lo, 1.0, v[4:5], 1.0
	v_rcp_f64_e32 v[10:11], v[8:9]
	v_nop
	s_delay_alu instid0(TRANS32_DEP_1) | instskip(NEXT) | instid1(VALU_DEP_1)
	v_fma_f64 v[22:23], -v[8:9], v[10:11], 1.0
	v_fmac_f64_e32 v[10:11], v[10:11], v[22:23]
	s_delay_alu instid0(VALU_DEP_1) | instskip(NEXT) | instid1(VALU_DEP_1)
	v_fma_f64 v[22:23], -v[8:9], v[10:11], 1.0
	v_fmac_f64_e32 v[10:11], v[10:11], v[22:23]
	s_delay_alu instid0(VALU_DEP_1) | instskip(NEXT) | instid1(VALU_DEP_1)
	v_mul_f64_e32 v[22:23], v[24:25], v[10:11]
	v_fma_f64 v[8:9], -v[8:9], v[22:23], v[24:25]
	s_delay_alu instid0(VALU_DEP_1) | instskip(SKIP_2) | instid1(VALU_DEP_3)
	v_div_fmas_f64 v[8:9], v[8:9], v[10:11], v[22:23]
	v_fma_f64 v[10:11], v[2:3], v[6:7], v[0:1]
	v_fma_f64 v[0:1], -v[0:1], v[6:7], v[2:3]
	v_div_fixup_f64 v[4:5], v[8:9], v[4:5], 1.0
	s_delay_alu instid0(VALU_DEP_1) | instskip(NEXT) | instid1(VALU_DEP_3)
	v_mul_f64_e32 v[6:7], v[10:11], v[4:5]
	v_mul_f64_e32 v[8:9], v[0:1], v[4:5]
	s_branch .LBB240_49
.LBB240_59:                             ;   in Loop: Header=BB240_3 Depth=1
	s_wait_xcnt 0x0
	s_and_saveexec_b32 s3, s45
	s_cbranch_execz .LBB240_2
; %bb.60:                               ;   in Loop: Header=BB240_3 Depth=1
	v_add_nc_u64_e32 v[0:1], s[28:29], v[14:15]
	v_mov_b32_e32 v2, v12
	s_mov_b32 s22, s40
.LBB240_61:                             ;   Parent Loop BB240_3 Depth=1
                                        ; =>  This Inner Loop Header: Depth=2
	ds_load_2addr_b64 v[4:7], v2 offset1:1
	v_add_nc_u32_e32 v2, 0x400, v2
	s_add_co_i32 s22, s22, -1
	s_delay_alu instid0(SALU_CYCLE_1)
	s_cmp_lg_u32 s22, 0
	s_wait_dscnt 0x0
	global_store_b128 v[0:1], v[4:7], off
	s_wait_xcnt 0x0
	v_add_nc_u64_e32 v[0:1], s[16:17], v[0:1]
	s_cbranch_scc1 .LBB240_61
	s_branch .LBB240_2
.LBB240_62:
	s_endpgm
	.section	.rodata,"a",@progbits
	.p2align	6, 0x0
	.amdhsa_kernel _ZL34rocblas_trsm_small_64_right_deviceI19rocblas_complex_numIdES1_PKS1_PS1_Li64EEv13rocblas_fill_18rocblas_operation_17rocblas_diagonal_iiT0_T1_lilT2_lili
		.amdhsa_group_segment_fixed_size 65536
		.amdhsa_private_segment_fixed_size 0
		.amdhsa_kernarg_size 368
		.amdhsa_user_sgpr_count 2
		.amdhsa_user_sgpr_dispatch_ptr 0
		.amdhsa_user_sgpr_queue_ptr 0
		.amdhsa_user_sgpr_kernarg_segment_ptr 1
		.amdhsa_user_sgpr_dispatch_id 0
		.amdhsa_user_sgpr_kernarg_preload_length 0
		.amdhsa_user_sgpr_kernarg_preload_offset 0
		.amdhsa_user_sgpr_private_segment_size 0
		.amdhsa_wavefront_size32 1
		.amdhsa_uses_dynamic_stack 0
		.amdhsa_enable_private_segment 0
		.amdhsa_system_sgpr_workgroup_id_x 1
		.amdhsa_system_sgpr_workgroup_id_y 0
		.amdhsa_system_sgpr_workgroup_id_z 1
		.amdhsa_system_sgpr_workgroup_info 0
		.amdhsa_system_vgpr_workitem_id 0
		.amdhsa_next_free_vgpr 257
		.amdhsa_next_free_sgpr 48
		.amdhsa_named_barrier_count 0
		.amdhsa_reserve_vcc 1
		.amdhsa_float_round_mode_32 0
		.amdhsa_float_round_mode_16_64 0
		.amdhsa_float_denorm_mode_32 3
		.amdhsa_float_denorm_mode_16_64 3
		.amdhsa_fp16_overflow 0
		.amdhsa_memory_ordered 1
		.amdhsa_forward_progress 1
		.amdhsa_inst_pref_size 30
		.amdhsa_round_robin_scheduling 0
		.amdhsa_exception_fp_ieee_invalid_op 0
		.amdhsa_exception_fp_denorm_src 0
		.amdhsa_exception_fp_ieee_div_zero 0
		.amdhsa_exception_fp_ieee_overflow 0
		.amdhsa_exception_fp_ieee_underflow 0
		.amdhsa_exception_fp_ieee_inexact 0
		.amdhsa_exception_int_div_zero 0
	.end_amdhsa_kernel
	.section	.text._ZL34rocblas_trsm_small_64_right_deviceI19rocblas_complex_numIdES1_PKS1_PS1_Li64EEv13rocblas_fill_18rocblas_operation_17rocblas_diagonal_iiT0_T1_lilT2_lili,"axG",@progbits,_ZL34rocblas_trsm_small_64_right_deviceI19rocblas_complex_numIdES1_PKS1_PS1_Li64EEv13rocblas_fill_18rocblas_operation_17rocblas_diagonal_iiT0_T1_lilT2_lili,comdat
.Lfunc_end240:
	.size	_ZL34rocblas_trsm_small_64_right_deviceI19rocblas_complex_numIdES1_PKS1_PS1_Li64EEv13rocblas_fill_18rocblas_operation_17rocblas_diagonal_iiT0_T1_lilT2_lili, .Lfunc_end240-_ZL34rocblas_trsm_small_64_right_deviceI19rocblas_complex_numIdES1_PKS1_PS1_Li64EEv13rocblas_fill_18rocblas_operation_17rocblas_diagonal_iiT0_T1_lilT2_lili
                                        ; -- End function
	.set _ZL34rocblas_trsm_small_64_right_deviceI19rocblas_complex_numIdES1_PKS1_PS1_Li64EEv13rocblas_fill_18rocblas_operation_17rocblas_diagonal_iiT0_T1_lilT2_lili.num_vgpr, 30
	.set _ZL34rocblas_trsm_small_64_right_deviceI19rocblas_complex_numIdES1_PKS1_PS1_Li64EEv13rocblas_fill_18rocblas_operation_17rocblas_diagonal_iiT0_T1_lilT2_lili.num_agpr, 0
	.set _ZL34rocblas_trsm_small_64_right_deviceI19rocblas_complex_numIdES1_PKS1_PS1_Li64EEv13rocblas_fill_18rocblas_operation_17rocblas_diagonal_iiT0_T1_lilT2_lili.numbered_sgpr, 48
	.set _ZL34rocblas_trsm_small_64_right_deviceI19rocblas_complex_numIdES1_PKS1_PS1_Li64EEv13rocblas_fill_18rocblas_operation_17rocblas_diagonal_iiT0_T1_lilT2_lili.num_named_barrier, 0
	.set _ZL34rocblas_trsm_small_64_right_deviceI19rocblas_complex_numIdES1_PKS1_PS1_Li64EEv13rocblas_fill_18rocblas_operation_17rocblas_diagonal_iiT0_T1_lilT2_lili.private_seg_size, 0
	.set _ZL34rocblas_trsm_small_64_right_deviceI19rocblas_complex_numIdES1_PKS1_PS1_Li64EEv13rocblas_fill_18rocblas_operation_17rocblas_diagonal_iiT0_T1_lilT2_lili.uses_vcc, 1
	.set _ZL34rocblas_trsm_small_64_right_deviceI19rocblas_complex_numIdES1_PKS1_PS1_Li64EEv13rocblas_fill_18rocblas_operation_17rocblas_diagonal_iiT0_T1_lilT2_lili.uses_flat_scratch, 0
	.set _ZL34rocblas_trsm_small_64_right_deviceI19rocblas_complex_numIdES1_PKS1_PS1_Li64EEv13rocblas_fill_18rocblas_operation_17rocblas_diagonal_iiT0_T1_lilT2_lili.has_dyn_sized_stack, 0
	.set _ZL34rocblas_trsm_small_64_right_deviceI19rocblas_complex_numIdES1_PKS1_PS1_Li64EEv13rocblas_fill_18rocblas_operation_17rocblas_diagonal_iiT0_T1_lilT2_lili.has_recursion, 0
	.set _ZL34rocblas_trsm_small_64_right_deviceI19rocblas_complex_numIdES1_PKS1_PS1_Li64EEv13rocblas_fill_18rocblas_operation_17rocblas_diagonal_iiT0_T1_lilT2_lili.has_indirect_call, 0
	.section	.AMDGPU.csdata,"",@progbits
; Kernel info:
; codeLenInByte = 3772
; TotalNumSgprs: 50
; NumVgprs: 30
; ScratchSize: 0
; MemoryBound: 0
; FloatMode: 240
; IeeeMode: 1
; LDSByteSize: 65536 bytes/workgroup (compile time only)
; SGPRBlocks: 0
; VGPRBlocks: 16
; NumSGPRsForWavesPerEU: 50
; NumVGPRsForWavesPerEU: 257
; NamedBarCnt: 0
; Occupancy: 3
; WaveLimiterHint : 0
; COMPUTE_PGM_RSRC2:SCRATCH_EN: 0
; COMPUTE_PGM_RSRC2:USER_SGPR: 2
; COMPUTE_PGM_RSRC2:TRAP_HANDLER: 0
; COMPUTE_PGM_RSRC2:TGID_X_EN: 1
; COMPUTE_PGM_RSRC2:TGID_Y_EN: 0
; COMPUTE_PGM_RSRC2:TGID_Z_EN: 1
; COMPUTE_PGM_RSRC2:TIDIG_COMP_CNT: 0
	.section	.text._ZL39rocblas_trsm_block_forward_substitutionI19rocblas_complex_numIdES1_PKS1_PS1_Lb0ELb0ELb0EEv18rocblas_operation_llT0_T1_lllT2_lllib,"axG",@progbits,_ZL39rocblas_trsm_block_forward_substitutionI19rocblas_complex_numIdES1_PKS1_PS1_Lb0ELb0ELb0EEv18rocblas_operation_llT0_T1_lllT2_lllib,comdat
	.globl	_ZL39rocblas_trsm_block_forward_substitutionI19rocblas_complex_numIdES1_PKS1_PS1_Lb0ELb0ELb0EEv18rocblas_operation_llT0_T1_lllT2_lllib ; -- Begin function _ZL39rocblas_trsm_block_forward_substitutionI19rocblas_complex_numIdES1_PKS1_PS1_Lb0ELb0ELb0EEv18rocblas_operation_llT0_T1_lllT2_lllib
	.p2align	8
	.type	_ZL39rocblas_trsm_block_forward_substitutionI19rocblas_complex_numIdES1_PKS1_PS1_Lb0ELb0ELb0EEv18rocblas_operation_llT0_T1_lllT2_lllib,@function
_ZL39rocblas_trsm_block_forward_substitutionI19rocblas_complex_numIdES1_PKS1_PS1_Lb0ELb0ELb0EEv18rocblas_operation_llT0_T1_lllT2_lllib: ; @_ZL39rocblas_trsm_block_forward_substitutionI19rocblas_complex_numIdES1_PKS1_PS1_Lb0ELb0ELb0EEv18rocblas_operation_llT0_T1_lllT2_lllib
; %bb.0:
	s_load_b64 s[28:29], s[0:1], 0x68
	s_bfe_u32 s2, ttmp6, 0x40014
	s_lshr_b32 s4, ttmp7, 16
	s_add_co_i32 s2, s2, 1
	s_bfe_u32 s5, ttmp6, 0x40008
	s_mul_i32 s2, s4, s2
	s_getreg_b32 s3, hwreg(HW_REG_IB_STS2, 6, 4)
	s_add_co_i32 s5, s5, s2
	s_cmp_eq_u32 s3, 0
	s_mov_b32 s31, 0
	s_cselect_b32 s30, s4, s5
	s_wait_kmcnt 0x0
	s_cmp_ge_u32 s30, s28
	s_cbranch_scc1 .LBB241_41
; %bb.1:
	s_clause 0x2
	s_load_b32 s2, s[0:1], 0x0
	s_load_b512 s[4:19], s[0:1], 0x8
	s_load_b256 s[20:27], s[0:1], 0x48
	s_bitcmp1_b32 s29, 0
	s_load_u16 s29, s[0:1], 0x7e
	s_cselect_b32 s33, -1, 0
	s_mov_b64 s[34:35], src_shared_base
	v_cndmask_b32_e64 v22, 0, 1, s33
	s_xor_b32 s33, s33, -1
	v_bfe_u32 v23, v0, 10, 10
	v_and_b32_e32 v10, 0x3ff, v0
	v_mov_b32_e32 v9, 0
	s_delay_alu instid0(VALU_DEP_3) | instskip(NEXT) | instid1(VALU_DEP_2)
	v_lshl_add_u32 v24, v23, 4, 0
	v_dual_mov_b32 v11, v9 :: v_dual_lshlrev_b32 v0, 4, v10
	v_dual_mov_b32 v1, v9 :: v_dual_mov_b32 v13, v9
	s_delay_alu instid0(VALU_DEP_2)
	v_or_b32_e32 v12, 8, v0
	s_wait_kmcnt 0x0
	s_cmp_eq_u32 s2, 0x71
	v_cmp_le_i64_e32 vcc_lo, s[4:5], v[10:11]
	s_cselect_b32 s2, -1, 0
	s_lshl_b64 s[38:39], s[14:15], 4
	s_bfe_u32 s14, ttmp6, 0x40010
	s_and_b32 s15, ttmp7, 0xffff
	s_add_co_i32 s14, s14, 1
	s_bfe_u32 s34, ttmp6, 0x40004
	s_mul_i32 s14, s15, s14
	s_lshl_b64 s[40:41], s[22:23], 4
	s_add_co_i32 s34, s34, s14
	s_cmp_eq_u32 s3, 0
	s_add_nc_u64 s[20:21], s[20:21], s[40:41]
	s_cselect_b32 s3, s15, s34
	s_add_nc_u64 s[14:15], s[0:1], 0x70
	v_mad_u32 v8, s3, s29, v23
	s_lshl_b32 s3, s29, 4
	v_cmp_gt_i64_e64 s1, s[4:5], v[10:11]
	s_add_nc_u64 s[22:23], s[4:5], -1
	v_cmp_gt_i64_e64 s36, s[4:5], 1
	v_cmp_eq_u64_e64 s0, s[22:23], v[10:11]
	v_cmp_gt_i64_e64 s37, s[4:5], 0
	s_add_nc_u64 s[12:13], s[12:13], s[38:39]
	v_mul_u64_e32 v[2:3], s[24:25], v[8:9]
	s_delay_alu instid0(VALU_DEP_1) | instskip(SKIP_3) | instid1(VALU_DEP_3)
	v_lshl_add_u64 v[2:3], v[2:3], 4, s[20:21]
	s_add_co_i32 s20, s3, 0
	v_cmp_gt_i64_e64 s3, s[6:7], v[8:9]
	v_dual_add_nc_u32 v25, s20, v0 :: v_dual_lshlrev_b32 v8, 4, v10
	v_add_nc_u64_e32 v[14:15], v[2:3], v[0:1]
	s_mov_b32 s21, s35
	s_and_b32 s1, s3, s1
	s_xor_b32 s3, vcc_lo, -1
	s_branch .LBB241_6
.LBB241_2:                              ;   in Loop: Header=BB241_6 Depth=1
	s_or_b32 exec_lo, exec_lo, s6
.LBB241_3:                              ;   in Loop: Header=BB241_6 Depth=1
	s_wait_loadcnt_dscnt 0x0
	s_delay_alu instid0(VALU_DEP_1) | instskip(NEXT) | instid1(VALU_DEP_3)
	v_mul_f64_e32 v[18:19], v[2:3], v[6:7]
	v_mul_f64_e32 v[2:3], v[2:3], v[4:5]
	s_wait_xcnt 0x0
	s_delay_alu instid0(VALU_DEP_2) | instskip(NEXT) | instid1(VALU_DEP_2)
	v_fma_f64 v[4:5], v[0:1], v[4:5], -v[18:19]
	v_fmac_f64_e32 v[2:3], v[0:1], v[6:7]
	s_delay_alu instid0(VALU_DEP_2)
	v_mov_b64_e32 v[0:1], v[4:5]
.LBB241_4:                              ;   in Loop: Header=BB241_6 Depth=1
	s_or_b32 exec_lo, exec_lo, s24
	global_store_b128 v[16:17], v[0:3], off
.LBB241_5:                              ;   in Loop: Header=BB241_6 Depth=1
	s_wait_xcnt 0x0
	s_or_b32 exec_lo, exec_lo, s38
	s_add_co_i32 s30, s30, 0x10000
	s_delay_alu instid0(SALU_CYCLE_1)
	s_cmp_lt_u32 s30, s28
	s_cbranch_scc0 .LBB241_41
.LBB241_6:                              ; =>This Loop Header: Depth=1
                                        ;     Child Loop BB241_13 Depth 2
                                        ;     Child Loop BB241_25 Depth 2
	v_cmp_ne_u32_e32 vcc_lo, 1, v22
	s_mul_u64 s[6:7], s[18:19], s[30:31]
	s_delay_alu instid0(SALU_CYCLE_1) | instskip(NEXT) | instid1(SALU_CYCLE_1)
	s_lshl_b64 s[6:7], s[6:7], 4
	s_add_nc_u64 s[6:7], s[12:13], s[6:7]
	s_cbranch_vccz .LBB241_8
; %bb.7:                                ;   in Loop: Header=BB241_6 Depth=1
	s_and_saveexec_b32 s38, s1
	s_cbranch_execz .LBB241_5
	s_branch .LBB241_22
.LBB241_8:                              ;   in Loop: Header=BB241_6 Depth=1
	s_and_not1_b32 vcc_lo, exec_lo, s37
	s_cbranch_vccnz .LBB241_21
; %bb.9:                                ;   in Loop: Header=BB241_6 Depth=1
	v_mul_u64_e32 v[0:1], s[16:17], v[10:11]
	v_add_nc_u64_e32 v[4:5], s[6:7], v[8:9]
	v_mov_b32_e32 v16, v23
	s_mov_b32 s6, s29
	s_delay_alu instid0(VALU_DEP_2)
	v_lshl_add_u64 v[6:7], v[0:1], 4, v[4:5]
	s_branch .LBB241_13
.LBB241_10:                             ;   in Loop: Header=BB241_13 Depth=2
	s_or_b32 exec_lo, exec_lo, s25
	s_load_b32 s25, s[14:15], 0xc
	s_wait_kmcnt 0x0
	s_and_b32 s25, s25, 0xffff
	s_delay_alu instid0(SALU_CYCLE_1) | instskip(NEXT) | instid1(VALU_DEP_1)
	v_mul_u32_u24_e32 v0, s25, v10
	v_lshl_add_u32 v0, v0, 4, v25
	ds_store_2addr_b64 v0, v[18:19], v[20:21] offset1:1
.LBB241_11:                             ;   in Loop: Header=BB241_13 Depth=2
	s_or_b32 exec_lo, exec_lo, s24
.LBB241_12:                             ;   in Loop: Header=BB241_13 Depth=2
	s_delay_alu instid0(SALU_CYCLE_1)
	s_or_b32 exec_lo, exec_lo, s7
	s_ashr_i32 s7, s6, 31
	v_add_nc_u32_e32 v16, s29, v16
	v_cmp_le_i64_e64 s7, s[4:5], s[6:7]
	s_add_co_i32 s6, s6, s29
	s_and_b32 vcc_lo, exec_lo, s7
	s_cbranch_vccnz .LBB241_21
.LBB241_13:                             ;   Parent Loop BB241_6 Depth=1
                                        ; =>  This Inner Loop Header: Depth=2
	s_delay_alu instid0(VALU_DEP_2) | instskip(SKIP_1) | instid1(SALU_CYCLE_1)
	v_cmp_gt_i32_e32 vcc_lo, v10, v16
	s_and_b32 s7, s3, vcc_lo
	s_and_saveexec_b32 s24, s7
	s_delay_alu instid0(SALU_CYCLE_1)
	s_xor_b32 s7, exec_lo, s24
	s_cbranch_execz .LBB241_15
; %bb.14:                               ;   in Loop: Header=BB241_13 Depth=2
	v_ashrrev_i32_e32 v17, 31, v16
	s_load_b32 s24, s[14:15], 0xc
	s_delay_alu instid0(VALU_DEP_1) | instskip(SKIP_2) | instid1(SALU_CYCLE_1)
	v_mul_u64_e32 v[0:1], s[16:17], v[16:17]
	s_wait_kmcnt 0x0
	s_and_b32 s24, s24, 0xffff
	v_mul_lo_u32 v17, v16, s24
	s_delay_alu instid0(VALU_DEP_1) | instskip(NEXT) | instid1(VALU_DEP_3)
	v_lshl_add_u32 v17, v17, 4, v25
	v_lshl_add_u64 v[0:1], v[0:1], 4, v[4:5]
	global_load_b128 v[0:3], v[0:1], off
	s_wait_loadcnt 0x0
	ds_store_2addr_b64 v17, v[0:1], v[2:3] offset1:1
.LBB241_15:                             ;   in Loop: Header=BB241_13 Depth=2
	s_wait_xcnt 0x0
	s_and_not1_saveexec_b32 s7, s7
	s_cbranch_execz .LBB241_12
; %bb.16:                               ;   in Loop: Header=BB241_13 Depth=2
	v_cmp_eq_u32_e32 vcc_lo, v10, v16
	s_and_b32 s25, s3, vcc_lo
	s_delay_alu instid0(SALU_CYCLE_1)
	s_and_saveexec_b32 s24, s25
	s_cbranch_execz .LBB241_11
; %bb.17:                               ;   in Loop: Header=BB241_13 Depth=2
	global_load_b128 v[0:3], v[6:7], off
                                        ; implicit-def: $vgpr18_vgpr19
	s_wait_loadcnt 0x0
	v_cmp_ngt_f64_e64 s25, |v[0:1]|, |v[2:3]|
	s_wait_xcnt 0x0
	s_and_saveexec_b32 s34, s25
	s_delay_alu instid0(SALU_CYCLE_1)
	s_xor_b32 s25, exec_lo, s34
                                        ; implicit-def: $vgpr20_vgpr21
	s_cbranch_execz .LBB241_19
; %bb.18:                               ;   in Loop: Header=BB241_13 Depth=2
	v_div_scale_f64 v[18:19], null, v[2:3], v[2:3], v[0:1]
	v_div_scale_f64 v[28:29], vcc_lo, v[0:1], v[2:3], v[0:1]
	s_delay_alu instid0(VALU_DEP_2) | instskip(SKIP_1) | instid1(TRANS32_DEP_1)
	v_rcp_f64_e32 v[20:21], v[18:19]
	v_nop
	v_fma_f64 v[26:27], -v[18:19], v[20:21], 1.0
	s_delay_alu instid0(VALU_DEP_1) | instskip(NEXT) | instid1(VALU_DEP_1)
	v_fmac_f64_e32 v[20:21], v[20:21], v[26:27]
	v_fma_f64 v[26:27], -v[18:19], v[20:21], 1.0
	s_delay_alu instid0(VALU_DEP_1) | instskip(NEXT) | instid1(VALU_DEP_1)
	v_fmac_f64_e32 v[20:21], v[20:21], v[26:27]
	v_mul_f64_e32 v[26:27], v[28:29], v[20:21]
	s_delay_alu instid0(VALU_DEP_1) | instskip(NEXT) | instid1(VALU_DEP_1)
	v_fma_f64 v[18:19], -v[18:19], v[26:27], v[28:29]
	v_div_fmas_f64 v[18:19], v[18:19], v[20:21], v[26:27]
	s_delay_alu instid0(VALU_DEP_1) | instskip(NEXT) | instid1(VALU_DEP_1)
	v_div_fixup_f64 v[18:19], v[18:19], v[2:3], v[0:1]
	v_fmac_f64_e32 v[2:3], v[0:1], v[18:19]
	s_delay_alu instid0(VALU_DEP_1) | instskip(NEXT) | instid1(VALU_DEP_1)
	v_div_scale_f64 v[0:1], null, v[2:3], v[2:3], 1.0
	v_rcp_f64_e32 v[20:21], v[0:1]
	v_nop
	s_delay_alu instid0(TRANS32_DEP_1) | instskip(NEXT) | instid1(VALU_DEP_1)
	v_fma_f64 v[26:27], -v[0:1], v[20:21], 1.0
	v_fmac_f64_e32 v[20:21], v[20:21], v[26:27]
	s_delay_alu instid0(VALU_DEP_1) | instskip(NEXT) | instid1(VALU_DEP_1)
	v_fma_f64 v[26:27], -v[0:1], v[20:21], 1.0
	v_fmac_f64_e32 v[20:21], v[20:21], v[26:27]
	v_div_scale_f64 v[26:27], vcc_lo, 1.0, v[2:3], 1.0
	s_delay_alu instid0(VALU_DEP_1) | instskip(NEXT) | instid1(VALU_DEP_1)
	v_mul_f64_e32 v[28:29], v[26:27], v[20:21]
	v_fma_f64 v[0:1], -v[0:1], v[28:29], v[26:27]
	s_delay_alu instid0(VALU_DEP_1) | instskip(NEXT) | instid1(VALU_DEP_1)
	v_div_fmas_f64 v[0:1], v[0:1], v[20:21], v[28:29]
	v_div_fixup_f64 v[20:21], v[0:1], v[2:3], 1.0
                                        ; implicit-def: $vgpr0_vgpr1
	s_delay_alu instid0(VALU_DEP_1)
	v_mul_f64_e32 v[18:19], v[18:19], v[20:21]
	v_xor_b32_e32 v21, 0x80000000, v21
.LBB241_19:                             ;   in Loop: Header=BB241_13 Depth=2
	s_and_not1_saveexec_b32 s25, s25
	s_cbranch_execz .LBB241_10
; %bb.20:                               ;   in Loop: Header=BB241_13 Depth=2
	v_div_scale_f64 v[18:19], null, v[0:1], v[0:1], v[2:3]
	v_div_scale_f64 v[28:29], vcc_lo, v[2:3], v[0:1], v[2:3]
	s_delay_alu instid0(VALU_DEP_2) | instskip(SKIP_1) | instid1(TRANS32_DEP_1)
	v_rcp_f64_e32 v[20:21], v[18:19]
	v_nop
	v_fma_f64 v[26:27], -v[18:19], v[20:21], 1.0
	s_delay_alu instid0(VALU_DEP_1) | instskip(NEXT) | instid1(VALU_DEP_1)
	v_fmac_f64_e32 v[20:21], v[20:21], v[26:27]
	v_fma_f64 v[26:27], -v[18:19], v[20:21], 1.0
	s_delay_alu instid0(VALU_DEP_1) | instskip(NEXT) | instid1(VALU_DEP_1)
	v_fmac_f64_e32 v[20:21], v[20:21], v[26:27]
	v_mul_f64_e32 v[26:27], v[28:29], v[20:21]
	s_delay_alu instid0(VALU_DEP_1) | instskip(NEXT) | instid1(VALU_DEP_1)
	v_fma_f64 v[18:19], -v[18:19], v[26:27], v[28:29]
	v_div_fmas_f64 v[18:19], v[18:19], v[20:21], v[26:27]
	s_delay_alu instid0(VALU_DEP_1) | instskip(NEXT) | instid1(VALU_DEP_1)
	v_div_fixup_f64 v[20:21], v[18:19], v[0:1], v[2:3]
	v_fmac_f64_e32 v[0:1], v[2:3], v[20:21]
	s_delay_alu instid0(VALU_DEP_1) | instskip(NEXT) | instid1(VALU_DEP_1)
	v_div_scale_f64 v[2:3], null, v[0:1], v[0:1], 1.0
	v_rcp_f64_e32 v[18:19], v[2:3]
	v_nop
	s_delay_alu instid0(TRANS32_DEP_1) | instskip(NEXT) | instid1(VALU_DEP_1)
	v_fma_f64 v[26:27], -v[2:3], v[18:19], 1.0
	v_fmac_f64_e32 v[18:19], v[18:19], v[26:27]
	s_delay_alu instid0(VALU_DEP_1) | instskip(NEXT) | instid1(VALU_DEP_1)
	v_fma_f64 v[26:27], -v[2:3], v[18:19], 1.0
	v_fmac_f64_e32 v[18:19], v[18:19], v[26:27]
	v_div_scale_f64 v[26:27], vcc_lo, 1.0, v[0:1], 1.0
	s_delay_alu instid0(VALU_DEP_1) | instskip(NEXT) | instid1(VALU_DEP_1)
	v_mul_f64_e32 v[28:29], v[26:27], v[18:19]
	v_fma_f64 v[2:3], -v[2:3], v[28:29], v[26:27]
	s_delay_alu instid0(VALU_DEP_1) | instskip(NEXT) | instid1(VALU_DEP_1)
	v_div_fmas_f64 v[2:3], v[2:3], v[18:19], v[28:29]
	v_div_fixup_f64 v[18:19], v[2:3], v[0:1], 1.0
	s_delay_alu instid0(VALU_DEP_1)
	v_mul_f64_e64 v[20:21], v[20:21], -v[18:19]
	s_branch .LBB241_10
.LBB241_21:                             ;   in Loop: Header=BB241_6 Depth=1
	s_load_b32 s6, s[14:15], 0xc
	s_mov_b32 s17, s31
	s_wait_kmcnt 0x0
	s_and_b32 s16, s6, 0xffff
	s_mov_b64 s[6:7], s[20:21]
	s_and_saveexec_b32 s38, s1
	s_cbranch_execz .LBB241_5
.LBB241_22:                             ;   in Loop: Header=BB241_6 Depth=1
	s_mul_u64 s[24:25], s[26:27], s[30:31]
	s_and_not1_b32 vcc_lo, exec_lo, s36
	v_lshl_add_u64 v[16:17], s[24:25], 4, v[14:15]
	global_load_b128 v[4:7], v[16:17], off
	s_wait_loadcnt 0x0
	v_mul_f64_e32 v[0:1], s[10:11], v[6:7]
	v_mul_f64_e32 v[2:3], s[8:9], v[6:7]
	s_delay_alu instid0(VALU_DEP_2) | instskip(NEXT) | instid1(VALU_DEP_2)
	v_fma_f64 v[0:1], s[8:9], v[4:5], -v[0:1]
	v_fmac_f64_e32 v[2:3], s[10:11], v[4:5]
	s_cbranch_vccnz .LBB241_35
; %bb.23:                               ;   in Loop: Header=BB241_6 Depth=1
	v_mad_nc_u64_u32 v[4:5], v10, s16, v[10:11]
	v_add_nc_u64_e32 v[18:19], s[6:7], v[12:13]
	s_lshl_b64 s[24:25], s[16:17], 4
	s_mov_b64 s[34:35], 0
	s_delay_alu instid0(VALU_DEP_2) | instskip(NEXT) | instid1(VALU_DEP_1)
	v_mad_u32 v5, v10, s17, v5
	v_lshl_add_u64 v[20:21], v[4:5], 4, s[6:7]
	s_branch .LBB241_25
.LBB241_24:                             ;   in Loop: Header=BB241_25 Depth=2
	s_wait_xcnt 0x0
	s_or_b32 exec_lo, exec_lo, s39
	v_add_nc_u64_e32 v[18:19], s[24:25], v[18:19]
	s_add_nc_u64 s[34:35], s[34:35], 1
	s_delay_alu instid0(SALU_CYCLE_1)
	s_cmp_eq_u64 s[22:23], s[34:35]
	s_cbranch_scc1 .LBB241_35
.LBB241_25:                             ;   Parent Loop BB241_6 Depth=1
                                        ; =>  This Inner Loop Header: Depth=2
	s_mov_b32 s39, exec_lo
	s_wait_dscnt 0x0
	s_barrier_signal -1
	s_barrier_wait -1
	s_wait_xcnt 0x0
	v_cmpx_eq_u64_e64 s[34:35], v[10:11]
	s_cbranch_execz .LBB241_33
; %bb.26:                               ;   in Loop: Header=BB241_25 Depth=2
	flat_load_b128 v[4:7], v[20:21]
	s_and_not1_b32 vcc_lo, exec_lo, s33
	s_cbranch_vccnz .LBB241_32
; %bb.27:                               ;   in Loop: Header=BB241_25 Depth=2
	s_wait_loadcnt_dscnt 0x0
	v_cmp_ngt_f64_e64 s40, |v[4:5]|, |v[6:7]|
	s_wait_xcnt 0x0
	s_and_saveexec_b32 s41, s40
	s_delay_alu instid0(SALU_CYCLE_1)
	s_xor_b32 s40, exec_lo, s41
	s_cbranch_execz .LBB241_29
; %bb.28:                               ;   in Loop: Header=BB241_25 Depth=2
	v_div_scale_f64 v[26:27], null, v[6:7], v[6:7], v[4:5]
	v_div_scale_f64 v[32:33], vcc_lo, v[4:5], v[6:7], v[4:5]
	s_delay_alu instid0(VALU_DEP_2) | instskip(SKIP_1) | instid1(TRANS32_DEP_1)
	v_rcp_f64_e32 v[28:29], v[26:27]
	v_nop
	v_fma_f64 v[30:31], -v[26:27], v[28:29], 1.0
	s_delay_alu instid0(VALU_DEP_1) | instskip(NEXT) | instid1(VALU_DEP_1)
	v_fmac_f64_e32 v[28:29], v[28:29], v[30:31]
	v_fma_f64 v[30:31], -v[26:27], v[28:29], 1.0
	s_delay_alu instid0(VALU_DEP_1) | instskip(NEXT) | instid1(VALU_DEP_1)
	v_fmac_f64_e32 v[28:29], v[28:29], v[30:31]
	v_mul_f64_e32 v[30:31], v[32:33], v[28:29]
	s_delay_alu instid0(VALU_DEP_1) | instskip(NEXT) | instid1(VALU_DEP_1)
	v_fma_f64 v[26:27], -v[26:27], v[30:31], v[32:33]
	v_div_fmas_f64 v[26:27], v[26:27], v[28:29], v[30:31]
	s_delay_alu instid0(VALU_DEP_1) | instskip(NEXT) | instid1(VALU_DEP_1)
	v_div_fixup_f64 v[26:27], v[26:27], v[6:7], v[4:5]
	v_fmac_f64_e32 v[6:7], v[4:5], v[26:27]
	s_delay_alu instid0(VALU_DEP_1) | instskip(NEXT) | instid1(VALU_DEP_1)
	v_div_scale_f64 v[4:5], null, v[6:7], v[6:7], 1.0
	v_rcp_f64_e32 v[28:29], v[4:5]
	v_nop
	s_delay_alu instid0(TRANS32_DEP_1) | instskip(NEXT) | instid1(VALU_DEP_1)
	v_fma_f64 v[30:31], -v[4:5], v[28:29], 1.0
	v_fmac_f64_e32 v[28:29], v[28:29], v[30:31]
	s_delay_alu instid0(VALU_DEP_1) | instskip(NEXT) | instid1(VALU_DEP_1)
	v_fma_f64 v[30:31], -v[4:5], v[28:29], 1.0
	v_fmac_f64_e32 v[28:29], v[28:29], v[30:31]
	v_div_scale_f64 v[30:31], vcc_lo, 1.0, v[6:7], 1.0
	s_delay_alu instid0(VALU_DEP_1) | instskip(NEXT) | instid1(VALU_DEP_1)
	v_mul_f64_e32 v[32:33], v[30:31], v[28:29]
	v_fma_f64 v[4:5], -v[4:5], v[32:33], v[30:31]
	s_delay_alu instid0(VALU_DEP_1) | instskip(NEXT) | instid1(VALU_DEP_1)
	v_div_fmas_f64 v[4:5], v[4:5], v[28:29], v[32:33]
	v_div_fixup_f64 v[6:7], v[4:5], v[6:7], 1.0
	s_delay_alu instid0(VALU_DEP_1)
	v_mul_f64_e32 v[4:5], v[26:27], v[6:7]
	v_xor_b32_e32 v7, 0x80000000, v7
.LBB241_29:                             ;   in Loop: Header=BB241_25 Depth=2
	s_and_not1_saveexec_b32 s40, s40
	s_cbranch_execz .LBB241_31
; %bb.30:                               ;   in Loop: Header=BB241_25 Depth=2
	s_delay_alu instid0(VALU_DEP_1) | instskip(SKIP_1) | instid1(VALU_DEP_2)
	v_div_scale_f64 v[26:27], null, v[4:5], v[4:5], v[6:7]
	v_div_scale_f64 v[32:33], vcc_lo, v[6:7], v[4:5], v[6:7]
	v_rcp_f64_e32 v[28:29], v[26:27]
	v_nop
	s_delay_alu instid0(TRANS32_DEP_1) | instskip(NEXT) | instid1(VALU_DEP_1)
	v_fma_f64 v[30:31], -v[26:27], v[28:29], 1.0
	v_fmac_f64_e32 v[28:29], v[28:29], v[30:31]
	s_delay_alu instid0(VALU_DEP_1) | instskip(NEXT) | instid1(VALU_DEP_1)
	v_fma_f64 v[30:31], -v[26:27], v[28:29], 1.0
	v_fmac_f64_e32 v[28:29], v[28:29], v[30:31]
	s_delay_alu instid0(VALU_DEP_1) | instskip(NEXT) | instid1(VALU_DEP_1)
	v_mul_f64_e32 v[30:31], v[32:33], v[28:29]
	v_fma_f64 v[26:27], -v[26:27], v[30:31], v[32:33]
	s_delay_alu instid0(VALU_DEP_1) | instskip(NEXT) | instid1(VALU_DEP_1)
	v_div_fmas_f64 v[26:27], v[26:27], v[28:29], v[30:31]
	v_div_fixup_f64 v[26:27], v[26:27], v[4:5], v[6:7]
	s_delay_alu instid0(VALU_DEP_1) | instskip(NEXT) | instid1(VALU_DEP_1)
	v_fmac_f64_e32 v[4:5], v[6:7], v[26:27]
	v_div_scale_f64 v[6:7], null, v[4:5], v[4:5], 1.0
	s_delay_alu instid0(VALU_DEP_1) | instskip(SKIP_1) | instid1(TRANS32_DEP_1)
	v_rcp_f64_e32 v[28:29], v[6:7]
	v_nop
	v_fma_f64 v[30:31], -v[6:7], v[28:29], 1.0
	s_delay_alu instid0(VALU_DEP_1) | instskip(NEXT) | instid1(VALU_DEP_1)
	v_fmac_f64_e32 v[28:29], v[28:29], v[30:31]
	v_fma_f64 v[30:31], -v[6:7], v[28:29], 1.0
	s_delay_alu instid0(VALU_DEP_1) | instskip(SKIP_1) | instid1(VALU_DEP_1)
	v_fmac_f64_e32 v[28:29], v[28:29], v[30:31]
	v_div_scale_f64 v[30:31], vcc_lo, 1.0, v[4:5], 1.0
	v_mul_f64_e32 v[32:33], v[30:31], v[28:29]
	s_delay_alu instid0(VALU_DEP_1) | instskip(NEXT) | instid1(VALU_DEP_1)
	v_fma_f64 v[6:7], -v[6:7], v[32:33], v[30:31]
	v_div_fmas_f64 v[6:7], v[6:7], v[28:29], v[32:33]
	s_delay_alu instid0(VALU_DEP_1) | instskip(NEXT) | instid1(VALU_DEP_1)
	v_div_fixup_f64 v[4:5], v[6:7], v[4:5], 1.0
	v_mul_f64_e64 v[6:7], v[26:27], -v[4:5]
.LBB241_31:                             ;   in Loop: Header=BB241_25 Depth=2
	s_or_b32 exec_lo, exec_lo, s40
.LBB241_32:                             ;   in Loop: Header=BB241_25 Depth=2
	s_wait_loadcnt_dscnt 0x0
	s_delay_alu instid0(VALU_DEP_1) | instskip(SKIP_1) | instid1(VALU_DEP_2)
	v_mul_f64_e32 v[26:27], v[0:1], v[6:7]
	v_mul_f64_e32 v[6:7], v[2:3], v[6:7]
	v_fmac_f64_e32 v[26:27], v[2:3], v[4:5]
	s_delay_alu instid0(VALU_DEP_2) | instskip(NEXT) | instid1(VALU_DEP_2)
	v_fma_f64 v[4:5], v[0:1], v[4:5], -v[6:7]
	v_mov_b64_e32 v[2:3], v[26:27]
	s_delay_alu instid0(VALU_DEP_2)
	v_mov_b64_e32 v[0:1], v[4:5]
	ds_store_2addr_b64 v24, v[4:5], v[26:27] offset1:1
.LBB241_33:                             ;   in Loop: Header=BB241_25 Depth=2
	s_wait_xcnt 0x0
	s_or_b32 exec_lo, exec_lo, s39
	s_delay_alu instid0(SALU_CYCLE_1)
	s_mov_b32 s39, exec_lo
	s_wait_dscnt 0x0
	s_barrier_signal -1
	s_barrier_wait -1
	v_cmpx_lt_u64_e64 s[34:35], v[10:11]
	s_cbranch_execz .LBB241_24
; %bb.34:                               ;   in Loop: Header=BB241_25 Depth=2
	flat_load_b128 v[4:7], v[18:19] offset:-8
	ds_load_2addr_b64 v[26:29], v24 offset1:1
	s_wait_loadcnt_dscnt 0x1
	v_xor_b32_e32 v30, 0x80000000, v7
	s_delay_alu instid0(VALU_DEP_1) | instskip(SKIP_1) | instid1(VALU_DEP_1)
	v_cndmask_b32_e64 v7, v7, v30, s2
	s_wait_dscnt 0x0
	v_mul_f64_e32 v[30:31], v[6:7], v[28:29]
	v_mul_f64_e32 v[28:29], v[4:5], v[28:29]
	s_delay_alu instid0(VALU_DEP_2) | instskip(NEXT) | instid1(VALU_DEP_2)
	v_fma_f64 v[4:5], v[4:5], v[26:27], -v[30:31]
	v_fmac_f64_e32 v[28:29], v[6:7], v[26:27]
	s_delay_alu instid0(VALU_DEP_2) | instskip(NEXT) | instid1(VALU_DEP_2)
	v_add_f64_e64 v[0:1], v[0:1], -v[4:5]
	v_add_f64_e64 v[2:3], v[2:3], -v[28:29]
	s_branch .LBB241_24
.LBB241_35:                             ;   in Loop: Header=BB241_6 Depth=1
	s_wait_xcnt 0x0
	s_and_saveexec_b32 s24, s0
	s_cbranch_execz .LBB241_4
; %bb.36:                               ;   in Loop: Header=BB241_6 Depth=1
	v_mad_nc_u64_u32 v[4:5], v10, s16, v[10:11]
	s_and_not1_b32 vcc_lo, exec_lo, s33
	s_delay_alu instid0(VALU_DEP_1) | instskip(NEXT) | instid1(VALU_DEP_1)
	v_mad_u32 v5, v10, s17, v5
	v_lshl_add_u64 v[4:5], v[4:5], 4, s[6:7]
	flat_load_b128 v[4:7], v[4:5]
	s_cbranch_vccnz .LBB241_3
; %bb.37:                               ;   in Loop: Header=BB241_6 Depth=1
	s_wait_loadcnt_dscnt 0x0
	v_cmp_ngt_f64_e64 s6, |v[4:5]|, |v[6:7]|
	s_wait_xcnt 0x0
	s_and_saveexec_b32 s7, s6
	s_delay_alu instid0(SALU_CYCLE_1)
	s_xor_b32 s6, exec_lo, s7
	s_cbranch_execz .LBB241_39
; %bb.38:                               ;   in Loop: Header=BB241_6 Depth=1
	v_div_scale_f64 v[18:19], null, v[6:7], v[6:7], v[4:5]
	v_div_scale_f64 v[28:29], vcc_lo, v[4:5], v[6:7], v[4:5]
	s_delay_alu instid0(VALU_DEP_2) | instskip(SKIP_1) | instid1(TRANS32_DEP_1)
	v_rcp_f64_e32 v[20:21], v[18:19]
	v_nop
	v_fma_f64 v[26:27], -v[18:19], v[20:21], 1.0
	s_delay_alu instid0(VALU_DEP_1) | instskip(NEXT) | instid1(VALU_DEP_1)
	v_fmac_f64_e32 v[20:21], v[20:21], v[26:27]
	v_fma_f64 v[26:27], -v[18:19], v[20:21], 1.0
	s_delay_alu instid0(VALU_DEP_1) | instskip(NEXT) | instid1(VALU_DEP_1)
	v_fmac_f64_e32 v[20:21], v[20:21], v[26:27]
	v_mul_f64_e32 v[26:27], v[28:29], v[20:21]
	s_delay_alu instid0(VALU_DEP_1) | instskip(NEXT) | instid1(VALU_DEP_1)
	v_fma_f64 v[18:19], -v[18:19], v[26:27], v[28:29]
	v_div_fmas_f64 v[18:19], v[18:19], v[20:21], v[26:27]
	s_delay_alu instid0(VALU_DEP_1) | instskip(NEXT) | instid1(VALU_DEP_1)
	v_div_fixup_f64 v[18:19], v[18:19], v[6:7], v[4:5]
	v_fmac_f64_e32 v[6:7], v[4:5], v[18:19]
	s_delay_alu instid0(VALU_DEP_1) | instskip(NEXT) | instid1(VALU_DEP_1)
	v_div_scale_f64 v[4:5], null, v[6:7], v[6:7], 1.0
	v_rcp_f64_e32 v[20:21], v[4:5]
	v_nop
	s_delay_alu instid0(TRANS32_DEP_1) | instskip(NEXT) | instid1(VALU_DEP_1)
	v_fma_f64 v[26:27], -v[4:5], v[20:21], 1.0
	v_fmac_f64_e32 v[20:21], v[20:21], v[26:27]
	s_delay_alu instid0(VALU_DEP_1) | instskip(NEXT) | instid1(VALU_DEP_1)
	v_fma_f64 v[26:27], -v[4:5], v[20:21], 1.0
	v_fmac_f64_e32 v[20:21], v[20:21], v[26:27]
	v_div_scale_f64 v[26:27], vcc_lo, 1.0, v[6:7], 1.0
	s_delay_alu instid0(VALU_DEP_1) | instskip(NEXT) | instid1(VALU_DEP_1)
	v_mul_f64_e32 v[28:29], v[26:27], v[20:21]
	v_fma_f64 v[4:5], -v[4:5], v[28:29], v[26:27]
	s_delay_alu instid0(VALU_DEP_1) | instskip(NEXT) | instid1(VALU_DEP_1)
	v_div_fmas_f64 v[4:5], v[4:5], v[20:21], v[28:29]
	v_div_fixup_f64 v[6:7], v[4:5], v[6:7], 1.0
	s_delay_alu instid0(VALU_DEP_1)
	v_mul_f64_e32 v[4:5], v[18:19], v[6:7]
	v_xor_b32_e32 v7, 0x80000000, v7
.LBB241_39:                             ;   in Loop: Header=BB241_6 Depth=1
	s_and_not1_saveexec_b32 s6, s6
	s_cbranch_execz .LBB241_2
; %bb.40:                               ;   in Loop: Header=BB241_6 Depth=1
	s_delay_alu instid0(VALU_DEP_1) | instskip(SKIP_1) | instid1(VALU_DEP_2)
	v_div_scale_f64 v[18:19], null, v[4:5], v[4:5], v[6:7]
	v_div_scale_f64 v[28:29], vcc_lo, v[6:7], v[4:5], v[6:7]
	v_rcp_f64_e32 v[20:21], v[18:19]
	v_nop
	s_delay_alu instid0(TRANS32_DEP_1) | instskip(NEXT) | instid1(VALU_DEP_1)
	v_fma_f64 v[26:27], -v[18:19], v[20:21], 1.0
	v_fmac_f64_e32 v[20:21], v[20:21], v[26:27]
	s_delay_alu instid0(VALU_DEP_1) | instskip(NEXT) | instid1(VALU_DEP_1)
	v_fma_f64 v[26:27], -v[18:19], v[20:21], 1.0
	v_fmac_f64_e32 v[20:21], v[20:21], v[26:27]
	s_delay_alu instid0(VALU_DEP_1) | instskip(NEXT) | instid1(VALU_DEP_1)
	v_mul_f64_e32 v[26:27], v[28:29], v[20:21]
	v_fma_f64 v[18:19], -v[18:19], v[26:27], v[28:29]
	s_delay_alu instid0(VALU_DEP_1) | instskip(NEXT) | instid1(VALU_DEP_1)
	v_div_fmas_f64 v[18:19], v[18:19], v[20:21], v[26:27]
	v_div_fixup_f64 v[18:19], v[18:19], v[4:5], v[6:7]
	s_delay_alu instid0(VALU_DEP_1) | instskip(NEXT) | instid1(VALU_DEP_1)
	v_fmac_f64_e32 v[4:5], v[6:7], v[18:19]
	v_div_scale_f64 v[6:7], null, v[4:5], v[4:5], 1.0
	s_delay_alu instid0(VALU_DEP_1) | instskip(SKIP_1) | instid1(TRANS32_DEP_1)
	v_rcp_f64_e32 v[20:21], v[6:7]
	v_nop
	v_fma_f64 v[26:27], -v[6:7], v[20:21], 1.0
	s_delay_alu instid0(VALU_DEP_1) | instskip(NEXT) | instid1(VALU_DEP_1)
	v_fmac_f64_e32 v[20:21], v[20:21], v[26:27]
	v_fma_f64 v[26:27], -v[6:7], v[20:21], 1.0
	s_delay_alu instid0(VALU_DEP_1) | instskip(SKIP_1) | instid1(VALU_DEP_1)
	v_fmac_f64_e32 v[20:21], v[20:21], v[26:27]
	v_div_scale_f64 v[26:27], vcc_lo, 1.0, v[4:5], 1.0
	v_mul_f64_e32 v[28:29], v[26:27], v[20:21]
	s_delay_alu instid0(VALU_DEP_1) | instskip(NEXT) | instid1(VALU_DEP_1)
	v_fma_f64 v[6:7], -v[6:7], v[28:29], v[26:27]
	v_div_fmas_f64 v[6:7], v[6:7], v[20:21], v[28:29]
	s_delay_alu instid0(VALU_DEP_1) | instskip(NEXT) | instid1(VALU_DEP_1)
	v_div_fixup_f64 v[4:5], v[6:7], v[4:5], 1.0
	v_mul_f64_e64 v[6:7], v[18:19], -v[4:5]
	s_branch .LBB241_2
.LBB241_41:
	s_endpgm
	.section	.rodata,"a",@progbits
	.p2align	6, 0x0
	.amdhsa_kernel _ZL39rocblas_trsm_block_forward_substitutionI19rocblas_complex_numIdES1_PKS1_PS1_Lb0ELb0ELb0EEv18rocblas_operation_llT0_T1_lllT2_lllib
		.amdhsa_group_segment_fixed_size 0
		.amdhsa_private_segment_fixed_size 0
		.amdhsa_kernarg_size 368
		.amdhsa_user_sgpr_count 2
		.amdhsa_user_sgpr_dispatch_ptr 0
		.amdhsa_user_sgpr_queue_ptr 0
		.amdhsa_user_sgpr_kernarg_segment_ptr 1
		.amdhsa_user_sgpr_dispatch_id 0
		.amdhsa_user_sgpr_kernarg_preload_length 0
		.amdhsa_user_sgpr_kernarg_preload_offset 0
		.amdhsa_user_sgpr_private_segment_size 0
		.amdhsa_wavefront_size32 1
		.amdhsa_uses_dynamic_stack 0
		.amdhsa_enable_private_segment 0
		.amdhsa_system_sgpr_workgroup_id_x 1
		.amdhsa_system_sgpr_workgroup_id_y 1
		.amdhsa_system_sgpr_workgroup_id_z 1
		.amdhsa_system_sgpr_workgroup_info 0
		.amdhsa_system_vgpr_workitem_id 1
		.amdhsa_next_free_vgpr 34
		.amdhsa_next_free_sgpr 42
		.amdhsa_named_barrier_count 0
		.amdhsa_reserve_vcc 1
		.amdhsa_float_round_mode_32 0
		.amdhsa_float_round_mode_16_64 0
		.amdhsa_float_denorm_mode_32 3
		.amdhsa_float_denorm_mode_16_64 3
		.amdhsa_fp16_overflow 0
		.amdhsa_memory_ordered 1
		.amdhsa_forward_progress 1
		.amdhsa_inst_pref_size 21
		.amdhsa_round_robin_scheduling 0
		.amdhsa_exception_fp_ieee_invalid_op 0
		.amdhsa_exception_fp_denorm_src 0
		.amdhsa_exception_fp_ieee_div_zero 0
		.amdhsa_exception_fp_ieee_overflow 0
		.amdhsa_exception_fp_ieee_underflow 0
		.amdhsa_exception_fp_ieee_inexact 0
		.amdhsa_exception_int_div_zero 0
	.end_amdhsa_kernel
	.section	.text._ZL39rocblas_trsm_block_forward_substitutionI19rocblas_complex_numIdES1_PKS1_PS1_Lb0ELb0ELb0EEv18rocblas_operation_llT0_T1_lllT2_lllib,"axG",@progbits,_ZL39rocblas_trsm_block_forward_substitutionI19rocblas_complex_numIdES1_PKS1_PS1_Lb0ELb0ELb0EEv18rocblas_operation_llT0_T1_lllT2_lllib,comdat
.Lfunc_end241:
	.size	_ZL39rocblas_trsm_block_forward_substitutionI19rocblas_complex_numIdES1_PKS1_PS1_Lb0ELb0ELb0EEv18rocblas_operation_llT0_T1_lllT2_lllib, .Lfunc_end241-_ZL39rocblas_trsm_block_forward_substitutionI19rocblas_complex_numIdES1_PKS1_PS1_Lb0ELb0ELb0EEv18rocblas_operation_llT0_T1_lllT2_lllib
                                        ; -- End function
	.set _ZL39rocblas_trsm_block_forward_substitutionI19rocblas_complex_numIdES1_PKS1_PS1_Lb0ELb0ELb0EEv18rocblas_operation_llT0_T1_lllT2_lllib.num_vgpr, 34
	.set _ZL39rocblas_trsm_block_forward_substitutionI19rocblas_complex_numIdES1_PKS1_PS1_Lb0ELb0ELb0EEv18rocblas_operation_llT0_T1_lllT2_lllib.num_agpr, 0
	.set _ZL39rocblas_trsm_block_forward_substitutionI19rocblas_complex_numIdES1_PKS1_PS1_Lb0ELb0ELb0EEv18rocblas_operation_llT0_T1_lllT2_lllib.numbered_sgpr, 42
	.set _ZL39rocblas_trsm_block_forward_substitutionI19rocblas_complex_numIdES1_PKS1_PS1_Lb0ELb0ELb0EEv18rocblas_operation_llT0_T1_lllT2_lllib.num_named_barrier, 0
	.set _ZL39rocblas_trsm_block_forward_substitutionI19rocblas_complex_numIdES1_PKS1_PS1_Lb0ELb0ELb0EEv18rocblas_operation_llT0_T1_lllT2_lllib.private_seg_size, 0
	.set _ZL39rocblas_trsm_block_forward_substitutionI19rocblas_complex_numIdES1_PKS1_PS1_Lb0ELb0ELb0EEv18rocblas_operation_llT0_T1_lllT2_lllib.uses_vcc, 1
	.set _ZL39rocblas_trsm_block_forward_substitutionI19rocblas_complex_numIdES1_PKS1_PS1_Lb0ELb0ELb0EEv18rocblas_operation_llT0_T1_lllT2_lllib.uses_flat_scratch, 0
	.set _ZL39rocblas_trsm_block_forward_substitutionI19rocblas_complex_numIdES1_PKS1_PS1_Lb0ELb0ELb0EEv18rocblas_operation_llT0_T1_lllT2_lllib.has_dyn_sized_stack, 0
	.set _ZL39rocblas_trsm_block_forward_substitutionI19rocblas_complex_numIdES1_PKS1_PS1_Lb0ELb0ELb0EEv18rocblas_operation_llT0_T1_lllT2_lllib.has_recursion, 0
	.set _ZL39rocblas_trsm_block_forward_substitutionI19rocblas_complex_numIdES1_PKS1_PS1_Lb0ELb0ELb0EEv18rocblas_operation_llT0_T1_lllT2_lllib.has_indirect_call, 0
	.section	.AMDGPU.csdata,"",@progbits
; Kernel info:
; codeLenInByte = 2660
; TotalNumSgprs: 44
; NumVgprs: 34
; ScratchSize: 0
; MemoryBound: 1
; FloatMode: 240
; IeeeMode: 1
; LDSByteSize: 0 bytes/workgroup (compile time only)
; SGPRBlocks: 0
; VGPRBlocks: 2
; NumSGPRsForWavesPerEU: 44
; NumVGPRsForWavesPerEU: 34
; NamedBarCnt: 0
; Occupancy: 16
; WaveLimiterHint : 0
; COMPUTE_PGM_RSRC2:SCRATCH_EN: 0
; COMPUTE_PGM_RSRC2:USER_SGPR: 2
; COMPUTE_PGM_RSRC2:TRAP_HANDLER: 0
; COMPUTE_PGM_RSRC2:TGID_X_EN: 1
; COMPUTE_PGM_RSRC2:TGID_Y_EN: 1
; COMPUTE_PGM_RSRC2:TGID_Z_EN: 1
; COMPUTE_PGM_RSRC2:TIDIG_COMP_CNT: 1
	.section	.text._ZL40rocblas_trsm_block_backward_substitutionI19rocblas_complex_numIdES1_PKS1_PS1_Lb0ELb0ELb0EEv18rocblas_operation_llT0_T1_lllT2_lllib,"axG",@progbits,_ZL40rocblas_trsm_block_backward_substitutionI19rocblas_complex_numIdES1_PKS1_PS1_Lb0ELb0ELb0EEv18rocblas_operation_llT0_T1_lllT2_lllib,comdat
	.globl	_ZL40rocblas_trsm_block_backward_substitutionI19rocblas_complex_numIdES1_PKS1_PS1_Lb0ELb0ELb0EEv18rocblas_operation_llT0_T1_lllT2_lllib ; -- Begin function _ZL40rocblas_trsm_block_backward_substitutionI19rocblas_complex_numIdES1_PKS1_PS1_Lb0ELb0ELb0EEv18rocblas_operation_llT0_T1_lllT2_lllib
	.p2align	8
	.type	_ZL40rocblas_trsm_block_backward_substitutionI19rocblas_complex_numIdES1_PKS1_PS1_Lb0ELb0ELb0EEv18rocblas_operation_llT0_T1_lllT2_lllib,@function
_ZL40rocblas_trsm_block_backward_substitutionI19rocblas_complex_numIdES1_PKS1_PS1_Lb0ELb0ELb0EEv18rocblas_operation_llT0_T1_lllT2_lllib: ; @_ZL40rocblas_trsm_block_backward_substitutionI19rocblas_complex_numIdES1_PKS1_PS1_Lb0ELb0ELb0EEv18rocblas_operation_llT0_T1_lllT2_lllib
; %bb.0:
	s_load_b64 s[28:29], s[0:1], 0x68
	s_bfe_u32 s2, ttmp6, 0x40014
	s_lshr_b32 s4, ttmp7, 16
	s_add_co_i32 s2, s2, 1
	s_bfe_u32 s5, ttmp6, 0x40008
	s_mul_i32 s2, s4, s2
	s_getreg_b32 s3, hwreg(HW_REG_IB_STS2, 6, 4)
	s_add_co_i32 s5, s5, s2
	s_cmp_eq_u32 s3, 0
	s_mov_b32 s31, 0
	s_cselect_b32 s30, s4, s5
	s_wait_kmcnt 0x0
	s_cmp_ge_u32 s30, s28
	s_cbranch_scc1 .LBB242_42
; %bb.1:
	s_clause 0x2
	s_load_b256 s[20:27], s[0:1], 0x48
	s_load_b32 s2, s[0:1], 0x0
	s_load_b512 s[4:19], s[0:1], 0x8
	v_and_b32_e32 v10, 0x3ff, v0
	v_mov_b32_e32 v9, 0
	s_bitcmp1_b32 s29, 0
	s_load_u16 s29, s[0:1], 0x7e
	v_bfe_u32 v15, v0, 10, 10
	s_delay_alu instid0(VALU_DEP_2) | instskip(SKIP_1) | instid1(VALU_DEP_2)
	v_dual_mov_b32 v11, v9 :: v_dual_lshlrev_b32 v14, 4, v10
	s_mov_b64 s[34:35], src_shared_base
	v_lshl_add_u32 v25, v15, 4, 0
	s_wait_kmcnt 0x0
	s_delay_alu instid0(VALU_DEP_2)
	v_mul_u64_e32 v[2:3], s[24:25], v[10:11]
	s_cselect_b32 s24, -1, 0
	v_cmp_gt_i64_e64 s43, s[4:5], 1
	s_xor_b32 s33, s24, -1
	s_cmp_eq_u32 s2, 0x71
	v_cndmask_b32_e64 v24, 0, 1, s24
	s_cselect_b32 s2, -1, 0
	s_lshl_b64 s[36:37], s[14:15], 4
	s_bfe_u32 s14, ttmp6, 0x40010
	s_and_b32 s15, ttmp7, 0xffff
	s_add_co_i32 s14, s14, 1
	s_bfe_u32 s24, ttmp6, 0x40004
	s_mul_i32 s14, s15, s14
	s_lshl_b64 s[38:39], s[22:23], 4
	s_add_co_i32 s24, s24, s14
	s_cmp_eq_u32 s3, 0
	s_add_nc_u64 s[20:21], s[20:21], s[38:39]
	s_cselect_b32 s3, s15, s24
	s_add_nc_u64 s[14:15], s[0:1], 0x70
	v_mad_u32 v8, s3, s29, v15
	s_lshl_b32 s3, s29, 4
	v_cmp_gt_i64_e64 s44, s[4:5], 0
	s_add_co_i32 s22, s3, 0
	v_cmp_eq_u32_e64 s0, 0, v10
	v_add_nc_u32_e32 v26, s22, v14
	v_mul_u64_e32 v[12:13], s[16:17], v[10:11]
	v_cmp_le_i64_e64 s42, s[4:5], v[10:11]
	v_cmp_gt_i64_e64 s1, s[4:5], v[10:11]
	s_add_nc_u64 s[24:25], s[4:5], -1
	s_mov_b32 s23, s35
	v_cmp_gt_i64_e32 vcc_lo, s[6:7], v[8:9]
	s_add_nc_u64 s[6:7], s[12:13], s[36:37]
	v_lshl_add_u64 v[0:1], v[2:3], 4, s[20:21]
	s_lshl_b64 s[12:13], s[24:25], 4
	s_xor_b32 s46, s42, -1
	s_and_b32 s45, vcc_lo, s1
	s_delay_alu instid0(VALU_DEP_1)
	v_lshl_add_u64 v[16:17], v[8:9], 4, v[0:1]
	v_lshlrev_b32_e32 v8, 4, v10
	s_branch .LBB242_6
.LBB242_2:                              ;   in Loop: Header=BB242_6 Depth=1
	s_or_b32 exec_lo, exec_lo, s20
.LBB242_3:                              ;   in Loop: Header=BB242_6 Depth=1
	s_wait_loadcnt_dscnt 0x0
	s_delay_alu instid0(VALU_DEP_1) | instskip(NEXT) | instid1(VALU_DEP_3)
	v_mul_f64_e32 v[20:21], v[2:3], v[6:7]
	v_mul_f64_e32 v[2:3], v[2:3], v[4:5]
	s_wait_xcnt 0x0
	s_delay_alu instid0(VALU_DEP_2) | instskip(NEXT) | instid1(VALU_DEP_2)
	v_fma_f64 v[4:5], v[0:1], v[4:5], -v[20:21]
	v_fmac_f64_e32 v[2:3], v[0:1], v[6:7]
	s_delay_alu instid0(VALU_DEP_2)
	v_mov_b64_e32 v[0:1], v[4:5]
.LBB242_4:                              ;   in Loop: Header=BB242_6 Depth=1
	s_or_b32 exec_lo, exec_lo, s38
	global_store_b128 v[18:19], v[0:3], off
.LBB242_5:                              ;   in Loop: Header=BB242_6 Depth=1
	s_wait_xcnt 0x0
	s_or_b32 exec_lo, exec_lo, s3
	s_add_co_i32 s30, s30, 0x10000
	s_delay_alu instid0(SALU_CYCLE_1)
	s_cmp_lt_u32 s30, s28
	s_cbranch_scc0 .LBB242_42
.LBB242_6:                              ; =>This Loop Header: Depth=1
                                        ;     Child Loop BB242_11 Depth 2
                                        ;     Child Loop BB242_26 Depth 2
	v_cmp_ne_u32_e32 vcc_lo, 1, v24
	s_mul_u64 s[20:21], s[18:19], s[30:31]
	s_delay_alu instid0(SALU_CYCLE_1) | instskip(NEXT) | instid1(SALU_CYCLE_1)
	s_lshl_b64 s[20:21], s[20:21], 4
	s_add_nc_u64 s[20:21], s[6:7], s[20:21]
	s_cbranch_vccnz .LBB242_21
; %bb.7:                                ;   in Loop: Header=BB242_6 Depth=1
	s_and_not1_b32 vcc_lo, exec_lo, s44
	s_cbranch_vccnz .LBB242_22
; %bb.8:                                ;   in Loop: Header=BB242_6 Depth=1
	v_lshl_add_u64 v[4:5], v[12:13], 4, s[20:21]
	v_mov_b32_e32 v18, v15
	s_mov_b32 s20, s29
	s_delay_alu instid0(VALU_DEP_2)
	v_add_nc_u64_e32 v[6:7], v[4:5], v[8:9]
	s_branch .LBB242_11
.LBB242_9:                              ;   in Loop: Header=BB242_11 Depth=2
	s_or_b32 exec_lo, exec_lo, s21
	s_load_b32 s21, s[14:15], 0xc
	s_wait_kmcnt 0x0
	s_and_b32 s21, s21, 0xffff
	s_delay_alu instid0(SALU_CYCLE_1) | instskip(NEXT) | instid1(VALU_DEP_1)
	v_mul_u32_u24_e32 v0, s21, v10
	v_lshl_add_u32 v0, v0, 4, v26
	ds_store_2addr_b64 v0, v[20:21], v[22:23] offset1:1
.LBB242_10:                             ;   in Loop: Header=BB242_11 Depth=2
	s_or_b32 exec_lo, exec_lo, s3
	s_ashr_i32 s21, s20, 31
	v_add_nc_u32_e32 v18, s29, v18
	v_cmp_le_i64_e64 s3, s[4:5], s[20:21]
	s_add_co_i32 s20, s20, s29
	s_and_b32 vcc_lo, exec_lo, s3
	s_cbranch_vccnz .LBB242_22
.LBB242_11:                             ;   Parent Loop BB242_6 Depth=1
                                        ; =>  This Inner Loop Header: Depth=2
	s_mov_b32 s34, s42
	s_and_saveexec_b32 s21, s1
	s_cbranch_execz .LBB242_15
; %bb.12:                               ;   in Loop: Header=BB242_11 Depth=2
	v_ashrrev_i32_e32 v19, 31, v18
	v_cmp_lt_i32_e64 s3, v10, v18
	s_mov_b32 s34, -1
	v_cmp_gt_i64_e32 vcc_lo, s[4:5], v[18:19]
	s_and_b32 s35, s3, vcc_lo
	s_delay_alu instid0(SALU_CYCLE_1)
	s_and_saveexec_b32 s3, s35
	s_cbranch_execz .LBB242_14
; %bb.13:                               ;   in Loop: Header=BB242_11 Depth=2
	v_lshl_add_u64 v[0:1], v[18:19], 4, v[4:5]
	s_load_b32 s34, s[14:15], 0xc
	global_load_b128 v[0:3], v[0:1], off
	s_wait_kmcnt 0x0
	s_and_b32 s34, s34, 0xffff
	s_delay_alu instid0(SALU_CYCLE_1) | instskip(SKIP_1) | instid1(VALU_DEP_1)
	v_mul_lo_u32 v19, v18, s34
	s_xor_b32 s34, exec_lo, -1
	v_lshl_add_u32 v19, v19, 4, v26
	s_wait_loadcnt 0x0
	ds_store_2addr_b64 v19, v[0:1], v[2:3] offset1:1
.LBB242_14:                             ;   in Loop: Header=BB242_11 Depth=2
	s_wait_xcnt 0x0
	s_or_b32 exec_lo, exec_lo, s3
	s_delay_alu instid0(SALU_CYCLE_1) | instskip(SKIP_1) | instid1(SALU_CYCLE_1)
	s_and_not1_b32 s3, s42, exec_lo
	s_and_b32 s34, s34, exec_lo
	s_or_b32 s34, s3, s34
.LBB242_15:                             ;   in Loop: Header=BB242_11 Depth=2
	s_or_b32 exec_lo, exec_lo, s21
	s_and_saveexec_b32 s3, s34
	s_cbranch_execz .LBB242_10
; %bb.16:                               ;   in Loop: Header=BB242_11 Depth=2
	v_cmp_eq_u32_e32 vcc_lo, v10, v18
	s_and_b32 s21, s46, vcc_lo
	s_delay_alu instid0(SALU_CYCLE_1)
	s_and_b32 exec_lo, exec_lo, s21
	s_cbranch_execz .LBB242_10
; %bb.17:                               ;   in Loop: Header=BB242_11 Depth=2
	global_load_b128 v[0:3], v[6:7], off
                                        ; implicit-def: $vgpr20_vgpr21
	s_wait_loadcnt 0x0
	v_cmp_ngt_f64_e64 s21, |v[0:1]|, |v[2:3]|
	s_wait_xcnt 0x0
	s_and_saveexec_b32 s34, s21
	s_delay_alu instid0(SALU_CYCLE_1)
	s_xor_b32 s21, exec_lo, s34
                                        ; implicit-def: $vgpr22_vgpr23
	s_cbranch_execz .LBB242_19
; %bb.18:                               ;   in Loop: Header=BB242_11 Depth=2
	v_div_scale_f64 v[20:21], null, v[2:3], v[2:3], v[0:1]
	v_div_scale_f64 v[30:31], vcc_lo, v[0:1], v[2:3], v[0:1]
	s_delay_alu instid0(VALU_DEP_2) | instskip(SKIP_1) | instid1(TRANS32_DEP_1)
	v_rcp_f64_e32 v[22:23], v[20:21]
	v_nop
	v_fma_f64 v[28:29], -v[20:21], v[22:23], 1.0
	s_delay_alu instid0(VALU_DEP_1) | instskip(NEXT) | instid1(VALU_DEP_1)
	v_fmac_f64_e32 v[22:23], v[22:23], v[28:29]
	v_fma_f64 v[28:29], -v[20:21], v[22:23], 1.0
	s_delay_alu instid0(VALU_DEP_1) | instskip(NEXT) | instid1(VALU_DEP_1)
	v_fmac_f64_e32 v[22:23], v[22:23], v[28:29]
	v_mul_f64_e32 v[28:29], v[30:31], v[22:23]
	s_delay_alu instid0(VALU_DEP_1) | instskip(NEXT) | instid1(VALU_DEP_1)
	v_fma_f64 v[20:21], -v[20:21], v[28:29], v[30:31]
	v_div_fmas_f64 v[20:21], v[20:21], v[22:23], v[28:29]
	s_delay_alu instid0(VALU_DEP_1) | instskip(NEXT) | instid1(VALU_DEP_1)
	v_div_fixup_f64 v[20:21], v[20:21], v[2:3], v[0:1]
	v_fmac_f64_e32 v[2:3], v[0:1], v[20:21]
	s_delay_alu instid0(VALU_DEP_1) | instskip(NEXT) | instid1(VALU_DEP_1)
	v_div_scale_f64 v[0:1], null, v[2:3], v[2:3], 1.0
	v_rcp_f64_e32 v[22:23], v[0:1]
	v_nop
	s_delay_alu instid0(TRANS32_DEP_1) | instskip(NEXT) | instid1(VALU_DEP_1)
	v_fma_f64 v[28:29], -v[0:1], v[22:23], 1.0
	v_fmac_f64_e32 v[22:23], v[22:23], v[28:29]
	s_delay_alu instid0(VALU_DEP_1) | instskip(NEXT) | instid1(VALU_DEP_1)
	v_fma_f64 v[28:29], -v[0:1], v[22:23], 1.0
	v_fmac_f64_e32 v[22:23], v[22:23], v[28:29]
	v_div_scale_f64 v[28:29], vcc_lo, 1.0, v[2:3], 1.0
	s_delay_alu instid0(VALU_DEP_1) | instskip(NEXT) | instid1(VALU_DEP_1)
	v_mul_f64_e32 v[30:31], v[28:29], v[22:23]
	v_fma_f64 v[0:1], -v[0:1], v[30:31], v[28:29]
	s_delay_alu instid0(VALU_DEP_1) | instskip(NEXT) | instid1(VALU_DEP_1)
	v_div_fmas_f64 v[0:1], v[0:1], v[22:23], v[30:31]
	v_div_fixup_f64 v[22:23], v[0:1], v[2:3], 1.0
                                        ; implicit-def: $vgpr0_vgpr1
	s_delay_alu instid0(VALU_DEP_1)
	v_mul_f64_e32 v[20:21], v[20:21], v[22:23]
	v_xor_b32_e32 v23, 0x80000000, v23
.LBB242_19:                             ;   in Loop: Header=BB242_11 Depth=2
	s_and_not1_saveexec_b32 s21, s21
	s_cbranch_execz .LBB242_9
; %bb.20:                               ;   in Loop: Header=BB242_11 Depth=2
	v_div_scale_f64 v[20:21], null, v[0:1], v[0:1], v[2:3]
	v_div_scale_f64 v[30:31], vcc_lo, v[2:3], v[0:1], v[2:3]
	s_delay_alu instid0(VALU_DEP_2) | instskip(SKIP_1) | instid1(TRANS32_DEP_1)
	v_rcp_f64_e32 v[22:23], v[20:21]
	v_nop
	v_fma_f64 v[28:29], -v[20:21], v[22:23], 1.0
	s_delay_alu instid0(VALU_DEP_1) | instskip(NEXT) | instid1(VALU_DEP_1)
	v_fmac_f64_e32 v[22:23], v[22:23], v[28:29]
	v_fma_f64 v[28:29], -v[20:21], v[22:23], 1.0
	s_delay_alu instid0(VALU_DEP_1) | instskip(NEXT) | instid1(VALU_DEP_1)
	v_fmac_f64_e32 v[22:23], v[22:23], v[28:29]
	v_mul_f64_e32 v[28:29], v[30:31], v[22:23]
	s_delay_alu instid0(VALU_DEP_1) | instskip(NEXT) | instid1(VALU_DEP_1)
	v_fma_f64 v[20:21], -v[20:21], v[28:29], v[30:31]
	v_div_fmas_f64 v[20:21], v[20:21], v[22:23], v[28:29]
	s_delay_alu instid0(VALU_DEP_1) | instskip(NEXT) | instid1(VALU_DEP_1)
	v_div_fixup_f64 v[22:23], v[20:21], v[0:1], v[2:3]
	v_fmac_f64_e32 v[0:1], v[2:3], v[22:23]
	s_delay_alu instid0(VALU_DEP_1) | instskip(NEXT) | instid1(VALU_DEP_1)
	v_div_scale_f64 v[2:3], null, v[0:1], v[0:1], 1.0
	v_rcp_f64_e32 v[20:21], v[2:3]
	v_nop
	s_delay_alu instid0(TRANS32_DEP_1) | instskip(NEXT) | instid1(VALU_DEP_1)
	v_fma_f64 v[28:29], -v[2:3], v[20:21], 1.0
	v_fmac_f64_e32 v[20:21], v[20:21], v[28:29]
	s_delay_alu instid0(VALU_DEP_1) | instskip(NEXT) | instid1(VALU_DEP_1)
	v_fma_f64 v[28:29], -v[2:3], v[20:21], 1.0
	v_fmac_f64_e32 v[20:21], v[20:21], v[28:29]
	v_div_scale_f64 v[28:29], vcc_lo, 1.0, v[0:1], 1.0
	s_delay_alu instid0(VALU_DEP_1) | instskip(NEXT) | instid1(VALU_DEP_1)
	v_mul_f64_e32 v[30:31], v[28:29], v[20:21]
	v_fma_f64 v[2:3], -v[2:3], v[30:31], v[28:29]
	s_delay_alu instid0(VALU_DEP_1) | instskip(NEXT) | instid1(VALU_DEP_1)
	v_div_fmas_f64 v[2:3], v[2:3], v[20:21], v[30:31]
	v_div_fixup_f64 v[20:21], v[2:3], v[0:1], 1.0
	s_delay_alu instid0(VALU_DEP_1)
	v_mul_f64_e64 v[22:23], v[22:23], -v[20:21]
	s_branch .LBB242_9
.LBB242_21:                             ;   in Loop: Header=BB242_6 Depth=1
	s_mov_b64 s[34:35], 1
	s_mov_b64 s[36:37], s[16:17]
	s_and_saveexec_b32 s3, s45
	s_cbranch_execz .LBB242_5
	s_branch .LBB242_23
.LBB242_22:                             ;   in Loop: Header=BB242_6 Depth=1
	s_load_b32 s3, s[14:15], 0xc
	s_mov_b32 s35, s31
	s_mov_b64 s[36:37], 1
	s_mov_b64 s[20:21], s[22:23]
	s_wait_kmcnt 0x0
	s_and_b32 s34, s3, 0xffff
	s_and_saveexec_b32 s3, s45
	s_cbranch_execz .LBB242_5
.LBB242_23:                             ;   in Loop: Header=BB242_6 Depth=1
	s_mul_u64 s[38:39], s[26:27], s[30:31]
	s_and_not1_b32 vcc_lo, exec_lo, s43
	v_lshl_add_u64 v[18:19], s[38:39], 4, v[16:17]
	global_load_b128 v[4:7], v[18:19], off
	s_wait_loadcnt 0x0
	v_mul_f64_e32 v[0:1], s[10:11], v[6:7]
	v_mul_f64_e32 v[2:3], s[8:9], v[6:7]
	s_delay_alu instid0(VALU_DEP_2) | instskip(NEXT) | instid1(VALU_DEP_2)
	v_fma_f64 v[0:1], s[8:9], v[4:5], -v[0:1]
	v_fmac_f64_e32 v[2:3], s[10:11], v[4:5]
	s_cbranch_vccnz .LBB242_36
; %bb.24:                               ;   in Loop: Header=BB242_6 Depth=1
	s_add_nc_u64 s[38:39], s[34:35], s[36:37]
	s_mov_b64 s[40:41], s[24:25]
	v_mul_u64_e32 v[4:5], s[38:39], v[10:11]
	s_mul_u64 s[38:39], s[12:13], s[34:35]
	s_delay_alu instid0(SALU_CYCLE_1) | instskip(NEXT) | instid1(SALU_CYCLE_1)
	s_add_nc_u64 s[38:39], s[20:21], s[38:39]
	v_mad_nc_u64_u32 v[6:7], v14, s36, s[38:39]
	s_lshl_b32 s38, s34, 4
	s_mov_b32 s39, s31
	s_delay_alu instid0(SALU_CYCLE_1) | instskip(NEXT) | instid1(VALU_DEP_1)
	s_sub_nc_u64 s[38:39], 0, s[38:39]
	v_mad_u32 v7, v14, s37, v7
	s_delay_alu instid0(VALU_DEP_1) | instskip(NEXT) | instid1(VALU_DEP_4)
	v_add_nc_u64_e32 v[20:21], 8, v[6:7]
	v_lshl_add_u64 v[22:23], v[4:5], 4, s[20:21]
	s_branch .LBB242_26
.LBB242_25:                             ;   in Loop: Header=BB242_26 Depth=2
	s_wait_xcnt 0x0
	s_or_b32 exec_lo, exec_lo, s47
	s_add_nc_u64 s[48:49], s[40:41], 1
	v_add_nc_u64_e32 v[20:21], s[38:39], v[20:21]
	v_cmp_lt_u64_e64 s47, s[48:49], 3
	s_add_nc_u64 s[40:41], s[40:41], -1
	s_and_b32 vcc_lo, exec_lo, s47
	s_cbranch_vccnz .LBB242_36
.LBB242_26:                             ;   Parent Loop BB242_6 Depth=1
                                        ; =>  This Inner Loop Header: Depth=2
	s_mov_b32 s47, exec_lo
	s_wait_dscnt 0x0
	s_barrier_signal -1
	s_barrier_wait -1
	s_wait_xcnt 0x0
	v_cmpx_eq_u64_e64 s[40:41], v[10:11]
	s_cbranch_execz .LBB242_34
; %bb.27:                               ;   in Loop: Header=BB242_26 Depth=2
	flat_load_b128 v[4:7], v[22:23]
	s_and_not1_b32 vcc_lo, exec_lo, s33
	s_cbranch_vccnz .LBB242_33
; %bb.28:                               ;   in Loop: Header=BB242_26 Depth=2
	s_wait_loadcnt_dscnt 0x0
	v_cmp_ngt_f64_e64 s48, |v[4:5]|, |v[6:7]|
	s_wait_xcnt 0x0
	s_and_saveexec_b32 s49, s48
	s_delay_alu instid0(SALU_CYCLE_1)
	s_xor_b32 s48, exec_lo, s49
	s_cbranch_execz .LBB242_30
; %bb.29:                               ;   in Loop: Header=BB242_26 Depth=2
	v_div_scale_f64 v[28:29], null, v[6:7], v[6:7], v[4:5]
	v_div_scale_f64 v[34:35], vcc_lo, v[4:5], v[6:7], v[4:5]
	s_delay_alu instid0(VALU_DEP_2) | instskip(SKIP_1) | instid1(TRANS32_DEP_1)
	v_rcp_f64_e32 v[30:31], v[28:29]
	v_nop
	v_fma_f64 v[32:33], -v[28:29], v[30:31], 1.0
	s_delay_alu instid0(VALU_DEP_1) | instskip(NEXT) | instid1(VALU_DEP_1)
	v_fmac_f64_e32 v[30:31], v[30:31], v[32:33]
	v_fma_f64 v[32:33], -v[28:29], v[30:31], 1.0
	s_delay_alu instid0(VALU_DEP_1) | instskip(NEXT) | instid1(VALU_DEP_1)
	v_fmac_f64_e32 v[30:31], v[30:31], v[32:33]
	v_mul_f64_e32 v[32:33], v[34:35], v[30:31]
	s_delay_alu instid0(VALU_DEP_1) | instskip(NEXT) | instid1(VALU_DEP_1)
	v_fma_f64 v[28:29], -v[28:29], v[32:33], v[34:35]
	v_div_fmas_f64 v[28:29], v[28:29], v[30:31], v[32:33]
	s_delay_alu instid0(VALU_DEP_1) | instskip(NEXT) | instid1(VALU_DEP_1)
	v_div_fixup_f64 v[28:29], v[28:29], v[6:7], v[4:5]
	v_fmac_f64_e32 v[6:7], v[4:5], v[28:29]
	s_delay_alu instid0(VALU_DEP_1) | instskip(NEXT) | instid1(VALU_DEP_1)
	v_div_scale_f64 v[4:5], null, v[6:7], v[6:7], 1.0
	v_rcp_f64_e32 v[30:31], v[4:5]
	v_nop
	s_delay_alu instid0(TRANS32_DEP_1) | instskip(NEXT) | instid1(VALU_DEP_1)
	v_fma_f64 v[32:33], -v[4:5], v[30:31], 1.0
	v_fmac_f64_e32 v[30:31], v[30:31], v[32:33]
	s_delay_alu instid0(VALU_DEP_1) | instskip(NEXT) | instid1(VALU_DEP_1)
	v_fma_f64 v[32:33], -v[4:5], v[30:31], 1.0
	v_fmac_f64_e32 v[30:31], v[30:31], v[32:33]
	v_div_scale_f64 v[32:33], vcc_lo, 1.0, v[6:7], 1.0
	s_delay_alu instid0(VALU_DEP_1) | instskip(NEXT) | instid1(VALU_DEP_1)
	v_mul_f64_e32 v[34:35], v[32:33], v[30:31]
	v_fma_f64 v[4:5], -v[4:5], v[34:35], v[32:33]
	s_delay_alu instid0(VALU_DEP_1) | instskip(NEXT) | instid1(VALU_DEP_1)
	v_div_fmas_f64 v[4:5], v[4:5], v[30:31], v[34:35]
	v_div_fixup_f64 v[6:7], v[4:5], v[6:7], 1.0
	s_delay_alu instid0(VALU_DEP_1)
	v_mul_f64_e32 v[4:5], v[28:29], v[6:7]
	v_xor_b32_e32 v7, 0x80000000, v7
.LBB242_30:                             ;   in Loop: Header=BB242_26 Depth=2
	s_and_not1_saveexec_b32 s48, s48
	s_cbranch_execz .LBB242_32
; %bb.31:                               ;   in Loop: Header=BB242_26 Depth=2
	s_delay_alu instid0(VALU_DEP_1) | instskip(SKIP_1) | instid1(VALU_DEP_2)
	v_div_scale_f64 v[28:29], null, v[4:5], v[4:5], v[6:7]
	v_div_scale_f64 v[34:35], vcc_lo, v[6:7], v[4:5], v[6:7]
	v_rcp_f64_e32 v[30:31], v[28:29]
	v_nop
	s_delay_alu instid0(TRANS32_DEP_1) | instskip(NEXT) | instid1(VALU_DEP_1)
	v_fma_f64 v[32:33], -v[28:29], v[30:31], 1.0
	v_fmac_f64_e32 v[30:31], v[30:31], v[32:33]
	s_delay_alu instid0(VALU_DEP_1) | instskip(NEXT) | instid1(VALU_DEP_1)
	v_fma_f64 v[32:33], -v[28:29], v[30:31], 1.0
	v_fmac_f64_e32 v[30:31], v[30:31], v[32:33]
	s_delay_alu instid0(VALU_DEP_1) | instskip(NEXT) | instid1(VALU_DEP_1)
	v_mul_f64_e32 v[32:33], v[34:35], v[30:31]
	v_fma_f64 v[28:29], -v[28:29], v[32:33], v[34:35]
	s_delay_alu instid0(VALU_DEP_1) | instskip(NEXT) | instid1(VALU_DEP_1)
	v_div_fmas_f64 v[28:29], v[28:29], v[30:31], v[32:33]
	v_div_fixup_f64 v[28:29], v[28:29], v[4:5], v[6:7]
	s_delay_alu instid0(VALU_DEP_1) | instskip(NEXT) | instid1(VALU_DEP_1)
	v_fmac_f64_e32 v[4:5], v[6:7], v[28:29]
	v_div_scale_f64 v[6:7], null, v[4:5], v[4:5], 1.0
	s_delay_alu instid0(VALU_DEP_1) | instskip(SKIP_1) | instid1(TRANS32_DEP_1)
	v_rcp_f64_e32 v[30:31], v[6:7]
	v_nop
	v_fma_f64 v[32:33], -v[6:7], v[30:31], 1.0
	s_delay_alu instid0(VALU_DEP_1) | instskip(NEXT) | instid1(VALU_DEP_1)
	v_fmac_f64_e32 v[30:31], v[30:31], v[32:33]
	v_fma_f64 v[32:33], -v[6:7], v[30:31], 1.0
	s_delay_alu instid0(VALU_DEP_1) | instskip(SKIP_1) | instid1(VALU_DEP_1)
	v_fmac_f64_e32 v[30:31], v[30:31], v[32:33]
	v_div_scale_f64 v[32:33], vcc_lo, 1.0, v[4:5], 1.0
	v_mul_f64_e32 v[34:35], v[32:33], v[30:31]
	s_delay_alu instid0(VALU_DEP_1) | instskip(NEXT) | instid1(VALU_DEP_1)
	v_fma_f64 v[6:7], -v[6:7], v[34:35], v[32:33]
	v_div_fmas_f64 v[6:7], v[6:7], v[30:31], v[34:35]
	s_delay_alu instid0(VALU_DEP_1) | instskip(NEXT) | instid1(VALU_DEP_1)
	v_div_fixup_f64 v[4:5], v[6:7], v[4:5], 1.0
	v_mul_f64_e64 v[6:7], v[28:29], -v[4:5]
.LBB242_32:                             ;   in Loop: Header=BB242_26 Depth=2
	s_or_b32 exec_lo, exec_lo, s48
.LBB242_33:                             ;   in Loop: Header=BB242_26 Depth=2
	s_wait_loadcnt_dscnt 0x0
	s_delay_alu instid0(VALU_DEP_1) | instskip(SKIP_1) | instid1(VALU_DEP_2)
	v_mul_f64_e32 v[28:29], v[0:1], v[6:7]
	v_mul_f64_e32 v[6:7], v[2:3], v[6:7]
	v_fmac_f64_e32 v[28:29], v[2:3], v[4:5]
	s_delay_alu instid0(VALU_DEP_2) | instskip(NEXT) | instid1(VALU_DEP_2)
	v_fma_f64 v[4:5], v[0:1], v[4:5], -v[6:7]
	v_mov_b64_e32 v[2:3], v[28:29]
	s_delay_alu instid0(VALU_DEP_2)
	v_mov_b64_e32 v[0:1], v[4:5]
	ds_store_2addr_b64 v25, v[4:5], v[28:29] offset1:1
.LBB242_34:                             ;   in Loop: Header=BB242_26 Depth=2
	s_wait_xcnt 0x0
	s_or_b32 exec_lo, exec_lo, s47
	s_delay_alu instid0(SALU_CYCLE_1)
	s_mov_b32 s47, exec_lo
	s_wait_dscnt 0x0
	s_barrier_signal -1
	s_barrier_wait -1
	v_cmpx_gt_i64_e64 s[40:41], v[10:11]
	s_cbranch_execz .LBB242_25
; %bb.35:                               ;   in Loop: Header=BB242_26 Depth=2
	flat_load_b128 v[4:7], v[20:21] offset:-8
	ds_load_2addr_b64 v[28:31], v25 offset1:1
	s_wait_loadcnt_dscnt 0x1
	v_xor_b32_e32 v27, 0x80000000, v7
	s_delay_alu instid0(VALU_DEP_1) | instskip(SKIP_1) | instid1(VALU_DEP_1)
	v_cndmask_b32_e64 v7, v7, v27, s2
	s_wait_dscnt 0x0
	v_mul_f64_e32 v[32:33], v[6:7], v[30:31]
	v_mul_f64_e32 v[30:31], v[4:5], v[30:31]
	s_delay_alu instid0(VALU_DEP_2) | instskip(NEXT) | instid1(VALU_DEP_2)
	v_fma_f64 v[4:5], v[4:5], v[28:29], -v[32:33]
	v_fmac_f64_e32 v[30:31], v[6:7], v[28:29]
	s_delay_alu instid0(VALU_DEP_2) | instskip(NEXT) | instid1(VALU_DEP_2)
	v_add_f64_e64 v[0:1], v[0:1], -v[4:5]
	v_add_f64_e64 v[2:3], v[2:3], -v[30:31]
	s_branch .LBB242_25
.LBB242_36:                             ;   in Loop: Header=BB242_6 Depth=1
	s_wait_xcnt 0x0
	s_and_saveexec_b32 s38, s0
	s_cbranch_execz .LBB242_4
; %bb.37:                               ;   in Loop: Header=BB242_6 Depth=1
	s_add_nc_u64 s[34:35], s[34:35], s[36:37]
	s_and_not1_b32 vcc_lo, exec_lo, s33
	v_mul_u64_e32 v[4:5], s[34:35], v[10:11]
	s_delay_alu instid0(VALU_DEP_1)
	v_lshl_add_u64 v[4:5], v[4:5], 4, s[20:21]
	flat_load_b128 v[4:7], v[4:5]
	s_cbranch_vccnz .LBB242_3
; %bb.38:                               ;   in Loop: Header=BB242_6 Depth=1
	s_wait_loadcnt_dscnt 0x0
	v_cmp_ngt_f64_e64 s20, |v[4:5]|, |v[6:7]|
	s_wait_xcnt 0x0
	s_and_saveexec_b32 s21, s20
	s_delay_alu instid0(SALU_CYCLE_1)
	s_xor_b32 s20, exec_lo, s21
	s_cbranch_execz .LBB242_40
; %bb.39:                               ;   in Loop: Header=BB242_6 Depth=1
	v_div_scale_f64 v[20:21], null, v[6:7], v[6:7], v[4:5]
	v_div_scale_f64 v[30:31], vcc_lo, v[4:5], v[6:7], v[4:5]
	s_delay_alu instid0(VALU_DEP_2) | instskip(SKIP_1) | instid1(TRANS32_DEP_1)
	v_rcp_f64_e32 v[22:23], v[20:21]
	v_nop
	v_fma_f64 v[28:29], -v[20:21], v[22:23], 1.0
	s_delay_alu instid0(VALU_DEP_1) | instskip(NEXT) | instid1(VALU_DEP_1)
	v_fmac_f64_e32 v[22:23], v[22:23], v[28:29]
	v_fma_f64 v[28:29], -v[20:21], v[22:23], 1.0
	s_delay_alu instid0(VALU_DEP_1) | instskip(NEXT) | instid1(VALU_DEP_1)
	v_fmac_f64_e32 v[22:23], v[22:23], v[28:29]
	v_mul_f64_e32 v[28:29], v[30:31], v[22:23]
	s_delay_alu instid0(VALU_DEP_1) | instskip(NEXT) | instid1(VALU_DEP_1)
	v_fma_f64 v[20:21], -v[20:21], v[28:29], v[30:31]
	v_div_fmas_f64 v[20:21], v[20:21], v[22:23], v[28:29]
	s_delay_alu instid0(VALU_DEP_1) | instskip(NEXT) | instid1(VALU_DEP_1)
	v_div_fixup_f64 v[20:21], v[20:21], v[6:7], v[4:5]
	v_fmac_f64_e32 v[6:7], v[4:5], v[20:21]
	s_delay_alu instid0(VALU_DEP_1) | instskip(NEXT) | instid1(VALU_DEP_1)
	v_div_scale_f64 v[4:5], null, v[6:7], v[6:7], 1.0
	v_rcp_f64_e32 v[22:23], v[4:5]
	v_nop
	s_delay_alu instid0(TRANS32_DEP_1) | instskip(NEXT) | instid1(VALU_DEP_1)
	v_fma_f64 v[28:29], -v[4:5], v[22:23], 1.0
	v_fmac_f64_e32 v[22:23], v[22:23], v[28:29]
	s_delay_alu instid0(VALU_DEP_1) | instskip(NEXT) | instid1(VALU_DEP_1)
	v_fma_f64 v[28:29], -v[4:5], v[22:23], 1.0
	v_fmac_f64_e32 v[22:23], v[22:23], v[28:29]
	v_div_scale_f64 v[28:29], vcc_lo, 1.0, v[6:7], 1.0
	s_delay_alu instid0(VALU_DEP_1) | instskip(NEXT) | instid1(VALU_DEP_1)
	v_mul_f64_e32 v[30:31], v[28:29], v[22:23]
	v_fma_f64 v[4:5], -v[4:5], v[30:31], v[28:29]
	s_delay_alu instid0(VALU_DEP_1) | instskip(NEXT) | instid1(VALU_DEP_1)
	v_div_fmas_f64 v[4:5], v[4:5], v[22:23], v[30:31]
	v_div_fixup_f64 v[6:7], v[4:5], v[6:7], 1.0
	s_delay_alu instid0(VALU_DEP_1)
	v_mul_f64_e32 v[4:5], v[20:21], v[6:7]
	v_xor_b32_e32 v7, 0x80000000, v7
.LBB242_40:                             ;   in Loop: Header=BB242_6 Depth=1
	s_and_not1_saveexec_b32 s20, s20
	s_cbranch_execz .LBB242_2
; %bb.41:                               ;   in Loop: Header=BB242_6 Depth=1
	s_delay_alu instid0(VALU_DEP_1) | instskip(SKIP_1) | instid1(VALU_DEP_2)
	v_div_scale_f64 v[20:21], null, v[4:5], v[4:5], v[6:7]
	v_div_scale_f64 v[30:31], vcc_lo, v[6:7], v[4:5], v[6:7]
	v_rcp_f64_e32 v[22:23], v[20:21]
	v_nop
	s_delay_alu instid0(TRANS32_DEP_1) | instskip(NEXT) | instid1(VALU_DEP_1)
	v_fma_f64 v[28:29], -v[20:21], v[22:23], 1.0
	v_fmac_f64_e32 v[22:23], v[22:23], v[28:29]
	s_delay_alu instid0(VALU_DEP_1) | instskip(NEXT) | instid1(VALU_DEP_1)
	v_fma_f64 v[28:29], -v[20:21], v[22:23], 1.0
	v_fmac_f64_e32 v[22:23], v[22:23], v[28:29]
	s_delay_alu instid0(VALU_DEP_1) | instskip(NEXT) | instid1(VALU_DEP_1)
	v_mul_f64_e32 v[28:29], v[30:31], v[22:23]
	v_fma_f64 v[20:21], -v[20:21], v[28:29], v[30:31]
	s_delay_alu instid0(VALU_DEP_1) | instskip(NEXT) | instid1(VALU_DEP_1)
	v_div_fmas_f64 v[20:21], v[20:21], v[22:23], v[28:29]
	v_div_fixup_f64 v[20:21], v[20:21], v[4:5], v[6:7]
	s_delay_alu instid0(VALU_DEP_1) | instskip(NEXT) | instid1(VALU_DEP_1)
	v_fmac_f64_e32 v[4:5], v[6:7], v[20:21]
	v_div_scale_f64 v[6:7], null, v[4:5], v[4:5], 1.0
	s_delay_alu instid0(VALU_DEP_1) | instskip(SKIP_1) | instid1(TRANS32_DEP_1)
	v_rcp_f64_e32 v[22:23], v[6:7]
	v_nop
	v_fma_f64 v[28:29], -v[6:7], v[22:23], 1.0
	s_delay_alu instid0(VALU_DEP_1) | instskip(NEXT) | instid1(VALU_DEP_1)
	v_fmac_f64_e32 v[22:23], v[22:23], v[28:29]
	v_fma_f64 v[28:29], -v[6:7], v[22:23], 1.0
	s_delay_alu instid0(VALU_DEP_1) | instskip(SKIP_1) | instid1(VALU_DEP_1)
	v_fmac_f64_e32 v[22:23], v[22:23], v[28:29]
	v_div_scale_f64 v[28:29], vcc_lo, 1.0, v[4:5], 1.0
	v_mul_f64_e32 v[30:31], v[28:29], v[22:23]
	s_delay_alu instid0(VALU_DEP_1) | instskip(NEXT) | instid1(VALU_DEP_1)
	v_fma_f64 v[6:7], -v[6:7], v[30:31], v[28:29]
	v_div_fmas_f64 v[6:7], v[6:7], v[22:23], v[30:31]
	s_delay_alu instid0(VALU_DEP_1) | instskip(NEXT) | instid1(VALU_DEP_1)
	v_div_fixup_f64 v[4:5], v[6:7], v[4:5], 1.0
	v_mul_f64_e64 v[6:7], v[20:21], -v[4:5]
	s_branch .LBB242_2
.LBB242_42:
	s_endpgm
	.section	.rodata,"a",@progbits
	.p2align	6, 0x0
	.amdhsa_kernel _ZL40rocblas_trsm_block_backward_substitutionI19rocblas_complex_numIdES1_PKS1_PS1_Lb0ELb0ELb0EEv18rocblas_operation_llT0_T1_lllT2_lllib
		.amdhsa_group_segment_fixed_size 0
		.amdhsa_private_segment_fixed_size 0
		.amdhsa_kernarg_size 368
		.amdhsa_user_sgpr_count 2
		.amdhsa_user_sgpr_dispatch_ptr 0
		.amdhsa_user_sgpr_queue_ptr 0
		.amdhsa_user_sgpr_kernarg_segment_ptr 1
		.amdhsa_user_sgpr_dispatch_id 0
		.amdhsa_user_sgpr_kernarg_preload_length 0
		.amdhsa_user_sgpr_kernarg_preload_offset 0
		.amdhsa_user_sgpr_private_segment_size 0
		.amdhsa_wavefront_size32 1
		.amdhsa_uses_dynamic_stack 0
		.amdhsa_enable_private_segment 0
		.amdhsa_system_sgpr_workgroup_id_x 1
		.amdhsa_system_sgpr_workgroup_id_y 1
		.amdhsa_system_sgpr_workgroup_id_z 1
		.amdhsa_system_sgpr_workgroup_info 0
		.amdhsa_system_vgpr_workitem_id 1
		.amdhsa_next_free_vgpr 36
		.amdhsa_next_free_sgpr 50
		.amdhsa_named_barrier_count 0
		.amdhsa_reserve_vcc 1
		.amdhsa_float_round_mode_32 0
		.amdhsa_float_round_mode_16_64 0
		.amdhsa_float_denorm_mode_32 3
		.amdhsa_float_denorm_mode_16_64 3
		.amdhsa_fp16_overflow 0
		.amdhsa_memory_ordered 1
		.amdhsa_forward_progress 1
		.amdhsa_inst_pref_size 22
		.amdhsa_round_robin_scheduling 0
		.amdhsa_exception_fp_ieee_invalid_op 0
		.amdhsa_exception_fp_denorm_src 0
		.amdhsa_exception_fp_ieee_div_zero 0
		.amdhsa_exception_fp_ieee_overflow 0
		.amdhsa_exception_fp_ieee_underflow 0
		.amdhsa_exception_fp_ieee_inexact 0
		.amdhsa_exception_int_div_zero 0
	.end_amdhsa_kernel
	.section	.text._ZL40rocblas_trsm_block_backward_substitutionI19rocblas_complex_numIdES1_PKS1_PS1_Lb0ELb0ELb0EEv18rocblas_operation_llT0_T1_lllT2_lllib,"axG",@progbits,_ZL40rocblas_trsm_block_backward_substitutionI19rocblas_complex_numIdES1_PKS1_PS1_Lb0ELb0ELb0EEv18rocblas_operation_llT0_T1_lllT2_lllib,comdat
.Lfunc_end242:
	.size	_ZL40rocblas_trsm_block_backward_substitutionI19rocblas_complex_numIdES1_PKS1_PS1_Lb0ELb0ELb0EEv18rocblas_operation_llT0_T1_lllT2_lllib, .Lfunc_end242-_ZL40rocblas_trsm_block_backward_substitutionI19rocblas_complex_numIdES1_PKS1_PS1_Lb0ELb0ELb0EEv18rocblas_operation_llT0_T1_lllT2_lllib
                                        ; -- End function
	.set _ZL40rocblas_trsm_block_backward_substitutionI19rocblas_complex_numIdES1_PKS1_PS1_Lb0ELb0ELb0EEv18rocblas_operation_llT0_T1_lllT2_lllib.num_vgpr, 36
	.set _ZL40rocblas_trsm_block_backward_substitutionI19rocblas_complex_numIdES1_PKS1_PS1_Lb0ELb0ELb0EEv18rocblas_operation_llT0_T1_lllT2_lllib.num_agpr, 0
	.set _ZL40rocblas_trsm_block_backward_substitutionI19rocblas_complex_numIdES1_PKS1_PS1_Lb0ELb0ELb0EEv18rocblas_operation_llT0_T1_lllT2_lllib.numbered_sgpr, 50
	.set _ZL40rocblas_trsm_block_backward_substitutionI19rocblas_complex_numIdES1_PKS1_PS1_Lb0ELb0ELb0EEv18rocblas_operation_llT0_T1_lllT2_lllib.num_named_barrier, 0
	.set _ZL40rocblas_trsm_block_backward_substitutionI19rocblas_complex_numIdES1_PKS1_PS1_Lb0ELb0ELb0EEv18rocblas_operation_llT0_T1_lllT2_lllib.private_seg_size, 0
	.set _ZL40rocblas_trsm_block_backward_substitutionI19rocblas_complex_numIdES1_PKS1_PS1_Lb0ELb0ELb0EEv18rocblas_operation_llT0_T1_lllT2_lllib.uses_vcc, 1
	.set _ZL40rocblas_trsm_block_backward_substitutionI19rocblas_complex_numIdES1_PKS1_PS1_Lb0ELb0ELb0EEv18rocblas_operation_llT0_T1_lllT2_lllib.uses_flat_scratch, 0
	.set _ZL40rocblas_trsm_block_backward_substitutionI19rocblas_complex_numIdES1_PKS1_PS1_Lb0ELb0ELb0EEv18rocblas_operation_llT0_T1_lllT2_lllib.has_dyn_sized_stack, 0
	.set _ZL40rocblas_trsm_block_backward_substitutionI19rocblas_complex_numIdES1_PKS1_PS1_Lb0ELb0ELb0EEv18rocblas_operation_llT0_T1_lllT2_lllib.has_recursion, 0
	.set _ZL40rocblas_trsm_block_backward_substitutionI19rocblas_complex_numIdES1_PKS1_PS1_Lb0ELb0ELb0EEv18rocblas_operation_llT0_T1_lllT2_lllib.has_indirect_call, 0
	.section	.AMDGPU.csdata,"",@progbits
; Kernel info:
; codeLenInByte = 2720
; TotalNumSgprs: 52
; NumVgprs: 36
; ScratchSize: 0
; MemoryBound: 1
; FloatMode: 240
; IeeeMode: 1
; LDSByteSize: 0 bytes/workgroup (compile time only)
; SGPRBlocks: 0
; VGPRBlocks: 2
; NumSGPRsForWavesPerEU: 52
; NumVGPRsForWavesPerEU: 36
; NamedBarCnt: 0
; Occupancy: 16
; WaveLimiterHint : 0
; COMPUTE_PGM_RSRC2:SCRATCH_EN: 0
; COMPUTE_PGM_RSRC2:USER_SGPR: 2
; COMPUTE_PGM_RSRC2:TRAP_HANDLER: 0
; COMPUTE_PGM_RSRC2:TGID_X_EN: 1
; COMPUTE_PGM_RSRC2:TGID_Y_EN: 1
; COMPUTE_PGM_RSRC2:TGID_Z_EN: 1
; COMPUTE_PGM_RSRC2:TIDIG_COMP_CNT: 1
	.section	.text._ZL39rocblas_trsm_block_forward_substitutionI19rocblas_complex_numIdES1_PKS1_PS1_Lb0ELb0ELb1EEv18rocblas_operation_llT0_T1_lllT2_lllib,"axG",@progbits,_ZL39rocblas_trsm_block_forward_substitutionI19rocblas_complex_numIdES1_PKS1_PS1_Lb0ELb0ELb1EEv18rocblas_operation_llT0_T1_lllT2_lllib,comdat
	.globl	_ZL39rocblas_trsm_block_forward_substitutionI19rocblas_complex_numIdES1_PKS1_PS1_Lb0ELb0ELb1EEv18rocblas_operation_llT0_T1_lllT2_lllib ; -- Begin function _ZL39rocblas_trsm_block_forward_substitutionI19rocblas_complex_numIdES1_PKS1_PS1_Lb0ELb0ELb1EEv18rocblas_operation_llT0_T1_lllT2_lllib
	.p2align	8
	.type	_ZL39rocblas_trsm_block_forward_substitutionI19rocblas_complex_numIdES1_PKS1_PS1_Lb0ELb0ELb1EEv18rocblas_operation_llT0_T1_lllT2_lllib,@function
_ZL39rocblas_trsm_block_forward_substitutionI19rocblas_complex_numIdES1_PKS1_PS1_Lb0ELb0ELb1EEv18rocblas_operation_llT0_T1_lllT2_lllib: ; @_ZL39rocblas_trsm_block_forward_substitutionI19rocblas_complex_numIdES1_PKS1_PS1_Lb0ELb0ELb1EEv18rocblas_operation_llT0_T1_lllT2_lllib
; %bb.0:
	s_load_b64 s[28:29], s[0:1], 0x68
	s_bfe_u32 s2, ttmp6, 0x40014
	s_lshr_b32 s3, ttmp7, 16
	s_add_co_i32 s2, s2, 1
	s_bfe_u32 s4, ttmp6, 0x40008
	s_mul_i32 s2, s3, s2
	s_getreg_b32 s34, hwreg(HW_REG_IB_STS2, 6, 4)
	s_add_co_i32 s4, s4, s2
	s_cmp_eq_u32 s34, 0
	s_mov_b32 s31, 0
	s_cselect_b32 s30, s3, s4
	s_wait_kmcnt 0x0
	s_cmp_ge_u32 s30, s28
	s_cbranch_scc1 .LBB243_19
; %bb.1:
	s_mov_b64 s[2:3], src_shared_base
	s_clause 0x3
	s_load_b32 s2, s[0:1], 0x0
	s_load_b512 s[4:19], s[0:1], 0x8
	s_load_b256 s[20:27], s[0:1], 0x48
	s_load_u16 s33, s[0:1], 0x7e
	s_bitcmp1_b32 s29, 0
	v_bfe_u32 v16, v0, 10, 10
	s_cselect_b32 s29, -1, 0
	v_and_b32_e32 v6, 0x3ff, v0
	v_mov_b32_e32 v5, 0
	s_delay_alu instid0(VALU_DEP_3) | instskip(NEXT) | instid1(VALU_DEP_2)
	v_lshl_add_u32 v17, v16, 4, 0
	v_dual_mov_b32 v7, v5 :: v_dual_lshlrev_b32 v0, 4, v6
	v_dual_mov_b32 v1, v5 :: v_dual_mov_b32 v9, v5
	s_delay_alu instid0(VALU_DEP_2)
	v_or_b32_e32 v8, 8, v0
	s_wait_kmcnt 0x0
	s_cmp_eq_u32 s2, 0x71
	s_cselect_b32 s2, -1, 0
	s_lshl_b64 s[36:37], s[14:15], 4
	s_bfe_u32 s14, ttmp6, 0x40010
	s_and_b32 s15, ttmp7, 0xffff
	s_add_co_i32 s14, s14, 1
	s_bfe_u32 s35, ttmp6, 0x40004
	s_mul_i32 s14, s15, s14
	s_lshl_b64 s[22:23], s[22:23], 4
	s_add_co_i32 s35, s35, s14
	s_cmp_eq_u32 s34, 0
	s_add_nc_u64 s[20:21], s[20:21], s[22:23]
	s_cselect_b32 s14, s15, s35
	s_lshl_b32 s22, s33, 4
	v_mad_u32 v4, s14, s33, v16
	s_add_nc_u64 s[14:15], s[0:1], 0x70
	v_cmp_gt_i64_e64 s0, s[4:5], v[6:7]
	v_cmp_gt_i64_e64 s1, s[4:5], 0
	;; [unrolled: 1-line block ×3, first 2 shown]
	s_add_nc_u64 s[12:13], s[12:13], s[36:37]
	v_mul_u64_e32 v[2:3], s[24:25], v[4:5]
	v_cmp_gt_i64_e32 vcc_lo, s[6:7], v[4:5]
	s_add_nc_u64 s[6:7], s[4:5], -1
	v_lshlrev_b32_e32 v4, 4, v6
	s_delay_alu instid0(VALU_DEP_3)
	v_lshl_add_u64 v[2:3], v[2:3], 4, s[20:21]
	s_add_co_i32 s20, s22, 0
	s_mov_b32 s21, s3
	v_add_nc_u32_e32 v18, s20, v0
	s_and_b32 s3, vcc_lo, s0
	v_add_nc_u64_e32 v[10:11], v[2:3], v[0:1]
	s_branch .LBB243_4
.LBB243_2:                              ;   in Loop: Header=BB243_4 Depth=1
	global_store_b128 v[12:13], v[0:3], off
.LBB243_3:                              ;   in Loop: Header=BB243_4 Depth=1
	s_wait_xcnt 0x0
	s_or_b32 exec_lo, exec_lo, s35
	s_add_co_i32 s30, s30, 0x10000
	s_delay_alu instid0(SALU_CYCLE_1)
	s_cmp_lt_u32 s30, s28
	s_cbranch_scc0 .LBB243_19
.LBB243_4:                              ; =>This Loop Header: Depth=1
                                        ;     Child Loop BB243_9 Depth 2
                                        ;     Child Loop BB243_15 Depth 2
	s_mul_u64 s[22:23], s[18:19], s[30:31]
	s_and_not1_b32 vcc_lo, exec_lo, s29
	s_lshl_b64 s[22:23], s[22:23], 4
	s_delay_alu instid0(SALU_CYCLE_1)
	s_add_nc_u64 s[22:23], s[12:13], s[22:23]
	s_cbranch_vccz .LBB243_6
; %bb.5:                                ;   in Loop: Header=BB243_4 Depth=1
	s_and_saveexec_b32 s35, s3
	s_cbranch_execz .LBB243_3
	s_branch .LBB243_12
.LBB243_6:                              ;   in Loop: Header=BB243_4 Depth=1
	s_and_not1_b32 vcc_lo, exec_lo, s1
	s_cbranch_vccnz .LBB243_11
; %bb.7:                                ;   in Loop: Header=BB243_4 Depth=1
	v_add_nc_u64_e32 v[0:1], s[22:23], v[4:5]
	s_mov_b32 s22, 0
	s_branch .LBB243_9
.LBB243_8:                              ;   in Loop: Header=BB243_9 Depth=2
	s_wait_xcnt 0x0
	s_or_b32 exec_lo, exec_lo, s23
	s_add_co_i32 s22, s22, s33
	s_delay_alu instid0(SALU_CYCLE_1) | instskip(NEXT) | instid1(SALU_CYCLE_1)
	s_ashr_i32 s23, s22, 31
	v_cmp_le_i64_e64 s23, s[4:5], s[22:23]
	s_and_b32 vcc_lo, exec_lo, s23
	s_cbranch_vccnz .LBB243_11
.LBB243_9:                              ;   Parent Loop BB243_4 Depth=1
                                        ; =>  This Inner Loop Header: Depth=2
	v_add_nc_u32_e32 v2, s22, v16
	s_delay_alu instid0(VALU_DEP_1) | instskip(SKIP_1) | instid1(SALU_CYCLE_1)
	v_cmp_gt_i32_e32 vcc_lo, v6, v2
	s_and_b32 s24, s0, vcc_lo
	s_and_saveexec_b32 s23, s24
	s_cbranch_execz .LBB243_8
; %bb.10:                               ;   in Loop: Header=BB243_9 Depth=2
	v_ashrrev_i32_e32 v3, 31, v2
	s_load_b32 s24, s[14:15], 0xc
	s_delay_alu instid0(VALU_DEP_1) | instskip(SKIP_2) | instid1(SALU_CYCLE_1)
	v_mul_u64_e32 v[12:13], s[16:17], v[2:3]
	s_wait_kmcnt 0x0
	s_and_b32 s24, s24, 0xffff
	v_mul_lo_u32 v2, v2, s24
	s_delay_alu instid0(VALU_DEP_1) | instskip(NEXT) | instid1(VALU_DEP_3)
	v_lshl_add_u32 v2, v2, 4, v18
	v_lshl_add_u64 v[12:13], v[12:13], 4, v[0:1]
	global_load_b128 v[12:15], v[12:13], off
	s_wait_loadcnt 0x0
	ds_store_2addr_b64 v2, v[12:13], v[14:15] offset1:1
	s_branch .LBB243_8
.LBB243_11:                             ;   in Loop: Header=BB243_4 Depth=1
	s_load_b32 s16, s[14:15], 0xc
	s_mov_b32 s17, s31
	s_mov_b64 s[22:23], s[20:21]
	s_wait_kmcnt 0x0
	s_and_b32 s16, s16, 0xffff
	s_and_saveexec_b32 s35, s3
	s_cbranch_execz .LBB243_3
.LBB243_12:                             ;   in Loop: Header=BB243_4 Depth=1
	s_mul_u64 s[24:25], s[26:27], s[30:31]
	s_and_not1_b32 vcc_lo, exec_lo, s34
	v_lshl_add_u64 v[12:13], s[24:25], 4, v[10:11]
	global_load_b128 v[20:23], v[12:13], off
	s_wait_loadcnt 0x0
	v_mul_f64_e32 v[0:1], s[10:11], v[22:23]
	v_mul_f64_e32 v[2:3], s[8:9], v[22:23]
	s_delay_alu instid0(VALU_DEP_2) | instskip(NEXT) | instid1(VALU_DEP_2)
	v_fma_f64 v[0:1], s[8:9], v[20:21], -v[0:1]
	v_fmac_f64_e32 v[2:3], s[10:11], v[20:21]
	s_cbranch_vccnz .LBB243_2
; %bb.13:                               ;   in Loop: Header=BB243_4 Depth=1
	v_add_nc_u64_e32 v[14:15], s[22:23], v[8:9]
	s_lshl_b64 s[22:23], s[16:17], 4
	s_mov_b64 s[24:25], 0
	s_branch .LBB243_15
.LBB243_14:                             ;   in Loop: Header=BB243_15 Depth=2
	s_wait_xcnt 0x0
	s_or_b32 exec_lo, exec_lo, s36
	v_add_nc_u64_e32 v[14:15], s[22:23], v[14:15]
	s_add_nc_u64 s[24:25], s[24:25], 1
	s_delay_alu instid0(SALU_CYCLE_1)
	s_cmp_eq_u64 s[6:7], s[24:25]
	s_cbranch_scc1 .LBB243_2
.LBB243_15:                             ;   Parent Loop BB243_4 Depth=1
                                        ; =>  This Inner Loop Header: Depth=2
	s_mov_b32 s36, exec_lo
	s_wait_dscnt 0x0
	s_barrier_signal -1
	s_barrier_wait -1
	s_wait_xcnt 0x0
	v_cmpx_eq_u64_e64 s[24:25], v[6:7]
; %bb.16:                               ;   in Loop: Header=BB243_15 Depth=2
	ds_store_2addr_b64 v17, v[0:1], v[2:3] offset1:1
; %bb.17:                               ;   in Loop: Header=BB243_15 Depth=2
	s_or_b32 exec_lo, exec_lo, s36
	s_delay_alu instid0(SALU_CYCLE_1)
	s_mov_b32 s36, exec_lo
	s_wait_dscnt 0x0
	s_barrier_signal -1
	s_barrier_wait -1
	v_cmpx_lt_u64_e64 s[24:25], v[6:7]
	s_cbranch_execz .LBB243_14
; %bb.18:                               ;   in Loop: Header=BB243_15 Depth=2
	flat_load_b128 v[20:23], v[14:15] offset:-8
	ds_load_2addr_b64 v[24:27], v17 offset1:1
	s_wait_loadcnt_dscnt 0x1
	v_xor_b32_e32 v19, 0x80000000, v23
	s_delay_alu instid0(VALU_DEP_1) | instskip(SKIP_1) | instid1(VALU_DEP_1)
	v_cndmask_b32_e64 v23, v23, v19, s2
	s_wait_dscnt 0x0
	v_mul_f64_e32 v[28:29], v[22:23], v[26:27]
	v_mul_f64_e32 v[26:27], v[20:21], v[26:27]
	s_delay_alu instid0(VALU_DEP_2) | instskip(NEXT) | instid1(VALU_DEP_2)
	v_fma_f64 v[20:21], v[20:21], v[24:25], -v[28:29]
	v_fmac_f64_e32 v[26:27], v[22:23], v[24:25]
	s_delay_alu instid0(VALU_DEP_2) | instskip(NEXT) | instid1(VALU_DEP_2)
	v_add_f64_e64 v[0:1], v[0:1], -v[20:21]
	v_add_f64_e64 v[2:3], v[2:3], -v[26:27]
	s_branch .LBB243_14
.LBB243_19:
	s_endpgm
	.section	.rodata,"a",@progbits
	.p2align	6, 0x0
	.amdhsa_kernel _ZL39rocblas_trsm_block_forward_substitutionI19rocblas_complex_numIdES1_PKS1_PS1_Lb0ELb0ELb1EEv18rocblas_operation_llT0_T1_lllT2_lllib
		.amdhsa_group_segment_fixed_size 0
		.amdhsa_private_segment_fixed_size 0
		.amdhsa_kernarg_size 368
		.amdhsa_user_sgpr_count 2
		.amdhsa_user_sgpr_dispatch_ptr 0
		.amdhsa_user_sgpr_queue_ptr 0
		.amdhsa_user_sgpr_kernarg_segment_ptr 1
		.amdhsa_user_sgpr_dispatch_id 0
		.amdhsa_user_sgpr_kernarg_preload_length 0
		.amdhsa_user_sgpr_kernarg_preload_offset 0
		.amdhsa_user_sgpr_private_segment_size 0
		.amdhsa_wavefront_size32 1
		.amdhsa_uses_dynamic_stack 0
		.amdhsa_enable_private_segment 0
		.amdhsa_system_sgpr_workgroup_id_x 1
		.amdhsa_system_sgpr_workgroup_id_y 1
		.amdhsa_system_sgpr_workgroup_id_z 1
		.amdhsa_system_sgpr_workgroup_info 0
		.amdhsa_system_vgpr_workitem_id 1
		.amdhsa_next_free_vgpr 30
		.amdhsa_next_free_sgpr 38
		.amdhsa_named_barrier_count 0
		.amdhsa_reserve_vcc 1
		.amdhsa_float_round_mode_32 0
		.amdhsa_float_round_mode_16_64 0
		.amdhsa_float_denorm_mode_32 3
		.amdhsa_float_denorm_mode_16_64 3
		.amdhsa_fp16_overflow 0
		.amdhsa_memory_ordered 1
		.amdhsa_forward_progress 1
		.amdhsa_inst_pref_size 8
		.amdhsa_round_robin_scheduling 0
		.amdhsa_exception_fp_ieee_invalid_op 0
		.amdhsa_exception_fp_denorm_src 0
		.amdhsa_exception_fp_ieee_div_zero 0
		.amdhsa_exception_fp_ieee_overflow 0
		.amdhsa_exception_fp_ieee_underflow 0
		.amdhsa_exception_fp_ieee_inexact 0
		.amdhsa_exception_int_div_zero 0
	.end_amdhsa_kernel
	.section	.text._ZL39rocblas_trsm_block_forward_substitutionI19rocblas_complex_numIdES1_PKS1_PS1_Lb0ELb0ELb1EEv18rocblas_operation_llT0_T1_lllT2_lllib,"axG",@progbits,_ZL39rocblas_trsm_block_forward_substitutionI19rocblas_complex_numIdES1_PKS1_PS1_Lb0ELb0ELb1EEv18rocblas_operation_llT0_T1_lllT2_lllib,comdat
.Lfunc_end243:
	.size	_ZL39rocblas_trsm_block_forward_substitutionI19rocblas_complex_numIdES1_PKS1_PS1_Lb0ELb0ELb1EEv18rocblas_operation_llT0_T1_lllT2_lllib, .Lfunc_end243-_ZL39rocblas_trsm_block_forward_substitutionI19rocblas_complex_numIdES1_PKS1_PS1_Lb0ELb0ELb1EEv18rocblas_operation_llT0_T1_lllT2_lllib
                                        ; -- End function
	.set _ZL39rocblas_trsm_block_forward_substitutionI19rocblas_complex_numIdES1_PKS1_PS1_Lb0ELb0ELb1EEv18rocblas_operation_llT0_T1_lllT2_lllib.num_vgpr, 30
	.set _ZL39rocblas_trsm_block_forward_substitutionI19rocblas_complex_numIdES1_PKS1_PS1_Lb0ELb0ELb1EEv18rocblas_operation_llT0_T1_lllT2_lllib.num_agpr, 0
	.set _ZL39rocblas_trsm_block_forward_substitutionI19rocblas_complex_numIdES1_PKS1_PS1_Lb0ELb0ELb1EEv18rocblas_operation_llT0_T1_lllT2_lllib.numbered_sgpr, 38
	.set _ZL39rocblas_trsm_block_forward_substitutionI19rocblas_complex_numIdES1_PKS1_PS1_Lb0ELb0ELb1EEv18rocblas_operation_llT0_T1_lllT2_lllib.num_named_barrier, 0
	.set _ZL39rocblas_trsm_block_forward_substitutionI19rocblas_complex_numIdES1_PKS1_PS1_Lb0ELb0ELb1EEv18rocblas_operation_llT0_T1_lllT2_lllib.private_seg_size, 0
	.set _ZL39rocblas_trsm_block_forward_substitutionI19rocblas_complex_numIdES1_PKS1_PS1_Lb0ELb0ELb1EEv18rocblas_operation_llT0_T1_lllT2_lllib.uses_vcc, 1
	.set _ZL39rocblas_trsm_block_forward_substitutionI19rocblas_complex_numIdES1_PKS1_PS1_Lb0ELb0ELb1EEv18rocblas_operation_llT0_T1_lllT2_lllib.uses_flat_scratch, 0
	.set _ZL39rocblas_trsm_block_forward_substitutionI19rocblas_complex_numIdES1_PKS1_PS1_Lb0ELb0ELb1EEv18rocblas_operation_llT0_T1_lllT2_lllib.has_dyn_sized_stack, 0
	.set _ZL39rocblas_trsm_block_forward_substitutionI19rocblas_complex_numIdES1_PKS1_PS1_Lb0ELb0ELb1EEv18rocblas_operation_llT0_T1_lllT2_lllib.has_recursion, 0
	.set _ZL39rocblas_trsm_block_forward_substitutionI19rocblas_complex_numIdES1_PKS1_PS1_Lb0ELb0ELb1EEv18rocblas_operation_llT0_T1_lllT2_lllib.has_indirect_call, 0
	.section	.AMDGPU.csdata,"",@progbits
; Kernel info:
; codeLenInByte = 904
; TotalNumSgprs: 40
; NumVgprs: 30
; ScratchSize: 0
; MemoryBound: 0
; FloatMode: 240
; IeeeMode: 1
; LDSByteSize: 0 bytes/workgroup (compile time only)
; SGPRBlocks: 0
; VGPRBlocks: 1
; NumSGPRsForWavesPerEU: 40
; NumVGPRsForWavesPerEU: 30
; NamedBarCnt: 0
; Occupancy: 16
; WaveLimiterHint : 0
; COMPUTE_PGM_RSRC2:SCRATCH_EN: 0
; COMPUTE_PGM_RSRC2:USER_SGPR: 2
; COMPUTE_PGM_RSRC2:TRAP_HANDLER: 0
; COMPUTE_PGM_RSRC2:TGID_X_EN: 1
; COMPUTE_PGM_RSRC2:TGID_Y_EN: 1
; COMPUTE_PGM_RSRC2:TGID_Z_EN: 1
; COMPUTE_PGM_RSRC2:TIDIG_COMP_CNT: 1
	.section	.text._ZL40rocblas_trsm_block_backward_substitutionI19rocblas_complex_numIdES1_PKS1_PS1_Lb0ELb0ELb1EEv18rocblas_operation_llT0_T1_lllT2_lllib,"axG",@progbits,_ZL40rocblas_trsm_block_backward_substitutionI19rocblas_complex_numIdES1_PKS1_PS1_Lb0ELb0ELb1EEv18rocblas_operation_llT0_T1_lllT2_lllib,comdat
	.globl	_ZL40rocblas_trsm_block_backward_substitutionI19rocblas_complex_numIdES1_PKS1_PS1_Lb0ELb0ELb1EEv18rocblas_operation_llT0_T1_lllT2_lllib ; -- Begin function _ZL40rocblas_trsm_block_backward_substitutionI19rocblas_complex_numIdES1_PKS1_PS1_Lb0ELb0ELb1EEv18rocblas_operation_llT0_T1_lllT2_lllib
	.p2align	8
	.type	_ZL40rocblas_trsm_block_backward_substitutionI19rocblas_complex_numIdES1_PKS1_PS1_Lb0ELb0ELb1EEv18rocblas_operation_llT0_T1_lllT2_lllib,@function
_ZL40rocblas_trsm_block_backward_substitutionI19rocblas_complex_numIdES1_PKS1_PS1_Lb0ELb0ELb1EEv18rocblas_operation_llT0_T1_lllT2_lllib: ; @_ZL40rocblas_trsm_block_backward_substitutionI19rocblas_complex_numIdES1_PKS1_PS1_Lb0ELb0ELb1EEv18rocblas_operation_llT0_T1_lllT2_lllib
; %bb.0:
	s_load_b64 s[28:29], s[0:1], 0x68
	s_bfe_u32 s2, ttmp6, 0x40014
	s_lshr_b32 s3, ttmp7, 16
	s_add_co_i32 s2, s2, 1
	s_bfe_u32 s4, ttmp6, 0x40008
	s_mul_i32 s2, s3, s2
	s_getreg_b32 s33, hwreg(HW_REG_IB_STS2, 6, 4)
	s_add_co_i32 s4, s4, s2
	s_cmp_eq_u32 s33, 0
	s_mov_b32 s31, 0
	s_cselect_b32 s30, s3, s4
	s_wait_kmcnt 0x0
	s_cmp_ge_u32 s30, s28
	s_cbranch_scc1 .LBB244_19
; %bb.1:
	s_clause 0x3
	s_load_b256 s[20:27], s[0:1], 0x48
	s_load_b32 s2, s[0:1], 0x0
	s_load_b512 s[4:19], s[0:1], 0x8
	s_load_u16 s3, s[0:1], 0x7e
	v_and_b32_e32 v4, 0x3ff, v0
	v_mov_b32_e32 v1, 0
	s_bitcmp1_b32 s29, 0
	s_mov_b64 s[34:35], src_shared_base
	s_cselect_b32 s29, -1, 0
	s_delay_alu instid0(VALU_DEP_1) | instskip(SKIP_1) | instid1(VALU_DEP_1)
	v_dual_mov_b32 v5, v1 :: v_dual_lshlrev_b32 v8, 4, v4
	v_bfe_u32 v9, v0, 10, 10
	v_lshl_add_u32 v16, v9, 4, 0
	s_wait_kmcnt 0x0
	s_delay_alu instid0(VALU_DEP_3)
	v_mul_u64_e32 v[2:3], s[24:25], v[4:5]
	s_cmp_eq_u32 s2, 0x71
	v_cmp_gt_i64_e64 s38, s[4:5], 1
	s_cselect_b32 s2, -1, 0
	s_lshl_b64 s[24:25], s[14:15], 4
	s_bfe_u32 s14, ttmp6, 0x40010
	s_and_b32 s34, ttmp7, 0xffff
	s_add_co_i32 s14, s14, 1
	s_bfe_u32 s15, ttmp6, 0x40004
	s_mul_i32 s14, s34, s14
	s_lshl_b64 s[36:37], s[22:23], 4
	s_add_co_i32 s22, s15, s14
	s_cmp_eq_u32 s33, 0
	s_add_nc_u64 s[14:15], s[0:1], 0x70
	s_cselect_b32 s0, s34, s22
	s_lshl_b32 s1, s3, 4
	v_mad_u32 v0, s0, s3, v9
	s_add_co_i32 s22, s1, 0
	s_add_nc_u64 s[20:21], s[20:21], s[36:37]
	v_add_nc_u32_e32 v17, s22, v8
	v_mul_u64_e32 v[6:7], s[16:17], v[4:5]
	v_cmp_gt_i64_e64 s0, s[4:5], v[4:5]
	v_cmp_gt_i64_e64 s33, s[4:5], 0
	s_mov_b32 s23, s35
	v_cmp_gt_i64_e32 vcc_lo, s[6:7], v[0:1]
	s_add_nc_u64 s[6:7], s[12:13], s[24:25]
	s_add_nc_u64 s[12:13], s[4:5], -1
	v_lshl_add_u64 v[2:3], v[2:3], 4, s[20:21]
	s_lshl_b64 s[20:21], s[12:13], 4
	s_and_b32 s39, vcc_lo, s0
	s_delay_alu instid0(VALU_DEP_1)
	v_lshl_add_u64 v[10:11], v[0:1], 4, v[2:3]
	s_branch .LBB244_4
.LBB244_2:                              ;   in Loop: Header=BB244_4 Depth=1
	global_store_b128 v[12:13], v[0:3], off
.LBB244_3:                              ;   in Loop: Header=BB244_4 Depth=1
	s_wait_xcnt 0x0
	s_or_b32 exec_lo, exec_lo, s1
	s_add_co_i32 s30, s30, 0x10000
	s_delay_alu instid0(SALU_CYCLE_1)
	s_cmp_lt_u32 s30, s28
	s_cbranch_scc0 .LBB244_19
.LBB244_4:                              ; =>This Loop Header: Depth=1
                                        ;     Child Loop BB244_8 Depth 2
                                        ;     Child Loop BB244_15 Depth 2
	s_mul_u64 s[24:25], s[18:19], s[30:31]
	s_and_not1_b32 vcc_lo, exec_lo, s29
	s_lshl_b64 s[24:25], s[24:25], 4
	s_delay_alu instid0(SALU_CYCLE_1)
	s_add_nc_u64 s[34:35], s[6:7], s[24:25]
	s_cbranch_vccnz .LBB244_10
; %bb.5:                                ;   in Loop: Header=BB244_4 Depth=1
	s_and_not1_b32 vcc_lo, exec_lo, s33
	s_cbranch_vccnz .LBB244_11
; %bb.6:                                ;   in Loop: Header=BB244_4 Depth=1
	v_lshl_add_u64 v[0:1], v[6:7], 4, s[34:35]
	s_mov_b32 s24, 0
	s_branch .LBB244_8
.LBB244_7:                              ;   in Loop: Header=BB244_8 Depth=2
	s_wait_xcnt 0x0
	s_or_b32 exec_lo, exec_lo, s1
	s_add_co_i32 s24, s24, s3
	s_delay_alu instid0(SALU_CYCLE_1) | instskip(NEXT) | instid1(SALU_CYCLE_1)
	s_ashr_i32 s25, s24, 31
	v_cmp_le_i64_e64 s1, s[4:5], s[24:25]
	s_and_b32 vcc_lo, exec_lo, s1
	s_cbranch_vccnz .LBB244_11
.LBB244_8:                              ;   Parent Loop BB244_4 Depth=1
                                        ; =>  This Inner Loop Header: Depth=2
	v_add_nc_u32_e32 v2, s24, v9
	s_delay_alu instid0(VALU_DEP_1) | instskip(SKIP_1) | instid1(VALU_DEP_2)
	v_ashrrev_i32_e32 v3, 31, v2
	v_cmp_lt_i32_e64 s1, v4, v2
	v_cmp_gt_i64_e32 vcc_lo, s[4:5], v[2:3]
	s_and_b32 s1, s1, vcc_lo
	s_delay_alu instid0(SALU_CYCLE_1) | instskip(NEXT) | instid1(SALU_CYCLE_1)
	s_and_b32 s25, s0, s1
	s_and_saveexec_b32 s1, s25
	s_cbranch_execz .LBB244_7
; %bb.9:                                ;   in Loop: Header=BB244_8 Depth=2
	v_lshl_add_u64 v[12:13], v[2:3], 4, v[0:1]
	s_load_b32 s25, s[14:15], 0xc
	global_load_b128 v[12:15], v[12:13], off
	s_wait_kmcnt 0x0
	s_and_b32 s25, s25, 0xffff
	s_delay_alu instid0(SALU_CYCLE_1) | instskip(NEXT) | instid1(VALU_DEP_1)
	v_mul_lo_u32 v2, v2, s25
	v_lshl_add_u32 v2, v2, 4, v17
	s_wait_loadcnt 0x0
	ds_store_2addr_b64 v2, v[12:13], v[14:15] offset1:1
	s_branch .LBB244_7
.LBB244_10:                             ;   in Loop: Header=BB244_4 Depth=1
	s_mov_b64 s[24:25], 1
	s_mov_b64 s[36:37], s[16:17]
	s_and_saveexec_b32 s1, s39
	s_cbranch_execz .LBB244_3
	s_branch .LBB244_12
.LBB244_11:                             ;   in Loop: Header=BB244_4 Depth=1
	s_load_b32 s1, s[14:15], 0xc
	s_mov_b32 s25, s31
	s_mov_b64 s[36:37], 1
	s_mov_b64 s[34:35], s[22:23]
	s_wait_kmcnt 0x0
	s_and_b32 s24, s1, 0xffff
	s_and_saveexec_b32 s1, s39
	s_cbranch_execz .LBB244_3
.LBB244_12:                             ;   in Loop: Header=BB244_4 Depth=1
	s_mul_u64 s[40:41], s[26:27], s[30:31]
	s_and_not1_b32 vcc_lo, exec_lo, s38
	v_lshl_add_u64 v[12:13], s[40:41], 4, v[10:11]
	global_load_b128 v[18:21], v[12:13], off
	s_wait_loadcnt 0x0
	v_mul_f64_e32 v[0:1], s[10:11], v[20:21]
	v_mul_f64_e32 v[2:3], s[8:9], v[20:21]
	s_delay_alu instid0(VALU_DEP_2) | instskip(NEXT) | instid1(VALU_DEP_2)
	v_fma_f64 v[0:1], s[8:9], v[18:19], -v[0:1]
	v_fmac_f64_e32 v[2:3], s[10:11], v[18:19]
	s_cbranch_vccnz .LBB244_2
; %bb.13:                               ;   in Loop: Header=BB244_4 Depth=1
	s_mul_u64 s[40:41], s[20:21], s[24:25]
	s_lshl_b32 s24, s24, 4
	s_add_nc_u64 s[34:35], s[34:35], s[40:41]
	s_mov_b32 s25, s31
	v_mad_nc_u64_u32 v[14:15], v8, s36, s[34:35]
	s_sub_nc_u64 s[24:25], 0, s[24:25]
	s_mov_b64 s[34:35], s[12:13]
	s_delay_alu instid0(VALU_DEP_1) | instskip(NEXT) | instid1(VALU_DEP_1)
	v_mad_u32 v15, v8, s37, v15
	v_add_nc_u64_e32 v[14:15], 8, v[14:15]
	s_branch .LBB244_15
.LBB244_14:                             ;   in Loop: Header=BB244_15 Depth=2
	s_wait_xcnt 0x0
	s_or_b32 exec_lo, exec_lo, s36
	s_add_nc_u64 s[36:37], s[34:35], 1
	v_add_nc_u64_e32 v[14:15], s[24:25], v[14:15]
	v_cmp_lt_u64_e64 s36, s[36:37], 3
	s_add_nc_u64 s[34:35], s[34:35], -1
	s_and_b32 vcc_lo, exec_lo, s36
	s_cbranch_vccnz .LBB244_2
.LBB244_15:                             ;   Parent Loop BB244_4 Depth=1
                                        ; =>  This Inner Loop Header: Depth=2
	s_mov_b32 s36, exec_lo
	s_wait_dscnt 0x0
	s_barrier_signal -1
	s_barrier_wait -1
	s_wait_xcnt 0x0
	v_cmpx_eq_u64_e64 s[34:35], v[4:5]
; %bb.16:                               ;   in Loop: Header=BB244_15 Depth=2
	ds_store_2addr_b64 v16, v[0:1], v[2:3] offset1:1
; %bb.17:                               ;   in Loop: Header=BB244_15 Depth=2
	s_or_b32 exec_lo, exec_lo, s36
	s_delay_alu instid0(SALU_CYCLE_1)
	s_mov_b32 s36, exec_lo
	s_wait_dscnt 0x0
	s_barrier_signal -1
	s_barrier_wait -1
	v_cmpx_gt_i64_e64 s[34:35], v[4:5]
	s_cbranch_execz .LBB244_14
; %bb.18:                               ;   in Loop: Header=BB244_15 Depth=2
	flat_load_b128 v[18:21], v[14:15] offset:-8
	ds_load_2addr_b64 v[22:25], v16 offset1:1
	s_wait_loadcnt_dscnt 0x1
	v_xor_b32_e32 v26, 0x80000000, v21
	s_delay_alu instid0(VALU_DEP_1) | instskip(SKIP_1) | instid1(VALU_DEP_1)
	v_cndmask_b32_e64 v21, v21, v26, s2
	s_wait_dscnt 0x0
	v_mul_f64_e32 v[26:27], v[20:21], v[24:25]
	v_mul_f64_e32 v[24:25], v[18:19], v[24:25]
	s_delay_alu instid0(VALU_DEP_2) | instskip(NEXT) | instid1(VALU_DEP_2)
	v_fma_f64 v[18:19], v[18:19], v[22:23], -v[26:27]
	v_fmac_f64_e32 v[24:25], v[20:21], v[22:23]
	s_delay_alu instid0(VALU_DEP_2) | instskip(NEXT) | instid1(VALU_DEP_2)
	v_add_f64_e64 v[0:1], v[0:1], -v[18:19]
	v_add_f64_e64 v[2:3], v[2:3], -v[24:25]
	s_branch .LBB244_14
.LBB244_19:
	s_endpgm
	.section	.rodata,"a",@progbits
	.p2align	6, 0x0
	.amdhsa_kernel _ZL40rocblas_trsm_block_backward_substitutionI19rocblas_complex_numIdES1_PKS1_PS1_Lb0ELb0ELb1EEv18rocblas_operation_llT0_T1_lllT2_lllib
		.amdhsa_group_segment_fixed_size 0
		.amdhsa_private_segment_fixed_size 0
		.amdhsa_kernarg_size 368
		.amdhsa_user_sgpr_count 2
		.amdhsa_user_sgpr_dispatch_ptr 0
		.amdhsa_user_sgpr_queue_ptr 0
		.amdhsa_user_sgpr_kernarg_segment_ptr 1
		.amdhsa_user_sgpr_dispatch_id 0
		.amdhsa_user_sgpr_kernarg_preload_length 0
		.amdhsa_user_sgpr_kernarg_preload_offset 0
		.amdhsa_user_sgpr_private_segment_size 0
		.amdhsa_wavefront_size32 1
		.amdhsa_uses_dynamic_stack 0
		.amdhsa_enable_private_segment 0
		.amdhsa_system_sgpr_workgroup_id_x 1
		.amdhsa_system_sgpr_workgroup_id_y 1
		.amdhsa_system_sgpr_workgroup_id_z 1
		.amdhsa_system_sgpr_workgroup_info 0
		.amdhsa_system_vgpr_workitem_id 1
		.amdhsa_next_free_vgpr 28
		.amdhsa_next_free_sgpr 42
		.amdhsa_named_barrier_count 0
		.amdhsa_reserve_vcc 1
		.amdhsa_float_round_mode_32 0
		.amdhsa_float_round_mode_16_64 0
		.amdhsa_float_denorm_mode_32 3
		.amdhsa_float_denorm_mode_16_64 3
		.amdhsa_fp16_overflow 0
		.amdhsa_memory_ordered 1
		.amdhsa_forward_progress 1
		.amdhsa_inst_pref_size 8
		.amdhsa_round_robin_scheduling 0
		.amdhsa_exception_fp_ieee_invalid_op 0
		.amdhsa_exception_fp_denorm_src 0
		.amdhsa_exception_fp_ieee_div_zero 0
		.amdhsa_exception_fp_ieee_overflow 0
		.amdhsa_exception_fp_ieee_underflow 0
		.amdhsa_exception_fp_ieee_inexact 0
		.amdhsa_exception_int_div_zero 0
	.end_amdhsa_kernel
	.section	.text._ZL40rocblas_trsm_block_backward_substitutionI19rocblas_complex_numIdES1_PKS1_PS1_Lb0ELb0ELb1EEv18rocblas_operation_llT0_T1_lllT2_lllib,"axG",@progbits,_ZL40rocblas_trsm_block_backward_substitutionI19rocblas_complex_numIdES1_PKS1_PS1_Lb0ELb0ELb1EEv18rocblas_operation_llT0_T1_lllT2_lllib,comdat
.Lfunc_end244:
	.size	_ZL40rocblas_trsm_block_backward_substitutionI19rocblas_complex_numIdES1_PKS1_PS1_Lb0ELb0ELb1EEv18rocblas_operation_llT0_T1_lllT2_lllib, .Lfunc_end244-_ZL40rocblas_trsm_block_backward_substitutionI19rocblas_complex_numIdES1_PKS1_PS1_Lb0ELb0ELb1EEv18rocblas_operation_llT0_T1_lllT2_lllib
                                        ; -- End function
	.set _ZL40rocblas_trsm_block_backward_substitutionI19rocblas_complex_numIdES1_PKS1_PS1_Lb0ELb0ELb1EEv18rocblas_operation_llT0_T1_lllT2_lllib.num_vgpr, 28
	.set _ZL40rocblas_trsm_block_backward_substitutionI19rocblas_complex_numIdES1_PKS1_PS1_Lb0ELb0ELb1EEv18rocblas_operation_llT0_T1_lllT2_lllib.num_agpr, 0
	.set _ZL40rocblas_trsm_block_backward_substitutionI19rocblas_complex_numIdES1_PKS1_PS1_Lb0ELb0ELb1EEv18rocblas_operation_llT0_T1_lllT2_lllib.numbered_sgpr, 42
	.set _ZL40rocblas_trsm_block_backward_substitutionI19rocblas_complex_numIdES1_PKS1_PS1_Lb0ELb0ELb1EEv18rocblas_operation_llT0_T1_lllT2_lllib.num_named_barrier, 0
	.set _ZL40rocblas_trsm_block_backward_substitutionI19rocblas_complex_numIdES1_PKS1_PS1_Lb0ELb0ELb1EEv18rocblas_operation_llT0_T1_lllT2_lllib.private_seg_size, 0
	.set _ZL40rocblas_trsm_block_backward_substitutionI19rocblas_complex_numIdES1_PKS1_PS1_Lb0ELb0ELb1EEv18rocblas_operation_llT0_T1_lllT2_lllib.uses_vcc, 1
	.set _ZL40rocblas_trsm_block_backward_substitutionI19rocblas_complex_numIdES1_PKS1_PS1_Lb0ELb0ELb1EEv18rocblas_operation_llT0_T1_lllT2_lllib.uses_flat_scratch, 0
	.set _ZL40rocblas_trsm_block_backward_substitutionI19rocblas_complex_numIdES1_PKS1_PS1_Lb0ELb0ELb1EEv18rocblas_operation_llT0_T1_lllT2_lllib.has_dyn_sized_stack, 0
	.set _ZL40rocblas_trsm_block_backward_substitutionI19rocblas_complex_numIdES1_PKS1_PS1_Lb0ELb0ELb1EEv18rocblas_operation_llT0_T1_lllT2_lllib.has_recursion, 0
	.set _ZL40rocblas_trsm_block_backward_substitutionI19rocblas_complex_numIdES1_PKS1_PS1_Lb0ELb0ELb1EEv18rocblas_operation_llT0_T1_lllT2_lllib.has_indirect_call, 0
	.section	.AMDGPU.csdata,"",@progbits
; Kernel info:
; codeLenInByte = 964
; TotalNumSgprs: 44
; NumVgprs: 28
; ScratchSize: 0
; MemoryBound: 0
; FloatMode: 240
; IeeeMode: 1
; LDSByteSize: 0 bytes/workgroup (compile time only)
; SGPRBlocks: 0
; VGPRBlocks: 1
; NumSGPRsForWavesPerEU: 44
; NumVGPRsForWavesPerEU: 28
; NamedBarCnt: 0
; Occupancy: 16
; WaveLimiterHint : 0
; COMPUTE_PGM_RSRC2:SCRATCH_EN: 0
; COMPUTE_PGM_RSRC2:USER_SGPR: 2
; COMPUTE_PGM_RSRC2:TRAP_HANDLER: 0
; COMPUTE_PGM_RSRC2:TGID_X_EN: 1
; COMPUTE_PGM_RSRC2:TGID_Y_EN: 1
; COMPUTE_PGM_RSRC2:TGID_Z_EN: 1
; COMPUTE_PGM_RSRC2:TIDIG_COMP_CNT: 1
	.section	.text._ZL39rocblas_trsm_block_forward_substitutionI19rocblas_complex_numIdES1_PKS1_PS1_Lb0ELb1ELb0EEv18rocblas_operation_llT0_T1_lllT2_lllib,"axG",@progbits,_ZL39rocblas_trsm_block_forward_substitutionI19rocblas_complex_numIdES1_PKS1_PS1_Lb0ELb1ELb0EEv18rocblas_operation_llT0_T1_lllT2_lllib,comdat
	.globl	_ZL39rocblas_trsm_block_forward_substitutionI19rocblas_complex_numIdES1_PKS1_PS1_Lb0ELb1ELb0EEv18rocblas_operation_llT0_T1_lllT2_lllib ; -- Begin function _ZL39rocblas_trsm_block_forward_substitutionI19rocblas_complex_numIdES1_PKS1_PS1_Lb0ELb1ELb0EEv18rocblas_operation_llT0_T1_lllT2_lllib
	.p2align	8
	.type	_ZL39rocblas_trsm_block_forward_substitutionI19rocblas_complex_numIdES1_PKS1_PS1_Lb0ELb1ELb0EEv18rocblas_operation_llT0_T1_lllT2_lllib,@function
_ZL39rocblas_trsm_block_forward_substitutionI19rocblas_complex_numIdES1_PKS1_PS1_Lb0ELb1ELb0EEv18rocblas_operation_llT0_T1_lllT2_lllib: ; @_ZL39rocblas_trsm_block_forward_substitutionI19rocblas_complex_numIdES1_PKS1_PS1_Lb0ELb1ELb0EEv18rocblas_operation_llT0_T1_lllT2_lllib
; %bb.0:
	s_load_b64 s[28:29], s[0:1], 0x68
	s_bfe_u32 s2, ttmp6, 0x40014
	s_lshr_b32 s3, ttmp7, 16
	s_add_co_i32 s2, s2, 1
	s_bfe_u32 s5, ttmp6, 0x40008
	s_mul_i32 s4, s3, s2
	s_getreg_b32 s2, hwreg(HW_REG_IB_STS2, 6, 4)
	s_add_co_i32 s5, s5, s4
	s_cmp_eq_u32 s2, 0
	s_mov_b32 s31, 0
	s_cselect_b32 s30, s3, s5
	s_wait_kmcnt 0x0
	s_cmp_ge_u32 s30, s28
	s_cbranch_scc1 .LBB245_41
; %bb.1:
	s_clause 0x1
	s_load_b256 s[20:27], s[0:1], 0x48
	s_load_b32 s3, s[0:1], 0x0
	v_and_b32_e32 v10, 0x3ff, v0
	v_mov_b32_e32 v9, 0
	s_load_b512 s[4:19], s[0:1], 0x8
	v_bfe_u32 v22, v0, 10, 10
	s_bitcmp1_b32 s29, 0
	s_delay_alu instid0(VALU_DEP_2)
	v_dual_mov_b32 v11, v9 :: v_dual_lshlrev_b32 v2, 4, v10
	v_mov_b32_e32 v13, v9
	s_load_u16 s29, s[0:1], 0x7e
	s_mov_b64 s[34:35], src_shared_base
	v_lshl_add_u32 v24, v22, 4, 0
	s_wait_kmcnt 0x0
	v_mul_u64_e32 v[0:1], s[24:25], v[10:11]
	s_add_nc_u64 s[24:25], s[0:1], 0x70
	s_cselect_b32 s0, -1, 0
	s_delay_alu instid0(SALU_CYCLE_1)
	s_xor_b32 s33, s0, -1
	s_cmp_eq_u32 s3, 0x71
	v_cndmask_b32_e64 v23, 0, 1, s0
	s_cselect_b32 s0, -1, 0
	s_bfe_u32 s1, ttmp6, 0x40010
	s_and_b32 s3, ttmp7, 0xffff
	s_add_co_i32 s1, s1, 1
	s_lshl_b64 s[38:39], s[14:15], 4
	s_bfe_u32 s14, ttmp6, 0x40004
	s_mul_i32 s1, s3, s1
	s_lshl_b64 s[22:23], s[22:23], 4
	s_add_co_i32 s14, s14, s1
	s_cmp_eq_u32 s2, 0
	s_add_nc_u64 s[20:21], s[20:21], s[22:23]
	s_cselect_b32 s1, s3, s14
	v_cmp_le_i64_e32 vcc_lo, s[4:5], v[10:11]
	v_mad_u32 v8, s1, s29, v22
	v_cmp_gt_i64_e64 s2, s[4:5], v[10:11]
	s_add_nc_u64 s[14:15], s[4:5], -1
	s_lshl_b32 s22, s29, 4
	v_cmp_gt_i64_e64 s34, s[4:5], 1
	v_cmp_gt_i64_e64 s36, s[4:5], 0
	v_cmp_eq_u64_e64 s1, s[14:15], v[10:11]
	s_add_nc_u64 s[12:13], s[12:13], s[38:39]
	s_xor_b32 s37, vcc_lo, -1
	v_cmp_gt_i64_e64 s3, s[6:7], v[8:9]
	v_lshl_add_u64 v[0:1], v[0:1], 4, s[20:21]
	s_add_co_i32 s6, s22, 0
	s_delay_alu instid0(SALU_CYCLE_1) | instskip(SKIP_1) | instid1(VALU_DEP_2)
	v_dual_add_nc_u32 v25, s6, v2 :: v_dual_bitop2_b32 v12, 8, v2 bitop3:0x54
	s_mov_b32 s7, s35
	v_lshl_add_u64 v[14:15], v[8:9], 4, v[0:1]
	v_lshlrev_b32_e32 v8, 4, v10
	s_and_b32 s35, s3, s2
	s_branch .LBB245_6
.LBB245_2:                              ;   in Loop: Header=BB245_6 Depth=1
	s_or_b32 exec_lo, exec_lo, s2
.LBB245_3:                              ;   in Loop: Header=BB245_6 Depth=1
	s_wait_loadcnt_dscnt 0x0
	s_delay_alu instid0(VALU_DEP_1) | instskip(NEXT) | instid1(VALU_DEP_3)
	v_mul_f64_e32 v[18:19], v[2:3], v[6:7]
	v_mul_f64_e32 v[2:3], v[2:3], v[4:5]
	s_wait_xcnt 0x0
	s_delay_alu instid0(VALU_DEP_2) | instskip(NEXT) | instid1(VALU_DEP_2)
	v_fma_f64 v[4:5], v[0:1], v[4:5], -v[18:19]
	v_fmac_f64_e32 v[2:3], v[0:1], v[6:7]
	s_delay_alu instid0(VALU_DEP_2)
	v_mov_b64_e32 v[0:1], v[4:5]
.LBB245_4:                              ;   in Loop: Header=BB245_6 Depth=1
	s_or_b32 exec_lo, exec_lo, s20
	global_store_b128 v[16:17], v[0:3], off
.LBB245_5:                              ;   in Loop: Header=BB245_6 Depth=1
	s_wait_xcnt 0x0
	s_or_b32 exec_lo, exec_lo, s38
	s_add_co_i32 s30, s30, 0x10000
	s_delay_alu instid0(SALU_CYCLE_1)
	s_cmp_lt_u32 s30, s28
	s_cbranch_scc0 .LBB245_41
.LBB245_6:                              ; =>This Loop Header: Depth=1
                                        ;     Child Loop BB245_13 Depth 2
                                        ;     Child Loop BB245_25 Depth 2
	v_cmp_ne_u32_e32 vcc_lo, 1, v23
	s_mul_u64 s[2:3], s[18:19], s[30:31]
	s_delay_alu instid0(SALU_CYCLE_1) | instskip(NEXT) | instid1(SALU_CYCLE_1)
	s_lshl_b64 s[2:3], s[2:3], 4
	s_add_nc_u64 s[2:3], s[12:13], s[2:3]
	s_cbranch_vccz .LBB245_8
; %bb.7:                                ;   in Loop: Header=BB245_6 Depth=1
	s_and_saveexec_b32 s38, s35
	s_cbranch_execz .LBB245_5
	s_branch .LBB245_22
.LBB245_8:                              ;   in Loop: Header=BB245_6 Depth=1
	s_and_not1_b32 vcc_lo, exec_lo, s36
	s_cbranch_vccnz .LBB245_21
; %bb.9:                                ;   in Loop: Header=BB245_6 Depth=1
	v_mul_u64_e32 v[0:1], s[16:17], v[10:11]
	v_add_nc_u64_e32 v[4:5], s[2:3], v[8:9]
	v_mov_b32_e32 v16, v22
	s_mov_b32 s2, s29
	s_delay_alu instid0(VALU_DEP_2)
	v_lshl_add_u64 v[6:7], v[0:1], 4, v[4:5]
	s_branch .LBB245_13
.LBB245_10:                             ;   in Loop: Header=BB245_13 Depth=2
	s_or_b32 exec_lo, exec_lo, s21
	s_load_b32 s21, s[24:25], 0xc
	s_wait_kmcnt 0x0
	s_and_b32 s21, s21, 0xffff
	s_delay_alu instid0(SALU_CYCLE_1) | instskip(NEXT) | instid1(VALU_DEP_1)
	v_mul_u32_u24_e32 v0, s21, v10
	v_lshl_add_u32 v0, v0, 4, v25
	ds_store_2addr_b64 v0, v[18:19], v[20:21] offset1:1
.LBB245_11:                             ;   in Loop: Header=BB245_13 Depth=2
	s_or_b32 exec_lo, exec_lo, s20
.LBB245_12:                             ;   in Loop: Header=BB245_13 Depth=2
	s_delay_alu instid0(SALU_CYCLE_1)
	s_or_b32 exec_lo, exec_lo, s3
	s_ashr_i32 s3, s2, 31
	v_add_nc_u32_e32 v16, s29, v16
	v_cmp_le_i64_e64 s3, s[4:5], s[2:3]
	s_add_co_i32 s2, s2, s29
	s_and_b32 vcc_lo, exec_lo, s3
	s_cbranch_vccnz .LBB245_21
.LBB245_13:                             ;   Parent Loop BB245_6 Depth=1
                                        ; =>  This Inner Loop Header: Depth=2
	s_delay_alu instid0(VALU_DEP_2) | instskip(SKIP_1) | instid1(SALU_CYCLE_1)
	v_cmp_gt_i32_e32 vcc_lo, v10, v16
	s_and_b32 s3, s37, vcc_lo
	s_and_saveexec_b32 s20, s3
	s_delay_alu instid0(SALU_CYCLE_1)
	s_xor_b32 s3, exec_lo, s20
	s_cbranch_execz .LBB245_15
; %bb.14:                               ;   in Loop: Header=BB245_13 Depth=2
	v_ashrrev_i32_e32 v17, 31, v16
	s_load_b32 s20, s[24:25], 0xc
	s_delay_alu instid0(VALU_DEP_1) | instskip(SKIP_2) | instid1(SALU_CYCLE_1)
	v_mul_u64_e32 v[0:1], s[16:17], v[16:17]
	s_wait_kmcnt 0x0
	s_and_b32 s20, s20, 0xffff
	v_mul_lo_u32 v17, v16, s20
	s_delay_alu instid0(VALU_DEP_1) | instskip(NEXT) | instid1(VALU_DEP_3)
	v_lshl_add_u32 v17, v17, 4, v25
	v_lshl_add_u64 v[0:1], v[0:1], 4, v[4:5]
	global_load_b128 v[0:3], v[0:1], off
	s_wait_loadcnt 0x0
	ds_store_2addr_b64 v17, v[0:1], v[2:3] offset1:1
.LBB245_15:                             ;   in Loop: Header=BB245_13 Depth=2
	s_wait_xcnt 0x0
	s_and_not1_saveexec_b32 s3, s3
	s_cbranch_execz .LBB245_12
; %bb.16:                               ;   in Loop: Header=BB245_13 Depth=2
	v_cmp_eq_u32_e32 vcc_lo, v10, v16
	s_and_b32 s21, s37, vcc_lo
	s_delay_alu instid0(SALU_CYCLE_1)
	s_and_saveexec_b32 s20, s21
	s_cbranch_execz .LBB245_11
; %bb.17:                               ;   in Loop: Header=BB245_13 Depth=2
	global_load_b128 v[0:3], v[6:7], off
                                        ; implicit-def: $vgpr18_vgpr19
	s_wait_loadcnt 0x0
	v_cmp_ngt_f64_e64 s21, |v[0:1]|, |v[2:3]|
	s_wait_xcnt 0x0
	s_and_saveexec_b32 s22, s21
	s_delay_alu instid0(SALU_CYCLE_1)
	s_xor_b32 s21, exec_lo, s22
                                        ; implicit-def: $vgpr20_vgpr21
	s_cbranch_execz .LBB245_19
; %bb.18:                               ;   in Loop: Header=BB245_13 Depth=2
	v_div_scale_f64 v[18:19], null, v[2:3], v[2:3], v[0:1]
	v_div_scale_f64 v[28:29], vcc_lo, v[0:1], v[2:3], v[0:1]
	s_delay_alu instid0(VALU_DEP_2) | instskip(SKIP_1) | instid1(TRANS32_DEP_1)
	v_rcp_f64_e32 v[20:21], v[18:19]
	v_nop
	v_fma_f64 v[26:27], -v[18:19], v[20:21], 1.0
	s_delay_alu instid0(VALU_DEP_1) | instskip(NEXT) | instid1(VALU_DEP_1)
	v_fmac_f64_e32 v[20:21], v[20:21], v[26:27]
	v_fma_f64 v[26:27], -v[18:19], v[20:21], 1.0
	s_delay_alu instid0(VALU_DEP_1) | instskip(NEXT) | instid1(VALU_DEP_1)
	v_fmac_f64_e32 v[20:21], v[20:21], v[26:27]
	v_mul_f64_e32 v[26:27], v[28:29], v[20:21]
	s_delay_alu instid0(VALU_DEP_1) | instskip(NEXT) | instid1(VALU_DEP_1)
	v_fma_f64 v[18:19], -v[18:19], v[26:27], v[28:29]
	v_div_fmas_f64 v[18:19], v[18:19], v[20:21], v[26:27]
	s_delay_alu instid0(VALU_DEP_1) | instskip(NEXT) | instid1(VALU_DEP_1)
	v_div_fixup_f64 v[18:19], v[18:19], v[2:3], v[0:1]
	v_fmac_f64_e32 v[2:3], v[0:1], v[18:19]
	s_delay_alu instid0(VALU_DEP_1) | instskip(NEXT) | instid1(VALU_DEP_1)
	v_div_scale_f64 v[0:1], null, v[2:3], v[2:3], 1.0
	v_rcp_f64_e32 v[20:21], v[0:1]
	v_nop
	s_delay_alu instid0(TRANS32_DEP_1) | instskip(NEXT) | instid1(VALU_DEP_1)
	v_fma_f64 v[26:27], -v[0:1], v[20:21], 1.0
	v_fmac_f64_e32 v[20:21], v[20:21], v[26:27]
	s_delay_alu instid0(VALU_DEP_1) | instskip(NEXT) | instid1(VALU_DEP_1)
	v_fma_f64 v[26:27], -v[0:1], v[20:21], 1.0
	v_fmac_f64_e32 v[20:21], v[20:21], v[26:27]
	v_div_scale_f64 v[26:27], vcc_lo, 1.0, v[2:3], 1.0
	s_delay_alu instid0(VALU_DEP_1) | instskip(NEXT) | instid1(VALU_DEP_1)
	v_mul_f64_e32 v[28:29], v[26:27], v[20:21]
	v_fma_f64 v[0:1], -v[0:1], v[28:29], v[26:27]
	s_delay_alu instid0(VALU_DEP_1) | instskip(NEXT) | instid1(VALU_DEP_1)
	v_div_fmas_f64 v[0:1], v[0:1], v[20:21], v[28:29]
	v_div_fixup_f64 v[20:21], v[0:1], v[2:3], 1.0
                                        ; implicit-def: $vgpr0_vgpr1
	s_delay_alu instid0(VALU_DEP_1)
	v_mul_f64_e32 v[18:19], v[18:19], v[20:21]
	v_xor_b32_e32 v21, 0x80000000, v21
.LBB245_19:                             ;   in Loop: Header=BB245_13 Depth=2
	s_and_not1_saveexec_b32 s21, s21
	s_cbranch_execz .LBB245_10
; %bb.20:                               ;   in Loop: Header=BB245_13 Depth=2
	v_div_scale_f64 v[18:19], null, v[0:1], v[0:1], v[2:3]
	v_div_scale_f64 v[28:29], vcc_lo, v[2:3], v[0:1], v[2:3]
	s_delay_alu instid0(VALU_DEP_2) | instskip(SKIP_1) | instid1(TRANS32_DEP_1)
	v_rcp_f64_e32 v[20:21], v[18:19]
	v_nop
	v_fma_f64 v[26:27], -v[18:19], v[20:21], 1.0
	s_delay_alu instid0(VALU_DEP_1) | instskip(NEXT) | instid1(VALU_DEP_1)
	v_fmac_f64_e32 v[20:21], v[20:21], v[26:27]
	v_fma_f64 v[26:27], -v[18:19], v[20:21], 1.0
	s_delay_alu instid0(VALU_DEP_1) | instskip(NEXT) | instid1(VALU_DEP_1)
	v_fmac_f64_e32 v[20:21], v[20:21], v[26:27]
	v_mul_f64_e32 v[26:27], v[28:29], v[20:21]
	s_delay_alu instid0(VALU_DEP_1) | instskip(NEXT) | instid1(VALU_DEP_1)
	v_fma_f64 v[18:19], -v[18:19], v[26:27], v[28:29]
	v_div_fmas_f64 v[18:19], v[18:19], v[20:21], v[26:27]
	s_delay_alu instid0(VALU_DEP_1) | instskip(NEXT) | instid1(VALU_DEP_1)
	v_div_fixup_f64 v[20:21], v[18:19], v[0:1], v[2:3]
	v_fmac_f64_e32 v[0:1], v[2:3], v[20:21]
	s_delay_alu instid0(VALU_DEP_1) | instskip(NEXT) | instid1(VALU_DEP_1)
	v_div_scale_f64 v[2:3], null, v[0:1], v[0:1], 1.0
	v_rcp_f64_e32 v[18:19], v[2:3]
	v_nop
	s_delay_alu instid0(TRANS32_DEP_1) | instskip(NEXT) | instid1(VALU_DEP_1)
	v_fma_f64 v[26:27], -v[2:3], v[18:19], 1.0
	v_fmac_f64_e32 v[18:19], v[18:19], v[26:27]
	s_delay_alu instid0(VALU_DEP_1) | instskip(NEXT) | instid1(VALU_DEP_1)
	v_fma_f64 v[26:27], -v[2:3], v[18:19], 1.0
	v_fmac_f64_e32 v[18:19], v[18:19], v[26:27]
	v_div_scale_f64 v[26:27], vcc_lo, 1.0, v[0:1], 1.0
	s_delay_alu instid0(VALU_DEP_1) | instskip(NEXT) | instid1(VALU_DEP_1)
	v_mul_f64_e32 v[28:29], v[26:27], v[18:19]
	v_fma_f64 v[2:3], -v[2:3], v[28:29], v[26:27]
	s_delay_alu instid0(VALU_DEP_1) | instskip(NEXT) | instid1(VALU_DEP_1)
	v_div_fmas_f64 v[2:3], v[2:3], v[18:19], v[28:29]
	v_div_fixup_f64 v[18:19], v[2:3], v[0:1], 1.0
	s_delay_alu instid0(VALU_DEP_1)
	v_mul_f64_e64 v[20:21], v[20:21], -v[18:19]
	s_branch .LBB245_10
.LBB245_21:                             ;   in Loop: Header=BB245_6 Depth=1
	s_load_b32 s2, s[24:25], 0xc
	s_mov_b32 s17, s31
	s_wait_kmcnt 0x0
	s_and_b32 s16, s2, 0xffff
	s_mov_b64 s[2:3], s[6:7]
	s_and_saveexec_b32 s38, s35
	s_cbranch_execz .LBB245_5
.LBB245_22:                             ;   in Loop: Header=BB245_6 Depth=1
	s_mul_u64 s[20:21], s[26:27], s[30:31]
	s_and_not1_b32 vcc_lo, exec_lo, s34
	v_lshl_add_u64 v[16:17], s[20:21], 4, v[14:15]
	global_load_b128 v[4:7], v[16:17], off
	s_wait_loadcnt 0x0
	v_mul_f64_e32 v[0:1], s[10:11], v[6:7]
	v_mul_f64_e32 v[2:3], s[8:9], v[6:7]
	s_delay_alu instid0(VALU_DEP_2) | instskip(NEXT) | instid1(VALU_DEP_2)
	v_fma_f64 v[0:1], s[8:9], v[4:5], -v[0:1]
	v_fmac_f64_e32 v[2:3], s[10:11], v[4:5]
	s_cbranch_vccnz .LBB245_35
; %bb.23:                               ;   in Loop: Header=BB245_6 Depth=1
	v_mad_nc_u64_u32 v[4:5], v10, s16, v[10:11]
	v_add_nc_u64_e32 v[18:19], s[2:3], v[12:13]
	s_lshl_b64 s[20:21], s[16:17], 4
	s_mov_b64 s[22:23], 0
	s_delay_alu instid0(VALU_DEP_2) | instskip(NEXT) | instid1(VALU_DEP_1)
	v_mad_u32 v5, v10, s17, v5
	v_lshl_add_u64 v[20:21], v[4:5], 4, s[2:3]
	s_branch .LBB245_25
.LBB245_24:                             ;   in Loop: Header=BB245_25 Depth=2
	s_wait_xcnt 0x0
	s_or_b32 exec_lo, exec_lo, s39
	v_add_nc_u64_e32 v[18:19], s[20:21], v[18:19]
	s_add_nc_u64 s[22:23], s[22:23], 1
	s_delay_alu instid0(SALU_CYCLE_1)
	s_cmp_eq_u64 s[14:15], s[22:23]
	s_cbranch_scc1 .LBB245_35
.LBB245_25:                             ;   Parent Loop BB245_6 Depth=1
                                        ; =>  This Inner Loop Header: Depth=2
	s_mov_b32 s39, exec_lo
	s_wait_dscnt 0x0
	s_barrier_signal -1
	s_barrier_wait -1
	s_wait_xcnt 0x0
	v_cmpx_eq_u64_e64 s[22:23], v[10:11]
	s_cbranch_execz .LBB245_33
; %bb.26:                               ;   in Loop: Header=BB245_25 Depth=2
	flat_load_b128 v[4:7], v[20:21]
	s_and_not1_b32 vcc_lo, exec_lo, s33
	s_cbranch_vccnz .LBB245_32
; %bb.27:                               ;   in Loop: Header=BB245_25 Depth=2
	s_wait_loadcnt_dscnt 0x0
	v_cmp_ngt_f64_e64 s40, |v[4:5]|, |v[6:7]|
	s_wait_xcnt 0x0
	s_and_saveexec_b32 s41, s40
	s_delay_alu instid0(SALU_CYCLE_1)
	s_xor_b32 s40, exec_lo, s41
	s_cbranch_execz .LBB245_29
; %bb.28:                               ;   in Loop: Header=BB245_25 Depth=2
	v_div_scale_f64 v[26:27], null, v[6:7], v[6:7], v[4:5]
	v_div_scale_f64 v[32:33], vcc_lo, v[4:5], v[6:7], v[4:5]
	s_delay_alu instid0(VALU_DEP_2) | instskip(SKIP_1) | instid1(TRANS32_DEP_1)
	v_rcp_f64_e32 v[28:29], v[26:27]
	v_nop
	v_fma_f64 v[30:31], -v[26:27], v[28:29], 1.0
	s_delay_alu instid0(VALU_DEP_1) | instskip(NEXT) | instid1(VALU_DEP_1)
	v_fmac_f64_e32 v[28:29], v[28:29], v[30:31]
	v_fma_f64 v[30:31], -v[26:27], v[28:29], 1.0
	s_delay_alu instid0(VALU_DEP_1) | instskip(NEXT) | instid1(VALU_DEP_1)
	v_fmac_f64_e32 v[28:29], v[28:29], v[30:31]
	v_mul_f64_e32 v[30:31], v[32:33], v[28:29]
	s_delay_alu instid0(VALU_DEP_1) | instskip(NEXT) | instid1(VALU_DEP_1)
	v_fma_f64 v[26:27], -v[26:27], v[30:31], v[32:33]
	v_div_fmas_f64 v[26:27], v[26:27], v[28:29], v[30:31]
	s_delay_alu instid0(VALU_DEP_1) | instskip(NEXT) | instid1(VALU_DEP_1)
	v_div_fixup_f64 v[26:27], v[26:27], v[6:7], v[4:5]
	v_fmac_f64_e32 v[6:7], v[4:5], v[26:27]
	s_delay_alu instid0(VALU_DEP_1) | instskip(NEXT) | instid1(VALU_DEP_1)
	v_div_scale_f64 v[4:5], null, v[6:7], v[6:7], 1.0
	v_rcp_f64_e32 v[28:29], v[4:5]
	v_nop
	s_delay_alu instid0(TRANS32_DEP_1) | instskip(NEXT) | instid1(VALU_DEP_1)
	v_fma_f64 v[30:31], -v[4:5], v[28:29], 1.0
	v_fmac_f64_e32 v[28:29], v[28:29], v[30:31]
	s_delay_alu instid0(VALU_DEP_1) | instskip(NEXT) | instid1(VALU_DEP_1)
	v_fma_f64 v[30:31], -v[4:5], v[28:29], 1.0
	v_fmac_f64_e32 v[28:29], v[28:29], v[30:31]
	v_div_scale_f64 v[30:31], vcc_lo, 1.0, v[6:7], 1.0
	s_delay_alu instid0(VALU_DEP_1) | instskip(NEXT) | instid1(VALU_DEP_1)
	v_mul_f64_e32 v[32:33], v[30:31], v[28:29]
	v_fma_f64 v[4:5], -v[4:5], v[32:33], v[30:31]
	s_delay_alu instid0(VALU_DEP_1) | instskip(NEXT) | instid1(VALU_DEP_1)
	v_div_fmas_f64 v[4:5], v[4:5], v[28:29], v[32:33]
	v_div_fixup_f64 v[6:7], v[4:5], v[6:7], 1.0
	s_delay_alu instid0(VALU_DEP_1)
	v_mul_f64_e32 v[4:5], v[26:27], v[6:7]
	v_xor_b32_e32 v7, 0x80000000, v7
.LBB245_29:                             ;   in Loop: Header=BB245_25 Depth=2
	s_and_not1_saveexec_b32 s40, s40
	s_cbranch_execz .LBB245_31
; %bb.30:                               ;   in Loop: Header=BB245_25 Depth=2
	s_delay_alu instid0(VALU_DEP_1) | instskip(SKIP_1) | instid1(VALU_DEP_2)
	v_div_scale_f64 v[26:27], null, v[4:5], v[4:5], v[6:7]
	v_div_scale_f64 v[32:33], vcc_lo, v[6:7], v[4:5], v[6:7]
	v_rcp_f64_e32 v[28:29], v[26:27]
	v_nop
	s_delay_alu instid0(TRANS32_DEP_1) | instskip(NEXT) | instid1(VALU_DEP_1)
	v_fma_f64 v[30:31], -v[26:27], v[28:29], 1.0
	v_fmac_f64_e32 v[28:29], v[28:29], v[30:31]
	s_delay_alu instid0(VALU_DEP_1) | instskip(NEXT) | instid1(VALU_DEP_1)
	v_fma_f64 v[30:31], -v[26:27], v[28:29], 1.0
	v_fmac_f64_e32 v[28:29], v[28:29], v[30:31]
	s_delay_alu instid0(VALU_DEP_1) | instskip(NEXT) | instid1(VALU_DEP_1)
	v_mul_f64_e32 v[30:31], v[32:33], v[28:29]
	v_fma_f64 v[26:27], -v[26:27], v[30:31], v[32:33]
	s_delay_alu instid0(VALU_DEP_1) | instskip(NEXT) | instid1(VALU_DEP_1)
	v_div_fmas_f64 v[26:27], v[26:27], v[28:29], v[30:31]
	v_div_fixup_f64 v[26:27], v[26:27], v[4:5], v[6:7]
	s_delay_alu instid0(VALU_DEP_1) | instskip(NEXT) | instid1(VALU_DEP_1)
	v_fmac_f64_e32 v[4:5], v[6:7], v[26:27]
	v_div_scale_f64 v[6:7], null, v[4:5], v[4:5], 1.0
	s_delay_alu instid0(VALU_DEP_1) | instskip(SKIP_1) | instid1(TRANS32_DEP_1)
	v_rcp_f64_e32 v[28:29], v[6:7]
	v_nop
	v_fma_f64 v[30:31], -v[6:7], v[28:29], 1.0
	s_delay_alu instid0(VALU_DEP_1) | instskip(NEXT) | instid1(VALU_DEP_1)
	v_fmac_f64_e32 v[28:29], v[28:29], v[30:31]
	v_fma_f64 v[30:31], -v[6:7], v[28:29], 1.0
	s_delay_alu instid0(VALU_DEP_1) | instskip(SKIP_1) | instid1(VALU_DEP_1)
	v_fmac_f64_e32 v[28:29], v[28:29], v[30:31]
	v_div_scale_f64 v[30:31], vcc_lo, 1.0, v[4:5], 1.0
	v_mul_f64_e32 v[32:33], v[30:31], v[28:29]
	s_delay_alu instid0(VALU_DEP_1) | instskip(NEXT) | instid1(VALU_DEP_1)
	v_fma_f64 v[6:7], -v[6:7], v[32:33], v[30:31]
	v_div_fmas_f64 v[6:7], v[6:7], v[28:29], v[32:33]
	s_delay_alu instid0(VALU_DEP_1) | instskip(NEXT) | instid1(VALU_DEP_1)
	v_div_fixup_f64 v[4:5], v[6:7], v[4:5], 1.0
	v_mul_f64_e64 v[6:7], v[26:27], -v[4:5]
.LBB245_31:                             ;   in Loop: Header=BB245_25 Depth=2
	s_or_b32 exec_lo, exec_lo, s40
.LBB245_32:                             ;   in Loop: Header=BB245_25 Depth=2
	s_wait_loadcnt_dscnt 0x0
	s_delay_alu instid0(VALU_DEP_1) | instskip(SKIP_1) | instid1(VALU_DEP_2)
	v_mul_f64_e32 v[26:27], v[0:1], v[6:7]
	v_mul_f64_e32 v[6:7], v[2:3], v[6:7]
	v_fmac_f64_e32 v[26:27], v[2:3], v[4:5]
	s_delay_alu instid0(VALU_DEP_2) | instskip(NEXT) | instid1(VALU_DEP_2)
	v_fma_f64 v[4:5], v[0:1], v[4:5], -v[6:7]
	v_mov_b64_e32 v[2:3], v[26:27]
	s_delay_alu instid0(VALU_DEP_2)
	v_mov_b64_e32 v[0:1], v[4:5]
	ds_store_2addr_b64 v24, v[4:5], v[26:27] offset1:1
.LBB245_33:                             ;   in Loop: Header=BB245_25 Depth=2
	s_wait_xcnt 0x0
	s_or_b32 exec_lo, exec_lo, s39
	s_delay_alu instid0(SALU_CYCLE_1)
	s_mov_b32 s39, exec_lo
	s_wait_dscnt 0x0
	s_barrier_signal -1
	s_barrier_wait -1
	v_cmpx_lt_u64_e64 s[22:23], v[10:11]
	s_cbranch_execz .LBB245_24
; %bb.34:                               ;   in Loop: Header=BB245_25 Depth=2
	flat_load_b128 v[4:7], v[18:19] offset:-8
	ds_load_2addr_b64 v[26:29], v24 offset1:1
	s_wait_loadcnt_dscnt 0x1
	v_xor_b32_e32 v30, 0x80000000, v7
	s_delay_alu instid0(VALU_DEP_1) | instskip(SKIP_1) | instid1(VALU_DEP_1)
	v_cndmask_b32_e64 v7, v7, v30, s0
	s_wait_dscnt 0x0
	v_mul_f64_e32 v[30:31], v[6:7], v[28:29]
	v_mul_f64_e32 v[28:29], v[4:5], v[28:29]
	s_delay_alu instid0(VALU_DEP_2) | instskip(NEXT) | instid1(VALU_DEP_2)
	v_fma_f64 v[4:5], v[4:5], v[26:27], -v[30:31]
	v_fmac_f64_e32 v[28:29], v[6:7], v[26:27]
	s_delay_alu instid0(VALU_DEP_2) | instskip(NEXT) | instid1(VALU_DEP_2)
	v_add_f64_e64 v[0:1], v[0:1], -v[4:5]
	v_add_f64_e64 v[2:3], v[2:3], -v[28:29]
	s_branch .LBB245_24
.LBB245_35:                             ;   in Loop: Header=BB245_6 Depth=1
	s_wait_xcnt 0x0
	s_and_saveexec_b32 s20, s1
	s_cbranch_execz .LBB245_4
; %bb.36:                               ;   in Loop: Header=BB245_6 Depth=1
	v_mad_nc_u64_u32 v[4:5], v10, s16, v[10:11]
	s_and_not1_b32 vcc_lo, exec_lo, s33
	s_delay_alu instid0(VALU_DEP_1) | instskip(NEXT) | instid1(VALU_DEP_1)
	v_mad_u32 v5, v10, s17, v5
	v_lshl_add_u64 v[4:5], v[4:5], 4, s[2:3]
	flat_load_b128 v[4:7], v[4:5]
	s_cbranch_vccnz .LBB245_3
; %bb.37:                               ;   in Loop: Header=BB245_6 Depth=1
	s_wait_loadcnt_dscnt 0x0
	v_cmp_ngt_f64_e64 s2, |v[4:5]|, |v[6:7]|
	s_wait_xcnt 0x0
	s_and_saveexec_b32 s3, s2
	s_delay_alu instid0(SALU_CYCLE_1)
	s_xor_b32 s2, exec_lo, s3
	s_cbranch_execz .LBB245_39
; %bb.38:                               ;   in Loop: Header=BB245_6 Depth=1
	v_div_scale_f64 v[18:19], null, v[6:7], v[6:7], v[4:5]
	v_div_scale_f64 v[28:29], vcc_lo, v[4:5], v[6:7], v[4:5]
	s_delay_alu instid0(VALU_DEP_2) | instskip(SKIP_1) | instid1(TRANS32_DEP_1)
	v_rcp_f64_e32 v[20:21], v[18:19]
	v_nop
	v_fma_f64 v[26:27], -v[18:19], v[20:21], 1.0
	s_delay_alu instid0(VALU_DEP_1) | instskip(NEXT) | instid1(VALU_DEP_1)
	v_fmac_f64_e32 v[20:21], v[20:21], v[26:27]
	v_fma_f64 v[26:27], -v[18:19], v[20:21], 1.0
	s_delay_alu instid0(VALU_DEP_1) | instskip(NEXT) | instid1(VALU_DEP_1)
	v_fmac_f64_e32 v[20:21], v[20:21], v[26:27]
	v_mul_f64_e32 v[26:27], v[28:29], v[20:21]
	s_delay_alu instid0(VALU_DEP_1) | instskip(NEXT) | instid1(VALU_DEP_1)
	v_fma_f64 v[18:19], -v[18:19], v[26:27], v[28:29]
	v_div_fmas_f64 v[18:19], v[18:19], v[20:21], v[26:27]
	s_delay_alu instid0(VALU_DEP_1) | instskip(NEXT) | instid1(VALU_DEP_1)
	v_div_fixup_f64 v[18:19], v[18:19], v[6:7], v[4:5]
	v_fmac_f64_e32 v[6:7], v[4:5], v[18:19]
	s_delay_alu instid0(VALU_DEP_1) | instskip(NEXT) | instid1(VALU_DEP_1)
	v_div_scale_f64 v[4:5], null, v[6:7], v[6:7], 1.0
	v_rcp_f64_e32 v[20:21], v[4:5]
	v_nop
	s_delay_alu instid0(TRANS32_DEP_1) | instskip(NEXT) | instid1(VALU_DEP_1)
	v_fma_f64 v[26:27], -v[4:5], v[20:21], 1.0
	v_fmac_f64_e32 v[20:21], v[20:21], v[26:27]
	s_delay_alu instid0(VALU_DEP_1) | instskip(NEXT) | instid1(VALU_DEP_1)
	v_fma_f64 v[26:27], -v[4:5], v[20:21], 1.0
	v_fmac_f64_e32 v[20:21], v[20:21], v[26:27]
	v_div_scale_f64 v[26:27], vcc_lo, 1.0, v[6:7], 1.0
	s_delay_alu instid0(VALU_DEP_1) | instskip(NEXT) | instid1(VALU_DEP_1)
	v_mul_f64_e32 v[28:29], v[26:27], v[20:21]
	v_fma_f64 v[4:5], -v[4:5], v[28:29], v[26:27]
	s_delay_alu instid0(VALU_DEP_1) | instskip(NEXT) | instid1(VALU_DEP_1)
	v_div_fmas_f64 v[4:5], v[4:5], v[20:21], v[28:29]
	v_div_fixup_f64 v[6:7], v[4:5], v[6:7], 1.0
	s_delay_alu instid0(VALU_DEP_1)
	v_mul_f64_e32 v[4:5], v[18:19], v[6:7]
	v_xor_b32_e32 v7, 0x80000000, v7
.LBB245_39:                             ;   in Loop: Header=BB245_6 Depth=1
	s_and_not1_saveexec_b32 s2, s2
	s_cbranch_execz .LBB245_2
; %bb.40:                               ;   in Loop: Header=BB245_6 Depth=1
	s_delay_alu instid0(VALU_DEP_1) | instskip(SKIP_1) | instid1(VALU_DEP_2)
	v_div_scale_f64 v[18:19], null, v[4:5], v[4:5], v[6:7]
	v_div_scale_f64 v[28:29], vcc_lo, v[6:7], v[4:5], v[6:7]
	v_rcp_f64_e32 v[20:21], v[18:19]
	v_nop
	s_delay_alu instid0(TRANS32_DEP_1) | instskip(NEXT) | instid1(VALU_DEP_1)
	v_fma_f64 v[26:27], -v[18:19], v[20:21], 1.0
	v_fmac_f64_e32 v[20:21], v[20:21], v[26:27]
	s_delay_alu instid0(VALU_DEP_1) | instskip(NEXT) | instid1(VALU_DEP_1)
	v_fma_f64 v[26:27], -v[18:19], v[20:21], 1.0
	v_fmac_f64_e32 v[20:21], v[20:21], v[26:27]
	s_delay_alu instid0(VALU_DEP_1) | instskip(NEXT) | instid1(VALU_DEP_1)
	v_mul_f64_e32 v[26:27], v[28:29], v[20:21]
	v_fma_f64 v[18:19], -v[18:19], v[26:27], v[28:29]
	s_delay_alu instid0(VALU_DEP_1) | instskip(NEXT) | instid1(VALU_DEP_1)
	v_div_fmas_f64 v[18:19], v[18:19], v[20:21], v[26:27]
	v_div_fixup_f64 v[18:19], v[18:19], v[4:5], v[6:7]
	s_delay_alu instid0(VALU_DEP_1) | instskip(NEXT) | instid1(VALU_DEP_1)
	v_fmac_f64_e32 v[4:5], v[6:7], v[18:19]
	v_div_scale_f64 v[6:7], null, v[4:5], v[4:5], 1.0
	s_delay_alu instid0(VALU_DEP_1) | instskip(SKIP_1) | instid1(TRANS32_DEP_1)
	v_rcp_f64_e32 v[20:21], v[6:7]
	v_nop
	v_fma_f64 v[26:27], -v[6:7], v[20:21], 1.0
	s_delay_alu instid0(VALU_DEP_1) | instskip(NEXT) | instid1(VALU_DEP_1)
	v_fmac_f64_e32 v[20:21], v[20:21], v[26:27]
	v_fma_f64 v[26:27], -v[6:7], v[20:21], 1.0
	s_delay_alu instid0(VALU_DEP_1) | instskip(SKIP_1) | instid1(VALU_DEP_1)
	v_fmac_f64_e32 v[20:21], v[20:21], v[26:27]
	v_div_scale_f64 v[26:27], vcc_lo, 1.0, v[4:5], 1.0
	v_mul_f64_e32 v[28:29], v[26:27], v[20:21]
	s_delay_alu instid0(VALU_DEP_1) | instskip(NEXT) | instid1(VALU_DEP_1)
	v_fma_f64 v[6:7], -v[6:7], v[28:29], v[26:27]
	v_div_fmas_f64 v[6:7], v[6:7], v[20:21], v[28:29]
	s_delay_alu instid0(VALU_DEP_1) | instskip(NEXT) | instid1(VALU_DEP_1)
	v_div_fixup_f64 v[4:5], v[6:7], v[4:5], 1.0
	v_mul_f64_e64 v[6:7], v[18:19], -v[4:5]
	s_branch .LBB245_2
.LBB245_41:
	s_endpgm
	.section	.rodata,"a",@progbits
	.p2align	6, 0x0
	.amdhsa_kernel _ZL39rocblas_trsm_block_forward_substitutionI19rocblas_complex_numIdES1_PKS1_PS1_Lb0ELb1ELb0EEv18rocblas_operation_llT0_T1_lllT2_lllib
		.amdhsa_group_segment_fixed_size 0
		.amdhsa_private_segment_fixed_size 0
		.amdhsa_kernarg_size 368
		.amdhsa_user_sgpr_count 2
		.amdhsa_user_sgpr_dispatch_ptr 0
		.amdhsa_user_sgpr_queue_ptr 0
		.amdhsa_user_sgpr_kernarg_segment_ptr 1
		.amdhsa_user_sgpr_dispatch_id 0
		.amdhsa_user_sgpr_kernarg_preload_length 0
		.amdhsa_user_sgpr_kernarg_preload_offset 0
		.amdhsa_user_sgpr_private_segment_size 0
		.amdhsa_wavefront_size32 1
		.amdhsa_uses_dynamic_stack 0
		.amdhsa_enable_private_segment 0
		.amdhsa_system_sgpr_workgroup_id_x 1
		.amdhsa_system_sgpr_workgroup_id_y 1
		.amdhsa_system_sgpr_workgroup_id_z 1
		.amdhsa_system_sgpr_workgroup_info 0
		.amdhsa_system_vgpr_workitem_id 1
		.amdhsa_next_free_vgpr 34
		.amdhsa_next_free_sgpr 42
		.amdhsa_named_barrier_count 0
		.amdhsa_reserve_vcc 1
		.amdhsa_float_round_mode_32 0
		.amdhsa_float_round_mode_16_64 0
		.amdhsa_float_denorm_mode_32 3
		.amdhsa_float_denorm_mode_16_64 3
		.amdhsa_fp16_overflow 0
		.amdhsa_memory_ordered 1
		.amdhsa_forward_progress 1
		.amdhsa_inst_pref_size 21
		.amdhsa_round_robin_scheduling 0
		.amdhsa_exception_fp_ieee_invalid_op 0
		.amdhsa_exception_fp_denorm_src 0
		.amdhsa_exception_fp_ieee_div_zero 0
		.amdhsa_exception_fp_ieee_overflow 0
		.amdhsa_exception_fp_ieee_underflow 0
		.amdhsa_exception_fp_ieee_inexact 0
		.amdhsa_exception_int_div_zero 0
	.end_amdhsa_kernel
	.section	.text._ZL39rocblas_trsm_block_forward_substitutionI19rocblas_complex_numIdES1_PKS1_PS1_Lb0ELb1ELb0EEv18rocblas_operation_llT0_T1_lllT2_lllib,"axG",@progbits,_ZL39rocblas_trsm_block_forward_substitutionI19rocblas_complex_numIdES1_PKS1_PS1_Lb0ELb1ELb0EEv18rocblas_operation_llT0_T1_lllT2_lllib,comdat
.Lfunc_end245:
	.size	_ZL39rocblas_trsm_block_forward_substitutionI19rocblas_complex_numIdES1_PKS1_PS1_Lb0ELb1ELb0EEv18rocblas_operation_llT0_T1_lllT2_lllib, .Lfunc_end245-_ZL39rocblas_trsm_block_forward_substitutionI19rocblas_complex_numIdES1_PKS1_PS1_Lb0ELb1ELb0EEv18rocblas_operation_llT0_T1_lllT2_lllib
                                        ; -- End function
	.set _ZL39rocblas_trsm_block_forward_substitutionI19rocblas_complex_numIdES1_PKS1_PS1_Lb0ELb1ELb0EEv18rocblas_operation_llT0_T1_lllT2_lllib.num_vgpr, 34
	.set _ZL39rocblas_trsm_block_forward_substitutionI19rocblas_complex_numIdES1_PKS1_PS1_Lb0ELb1ELb0EEv18rocblas_operation_llT0_T1_lllT2_lllib.num_agpr, 0
	.set _ZL39rocblas_trsm_block_forward_substitutionI19rocblas_complex_numIdES1_PKS1_PS1_Lb0ELb1ELb0EEv18rocblas_operation_llT0_T1_lllT2_lllib.numbered_sgpr, 42
	.set _ZL39rocblas_trsm_block_forward_substitutionI19rocblas_complex_numIdES1_PKS1_PS1_Lb0ELb1ELb0EEv18rocblas_operation_llT0_T1_lllT2_lllib.num_named_barrier, 0
	.set _ZL39rocblas_trsm_block_forward_substitutionI19rocblas_complex_numIdES1_PKS1_PS1_Lb0ELb1ELb0EEv18rocblas_operation_llT0_T1_lllT2_lllib.private_seg_size, 0
	.set _ZL39rocblas_trsm_block_forward_substitutionI19rocblas_complex_numIdES1_PKS1_PS1_Lb0ELb1ELb0EEv18rocblas_operation_llT0_T1_lllT2_lllib.uses_vcc, 1
	.set _ZL39rocblas_trsm_block_forward_substitutionI19rocblas_complex_numIdES1_PKS1_PS1_Lb0ELb1ELb0EEv18rocblas_operation_llT0_T1_lllT2_lllib.uses_flat_scratch, 0
	.set _ZL39rocblas_trsm_block_forward_substitutionI19rocblas_complex_numIdES1_PKS1_PS1_Lb0ELb1ELb0EEv18rocblas_operation_llT0_T1_lllT2_lllib.has_dyn_sized_stack, 0
	.set _ZL39rocblas_trsm_block_forward_substitutionI19rocblas_complex_numIdES1_PKS1_PS1_Lb0ELb1ELb0EEv18rocblas_operation_llT0_T1_lllT2_lllib.has_recursion, 0
	.set _ZL39rocblas_trsm_block_forward_substitutionI19rocblas_complex_numIdES1_PKS1_PS1_Lb0ELb1ELb0EEv18rocblas_operation_llT0_T1_lllT2_lllib.has_indirect_call, 0
	.section	.AMDGPU.csdata,"",@progbits
; Kernel info:
; codeLenInByte = 2656
; TotalNumSgprs: 44
; NumVgprs: 34
; ScratchSize: 0
; MemoryBound: 1
; FloatMode: 240
; IeeeMode: 1
; LDSByteSize: 0 bytes/workgroup (compile time only)
; SGPRBlocks: 0
; VGPRBlocks: 2
; NumSGPRsForWavesPerEU: 44
; NumVGPRsForWavesPerEU: 34
; NamedBarCnt: 0
; Occupancy: 16
; WaveLimiterHint : 0
; COMPUTE_PGM_RSRC2:SCRATCH_EN: 0
; COMPUTE_PGM_RSRC2:USER_SGPR: 2
; COMPUTE_PGM_RSRC2:TRAP_HANDLER: 0
; COMPUTE_PGM_RSRC2:TGID_X_EN: 1
; COMPUTE_PGM_RSRC2:TGID_Y_EN: 1
; COMPUTE_PGM_RSRC2:TGID_Z_EN: 1
; COMPUTE_PGM_RSRC2:TIDIG_COMP_CNT: 1
	.section	.text._ZL40rocblas_trsm_block_backward_substitutionI19rocblas_complex_numIdES1_PKS1_PS1_Lb0ELb1ELb0EEv18rocblas_operation_llT0_T1_lllT2_lllib,"axG",@progbits,_ZL40rocblas_trsm_block_backward_substitutionI19rocblas_complex_numIdES1_PKS1_PS1_Lb0ELb1ELb0EEv18rocblas_operation_llT0_T1_lllT2_lllib,comdat
	.globl	_ZL40rocblas_trsm_block_backward_substitutionI19rocblas_complex_numIdES1_PKS1_PS1_Lb0ELb1ELb0EEv18rocblas_operation_llT0_T1_lllT2_lllib ; -- Begin function _ZL40rocblas_trsm_block_backward_substitutionI19rocblas_complex_numIdES1_PKS1_PS1_Lb0ELb1ELb0EEv18rocblas_operation_llT0_T1_lllT2_lllib
	.p2align	8
	.type	_ZL40rocblas_trsm_block_backward_substitutionI19rocblas_complex_numIdES1_PKS1_PS1_Lb0ELb1ELb0EEv18rocblas_operation_llT0_T1_lllT2_lllib,@function
_ZL40rocblas_trsm_block_backward_substitutionI19rocblas_complex_numIdES1_PKS1_PS1_Lb0ELb1ELb0EEv18rocblas_operation_llT0_T1_lllT2_lllib: ; @_ZL40rocblas_trsm_block_backward_substitutionI19rocblas_complex_numIdES1_PKS1_PS1_Lb0ELb1ELb0EEv18rocblas_operation_llT0_T1_lllT2_lllib
; %bb.0:
	s_load_b64 s[28:29], s[0:1], 0x68
	s_bfe_u32 s2, ttmp6, 0x40014
	s_lshr_b32 s4, ttmp7, 16
	s_add_co_i32 s2, s2, 1
	s_bfe_u32 s5, ttmp6, 0x40008
	s_mul_i32 s2, s4, s2
	s_getreg_b32 s3, hwreg(HW_REG_IB_STS2, 6, 4)
	s_add_co_i32 s5, s5, s2
	s_cmp_eq_u32 s3, 0
	s_mov_b32 s31, 0
	s_cselect_b32 s30, s4, s5
	s_wait_kmcnt 0x0
	s_cmp_ge_u32 s30, s28
	s_cbranch_scc1 .LBB246_42
; %bb.1:
	s_clause 0x2
	s_load_b32 s2, s[0:1], 0x0
	s_load_b512 s[4:19], s[0:1], 0x8
	s_load_b256 s[20:27], s[0:1], 0x48
	s_bitcmp1_b32 s29, 0
	s_load_u16 s29, s[0:1], 0x7e
	s_cselect_b32 s33, -1, 0
	s_mov_b64 s[34:35], src_shared_base
	v_cndmask_b32_e64 v24, 0, 1, s33
	s_xor_b32 s33, s33, -1
	v_bfe_u32 v25, v0, 10, 10
	v_and_b32_e32 v10, 0x3ff, v0
	v_mov_b32_e32 v9, 0
	s_delay_alu instid0(VALU_DEP_3)
	v_lshl_add_u32 v26, v25, 4, 0
	s_wait_kmcnt 0x0
	s_cmp_eq_u32 s2, 0x71
	v_cmp_gt_i64_e64 s43, s[4:5], 1
	s_cselect_b32 s2, -1, 0
	s_lshl_b64 s[36:37], s[14:15], 4
	s_bfe_u32 s14, ttmp6, 0x40010
	s_and_b32 s15, ttmp7, 0xffff
	s_add_co_i32 s14, s14, 1
	s_bfe_u32 s34, ttmp6, 0x40004
	s_mul_i32 s14, s15, s14
	s_lshl_b64 s[38:39], s[22:23], 4
	s_add_co_i32 s34, s34, s14
	s_cmp_eq_u32 s3, 0
	s_add_nc_u64 s[20:21], s[20:21], s[38:39]
	s_cselect_b32 s3, s15, s34
	s_add_nc_u64 s[14:15], s[0:1], 0x70
	v_mad_u32 v8, s3, s29, v25
	s_lshl_b32 s3, s29, 4
	v_cmp_gt_i64_e64 s44, s[4:5], 0
	s_add_co_i32 s22, s3, 0
	v_cmp_eq_u32_e64 s0, 0, v10
	v_lshl_add_u32 v27, v10, 4, s22
	s_mov_b32 s23, s35
	v_mul_u64_e32 v[2:3], s[24:25], v[8:9]
	v_cmp_gt_i64_e32 vcc_lo, s[6:7], v[8:9]
	v_dual_mov_b32 v11, v9 :: v_dual_lshlrev_b32 v8, 4, v10
	s_add_nc_u64 s[24:25], s[4:5], -1
	s_add_nc_u64 s[6:7], s[12:13], s[36:37]
	s_lshl_b64 s[12:13], s[24:25], 4
	s_delay_alu instid0(VALU_DEP_1)
	v_mul_u64_e32 v[12:13], s[16:17], v[10:11]
	v_lshlrev_b64_e32 v[14:15], 4, v[10:11]
	v_cmp_le_i64_e64 s42, s[4:5], v[10:11]
	v_cmp_gt_i64_e64 s1, s[4:5], v[10:11]
	s_xor_b32 s46, s42, -1
	s_and_b32 s45, vcc_lo, s1
	v_lshl_add_u64 v[0:1], v[2:3], 4, s[20:21]
	s_delay_alu instid0(VALU_DEP_1)
	v_add_nc_u64_e32 v[16:17], v[0:1], v[14:15]
	s_branch .LBB246_6
.LBB246_2:                              ;   in Loop: Header=BB246_6 Depth=1
	s_or_b32 exec_lo, exec_lo, s20
.LBB246_3:                              ;   in Loop: Header=BB246_6 Depth=1
	s_wait_loadcnt_dscnt 0x0
	s_delay_alu instid0(VALU_DEP_1) | instskip(NEXT) | instid1(VALU_DEP_3)
	v_mul_f64_e32 v[20:21], v[2:3], v[6:7]
	v_mul_f64_e32 v[2:3], v[2:3], v[4:5]
	s_wait_xcnt 0x0
	s_delay_alu instid0(VALU_DEP_2) | instskip(NEXT) | instid1(VALU_DEP_2)
	v_fma_f64 v[4:5], v[0:1], v[4:5], -v[20:21]
	v_fmac_f64_e32 v[2:3], v[0:1], v[6:7]
	s_delay_alu instid0(VALU_DEP_2)
	v_mov_b64_e32 v[0:1], v[4:5]
.LBB246_4:                              ;   in Loop: Header=BB246_6 Depth=1
	s_or_b32 exec_lo, exec_lo, s38
	global_store_b128 v[18:19], v[0:3], off
.LBB246_5:                              ;   in Loop: Header=BB246_6 Depth=1
	s_wait_xcnt 0x0
	s_or_b32 exec_lo, exec_lo, s3
	s_add_co_i32 s30, s30, 0x10000
	s_delay_alu instid0(SALU_CYCLE_1)
	s_cmp_lt_u32 s30, s28
	s_cbranch_scc0 .LBB246_42
.LBB246_6:                              ; =>This Loop Header: Depth=1
                                        ;     Child Loop BB246_11 Depth 2
                                        ;     Child Loop BB246_26 Depth 2
	v_cmp_ne_u32_e32 vcc_lo, 1, v24
	s_mul_u64 s[20:21], s[18:19], s[30:31]
	s_delay_alu instid0(SALU_CYCLE_1) | instskip(NEXT) | instid1(SALU_CYCLE_1)
	s_lshl_b64 s[20:21], s[20:21], 4
	s_add_nc_u64 s[20:21], s[6:7], s[20:21]
	s_cbranch_vccnz .LBB246_21
; %bb.7:                                ;   in Loop: Header=BB246_6 Depth=1
	s_and_not1_b32 vcc_lo, exec_lo, s44
	s_cbranch_vccnz .LBB246_22
; %bb.8:                                ;   in Loop: Header=BB246_6 Depth=1
	v_lshl_add_u64 v[4:5], v[12:13], 4, s[20:21]
	v_mov_b32_e32 v18, v25
	s_mov_b32 s20, s29
	s_delay_alu instid0(VALU_DEP_2)
	v_add_nc_u64_e32 v[6:7], v[4:5], v[8:9]
	s_branch .LBB246_11
.LBB246_9:                              ;   in Loop: Header=BB246_11 Depth=2
	s_or_b32 exec_lo, exec_lo, s21
	s_load_b32 s21, s[14:15], 0xc
	s_wait_kmcnt 0x0
	s_and_b32 s21, s21, 0xffff
	s_delay_alu instid0(SALU_CYCLE_1) | instskip(NEXT) | instid1(VALU_DEP_1)
	v_mul_u32_u24_e32 v0, s21, v10
	v_lshl_add_u32 v0, v0, 4, v27
	ds_store_2addr_b64 v0, v[20:21], v[22:23] offset1:1
.LBB246_10:                             ;   in Loop: Header=BB246_11 Depth=2
	s_or_b32 exec_lo, exec_lo, s3
	s_ashr_i32 s21, s20, 31
	v_add_nc_u32_e32 v18, s29, v18
	v_cmp_le_i64_e64 s3, s[4:5], s[20:21]
	s_add_co_i32 s20, s20, s29
	s_and_b32 vcc_lo, exec_lo, s3
	s_cbranch_vccnz .LBB246_22
.LBB246_11:                             ;   Parent Loop BB246_6 Depth=1
                                        ; =>  This Inner Loop Header: Depth=2
	s_mov_b32 s34, s42
	s_and_saveexec_b32 s21, s1
	s_cbranch_execz .LBB246_15
; %bb.12:                               ;   in Loop: Header=BB246_11 Depth=2
	v_ashrrev_i32_e32 v19, 31, v18
	v_cmp_lt_i32_e64 s3, v10, v18
	s_mov_b32 s34, -1
	v_cmp_gt_i64_e32 vcc_lo, s[4:5], v[18:19]
	s_and_b32 s35, s3, vcc_lo
	s_delay_alu instid0(SALU_CYCLE_1)
	s_and_saveexec_b32 s3, s35
	s_cbranch_execz .LBB246_14
; %bb.13:                               ;   in Loop: Header=BB246_11 Depth=2
	v_lshl_add_u64 v[0:1], v[18:19], 4, v[4:5]
	s_load_b32 s34, s[14:15], 0xc
	global_load_b128 v[0:3], v[0:1], off
	s_wait_kmcnt 0x0
	s_and_b32 s34, s34, 0xffff
	s_delay_alu instid0(SALU_CYCLE_1) | instskip(SKIP_1) | instid1(VALU_DEP_1)
	v_mul_lo_u32 v15, v18, s34
	s_xor_b32 s34, exec_lo, -1
	v_lshl_add_u32 v15, v15, 4, v27
	s_wait_loadcnt 0x0
	ds_store_2addr_b64 v15, v[0:1], v[2:3] offset1:1
.LBB246_14:                             ;   in Loop: Header=BB246_11 Depth=2
	s_wait_xcnt 0x0
	s_or_b32 exec_lo, exec_lo, s3
	s_delay_alu instid0(SALU_CYCLE_1) | instskip(SKIP_1) | instid1(SALU_CYCLE_1)
	s_and_not1_b32 s3, s42, exec_lo
	s_and_b32 s34, s34, exec_lo
	s_or_b32 s34, s3, s34
.LBB246_15:                             ;   in Loop: Header=BB246_11 Depth=2
	s_or_b32 exec_lo, exec_lo, s21
	s_and_saveexec_b32 s3, s34
	s_cbranch_execz .LBB246_10
; %bb.16:                               ;   in Loop: Header=BB246_11 Depth=2
	v_cmp_eq_u32_e32 vcc_lo, v10, v18
	s_and_b32 s21, s46, vcc_lo
	s_delay_alu instid0(SALU_CYCLE_1)
	s_and_b32 exec_lo, exec_lo, s21
	s_cbranch_execz .LBB246_10
; %bb.17:                               ;   in Loop: Header=BB246_11 Depth=2
	global_load_b128 v[0:3], v[6:7], off
                                        ; implicit-def: $vgpr20_vgpr21
	s_wait_loadcnt 0x0
	v_cmp_ngt_f64_e64 s21, |v[0:1]|, |v[2:3]|
	s_wait_xcnt 0x0
	s_and_saveexec_b32 s34, s21
	s_delay_alu instid0(SALU_CYCLE_1)
	s_xor_b32 s21, exec_lo, s34
                                        ; implicit-def: $vgpr22_vgpr23
	s_cbranch_execz .LBB246_19
; %bb.18:                               ;   in Loop: Header=BB246_11 Depth=2
	v_div_scale_f64 v[20:21], null, v[2:3], v[2:3], v[0:1]
	v_div_scale_f64 v[30:31], vcc_lo, v[0:1], v[2:3], v[0:1]
	s_delay_alu instid0(VALU_DEP_2) | instskip(SKIP_1) | instid1(TRANS32_DEP_1)
	v_rcp_f64_e32 v[22:23], v[20:21]
	v_nop
	v_fma_f64 v[28:29], -v[20:21], v[22:23], 1.0
	s_delay_alu instid0(VALU_DEP_1) | instskip(NEXT) | instid1(VALU_DEP_1)
	v_fmac_f64_e32 v[22:23], v[22:23], v[28:29]
	v_fma_f64 v[28:29], -v[20:21], v[22:23], 1.0
	s_delay_alu instid0(VALU_DEP_1) | instskip(NEXT) | instid1(VALU_DEP_1)
	v_fmac_f64_e32 v[22:23], v[22:23], v[28:29]
	v_mul_f64_e32 v[28:29], v[30:31], v[22:23]
	s_delay_alu instid0(VALU_DEP_1) | instskip(NEXT) | instid1(VALU_DEP_1)
	v_fma_f64 v[20:21], -v[20:21], v[28:29], v[30:31]
	v_div_fmas_f64 v[20:21], v[20:21], v[22:23], v[28:29]
	s_delay_alu instid0(VALU_DEP_1) | instskip(NEXT) | instid1(VALU_DEP_1)
	v_div_fixup_f64 v[20:21], v[20:21], v[2:3], v[0:1]
	v_fmac_f64_e32 v[2:3], v[0:1], v[20:21]
	s_delay_alu instid0(VALU_DEP_1) | instskip(NEXT) | instid1(VALU_DEP_1)
	v_div_scale_f64 v[0:1], null, v[2:3], v[2:3], 1.0
	v_rcp_f64_e32 v[22:23], v[0:1]
	v_nop
	s_delay_alu instid0(TRANS32_DEP_1) | instskip(NEXT) | instid1(VALU_DEP_1)
	v_fma_f64 v[28:29], -v[0:1], v[22:23], 1.0
	v_fmac_f64_e32 v[22:23], v[22:23], v[28:29]
	s_delay_alu instid0(VALU_DEP_1) | instskip(NEXT) | instid1(VALU_DEP_1)
	v_fma_f64 v[28:29], -v[0:1], v[22:23], 1.0
	v_fmac_f64_e32 v[22:23], v[22:23], v[28:29]
	v_div_scale_f64 v[28:29], vcc_lo, 1.0, v[2:3], 1.0
	s_delay_alu instid0(VALU_DEP_1) | instskip(NEXT) | instid1(VALU_DEP_1)
	v_mul_f64_e32 v[30:31], v[28:29], v[22:23]
	v_fma_f64 v[0:1], -v[0:1], v[30:31], v[28:29]
	s_delay_alu instid0(VALU_DEP_1) | instskip(NEXT) | instid1(VALU_DEP_1)
	v_div_fmas_f64 v[0:1], v[0:1], v[22:23], v[30:31]
	v_div_fixup_f64 v[22:23], v[0:1], v[2:3], 1.0
                                        ; implicit-def: $vgpr0_vgpr1
	s_delay_alu instid0(VALU_DEP_1)
	v_mul_f64_e32 v[20:21], v[20:21], v[22:23]
	v_xor_b32_e32 v23, 0x80000000, v23
.LBB246_19:                             ;   in Loop: Header=BB246_11 Depth=2
	s_and_not1_saveexec_b32 s21, s21
	s_cbranch_execz .LBB246_9
; %bb.20:                               ;   in Loop: Header=BB246_11 Depth=2
	v_div_scale_f64 v[20:21], null, v[0:1], v[0:1], v[2:3]
	v_div_scale_f64 v[30:31], vcc_lo, v[2:3], v[0:1], v[2:3]
	s_delay_alu instid0(VALU_DEP_2) | instskip(SKIP_1) | instid1(TRANS32_DEP_1)
	v_rcp_f64_e32 v[22:23], v[20:21]
	v_nop
	v_fma_f64 v[28:29], -v[20:21], v[22:23], 1.0
	s_delay_alu instid0(VALU_DEP_1) | instskip(NEXT) | instid1(VALU_DEP_1)
	v_fmac_f64_e32 v[22:23], v[22:23], v[28:29]
	v_fma_f64 v[28:29], -v[20:21], v[22:23], 1.0
	s_delay_alu instid0(VALU_DEP_1) | instskip(NEXT) | instid1(VALU_DEP_1)
	v_fmac_f64_e32 v[22:23], v[22:23], v[28:29]
	v_mul_f64_e32 v[28:29], v[30:31], v[22:23]
	s_delay_alu instid0(VALU_DEP_1) | instskip(NEXT) | instid1(VALU_DEP_1)
	v_fma_f64 v[20:21], -v[20:21], v[28:29], v[30:31]
	v_div_fmas_f64 v[20:21], v[20:21], v[22:23], v[28:29]
	s_delay_alu instid0(VALU_DEP_1) | instskip(NEXT) | instid1(VALU_DEP_1)
	v_div_fixup_f64 v[22:23], v[20:21], v[0:1], v[2:3]
	v_fmac_f64_e32 v[0:1], v[2:3], v[22:23]
	s_delay_alu instid0(VALU_DEP_1) | instskip(NEXT) | instid1(VALU_DEP_1)
	v_div_scale_f64 v[2:3], null, v[0:1], v[0:1], 1.0
	v_rcp_f64_e32 v[20:21], v[2:3]
	v_nop
	s_delay_alu instid0(TRANS32_DEP_1) | instskip(NEXT) | instid1(VALU_DEP_1)
	v_fma_f64 v[28:29], -v[2:3], v[20:21], 1.0
	v_fmac_f64_e32 v[20:21], v[20:21], v[28:29]
	s_delay_alu instid0(VALU_DEP_1) | instskip(NEXT) | instid1(VALU_DEP_1)
	v_fma_f64 v[28:29], -v[2:3], v[20:21], 1.0
	v_fmac_f64_e32 v[20:21], v[20:21], v[28:29]
	v_div_scale_f64 v[28:29], vcc_lo, 1.0, v[0:1], 1.0
	s_delay_alu instid0(VALU_DEP_1) | instskip(NEXT) | instid1(VALU_DEP_1)
	v_mul_f64_e32 v[30:31], v[28:29], v[20:21]
	v_fma_f64 v[2:3], -v[2:3], v[30:31], v[28:29]
	s_delay_alu instid0(VALU_DEP_1) | instskip(NEXT) | instid1(VALU_DEP_1)
	v_div_fmas_f64 v[2:3], v[2:3], v[20:21], v[30:31]
	v_div_fixup_f64 v[20:21], v[2:3], v[0:1], 1.0
	s_delay_alu instid0(VALU_DEP_1)
	v_mul_f64_e64 v[22:23], v[22:23], -v[20:21]
	s_branch .LBB246_9
.LBB246_21:                             ;   in Loop: Header=BB246_6 Depth=1
	s_mov_b64 s[34:35], 1
	s_mov_b64 s[36:37], s[16:17]
	s_and_saveexec_b32 s3, s45
	s_cbranch_execz .LBB246_5
	s_branch .LBB246_23
.LBB246_22:                             ;   in Loop: Header=BB246_6 Depth=1
	s_load_b32 s3, s[14:15], 0xc
	s_mov_b32 s35, s31
	s_mov_b64 s[36:37], 1
	s_mov_b64 s[20:21], s[22:23]
	s_wait_kmcnt 0x0
	s_and_b32 s34, s3, 0xffff
	s_and_saveexec_b32 s3, s45
	s_cbranch_execz .LBB246_5
.LBB246_23:                             ;   in Loop: Header=BB246_6 Depth=1
	s_mul_u64 s[38:39], s[26:27], s[30:31]
	s_and_not1_b32 vcc_lo, exec_lo, s43
	v_lshl_add_u64 v[18:19], s[38:39], 4, v[16:17]
	global_load_b128 v[4:7], v[18:19], off
	s_wait_loadcnt 0x0
	v_mul_f64_e32 v[0:1], s[10:11], v[6:7]
	v_mul_f64_e32 v[2:3], s[8:9], v[6:7]
	s_delay_alu instid0(VALU_DEP_2) | instskip(NEXT) | instid1(VALU_DEP_2)
	v_fma_f64 v[0:1], s[8:9], v[4:5], -v[0:1]
	v_fmac_f64_e32 v[2:3], s[10:11], v[4:5]
	s_cbranch_vccnz .LBB246_36
; %bb.24:                               ;   in Loop: Header=BB246_6 Depth=1
	s_add_nc_u64 s[38:39], s[34:35], s[36:37]
	s_mov_b64 s[40:41], s[24:25]
	v_mul_u64_e32 v[4:5], s[38:39], v[10:11]
	s_mul_u64 s[38:39], s[12:13], s[34:35]
	s_delay_alu instid0(SALU_CYCLE_1) | instskip(NEXT) | instid1(SALU_CYCLE_1)
	s_add_nc_u64 s[38:39], s[20:21], s[38:39]
	v_mad_nc_u64_u32 v[6:7], v14, s36, s[38:39]
	s_lshl_b32 s38, s34, 4
	s_mov_b32 s39, s31
	s_delay_alu instid0(SALU_CYCLE_1) | instskip(NEXT) | instid1(VALU_DEP_1)
	s_sub_nc_u64 s[38:39], 0, s[38:39]
	v_mad_u32 v7, v14, s37, v7
	s_delay_alu instid0(VALU_DEP_1) | instskip(NEXT) | instid1(VALU_DEP_4)
	v_add_nc_u64_e32 v[20:21], 8, v[6:7]
	v_lshl_add_u64 v[22:23], v[4:5], 4, s[20:21]
	s_branch .LBB246_26
.LBB246_25:                             ;   in Loop: Header=BB246_26 Depth=2
	s_wait_xcnt 0x0
	s_or_b32 exec_lo, exec_lo, s47
	s_add_nc_u64 s[48:49], s[40:41], 1
	v_add_nc_u64_e32 v[20:21], s[38:39], v[20:21]
	v_cmp_lt_u64_e64 s47, s[48:49], 3
	s_add_nc_u64 s[40:41], s[40:41], -1
	s_and_b32 vcc_lo, exec_lo, s47
	s_cbranch_vccnz .LBB246_36
.LBB246_26:                             ;   Parent Loop BB246_6 Depth=1
                                        ; =>  This Inner Loop Header: Depth=2
	s_mov_b32 s47, exec_lo
	s_wait_dscnt 0x0
	s_barrier_signal -1
	s_barrier_wait -1
	s_wait_xcnt 0x0
	v_cmpx_eq_u64_e64 s[40:41], v[10:11]
	s_cbranch_execz .LBB246_34
; %bb.27:                               ;   in Loop: Header=BB246_26 Depth=2
	flat_load_b128 v[4:7], v[22:23]
	s_and_not1_b32 vcc_lo, exec_lo, s33
	s_cbranch_vccnz .LBB246_33
; %bb.28:                               ;   in Loop: Header=BB246_26 Depth=2
	s_wait_loadcnt_dscnt 0x0
	v_cmp_ngt_f64_e64 s48, |v[4:5]|, |v[6:7]|
	s_wait_xcnt 0x0
	s_and_saveexec_b32 s49, s48
	s_delay_alu instid0(SALU_CYCLE_1)
	s_xor_b32 s48, exec_lo, s49
	s_cbranch_execz .LBB246_30
; %bb.29:                               ;   in Loop: Header=BB246_26 Depth=2
	v_div_scale_f64 v[28:29], null, v[6:7], v[6:7], v[4:5]
	v_div_scale_f64 v[34:35], vcc_lo, v[4:5], v[6:7], v[4:5]
	s_delay_alu instid0(VALU_DEP_2) | instskip(SKIP_1) | instid1(TRANS32_DEP_1)
	v_rcp_f64_e32 v[30:31], v[28:29]
	v_nop
	v_fma_f64 v[32:33], -v[28:29], v[30:31], 1.0
	s_delay_alu instid0(VALU_DEP_1) | instskip(NEXT) | instid1(VALU_DEP_1)
	v_fmac_f64_e32 v[30:31], v[30:31], v[32:33]
	v_fma_f64 v[32:33], -v[28:29], v[30:31], 1.0
	s_delay_alu instid0(VALU_DEP_1) | instskip(NEXT) | instid1(VALU_DEP_1)
	v_fmac_f64_e32 v[30:31], v[30:31], v[32:33]
	v_mul_f64_e32 v[32:33], v[34:35], v[30:31]
	s_delay_alu instid0(VALU_DEP_1) | instskip(NEXT) | instid1(VALU_DEP_1)
	v_fma_f64 v[28:29], -v[28:29], v[32:33], v[34:35]
	v_div_fmas_f64 v[28:29], v[28:29], v[30:31], v[32:33]
	s_delay_alu instid0(VALU_DEP_1) | instskip(NEXT) | instid1(VALU_DEP_1)
	v_div_fixup_f64 v[28:29], v[28:29], v[6:7], v[4:5]
	v_fmac_f64_e32 v[6:7], v[4:5], v[28:29]
	s_delay_alu instid0(VALU_DEP_1) | instskip(NEXT) | instid1(VALU_DEP_1)
	v_div_scale_f64 v[4:5], null, v[6:7], v[6:7], 1.0
	v_rcp_f64_e32 v[30:31], v[4:5]
	v_nop
	s_delay_alu instid0(TRANS32_DEP_1) | instskip(NEXT) | instid1(VALU_DEP_1)
	v_fma_f64 v[32:33], -v[4:5], v[30:31], 1.0
	v_fmac_f64_e32 v[30:31], v[30:31], v[32:33]
	s_delay_alu instid0(VALU_DEP_1) | instskip(NEXT) | instid1(VALU_DEP_1)
	v_fma_f64 v[32:33], -v[4:5], v[30:31], 1.0
	v_fmac_f64_e32 v[30:31], v[30:31], v[32:33]
	v_div_scale_f64 v[32:33], vcc_lo, 1.0, v[6:7], 1.0
	s_delay_alu instid0(VALU_DEP_1) | instskip(NEXT) | instid1(VALU_DEP_1)
	v_mul_f64_e32 v[34:35], v[32:33], v[30:31]
	v_fma_f64 v[4:5], -v[4:5], v[34:35], v[32:33]
	s_delay_alu instid0(VALU_DEP_1) | instskip(NEXT) | instid1(VALU_DEP_1)
	v_div_fmas_f64 v[4:5], v[4:5], v[30:31], v[34:35]
	v_div_fixup_f64 v[6:7], v[4:5], v[6:7], 1.0
	s_delay_alu instid0(VALU_DEP_1)
	v_mul_f64_e32 v[4:5], v[28:29], v[6:7]
	v_xor_b32_e32 v7, 0x80000000, v7
.LBB246_30:                             ;   in Loop: Header=BB246_26 Depth=2
	s_and_not1_saveexec_b32 s48, s48
	s_cbranch_execz .LBB246_32
; %bb.31:                               ;   in Loop: Header=BB246_26 Depth=2
	s_delay_alu instid0(VALU_DEP_1) | instskip(SKIP_1) | instid1(VALU_DEP_2)
	v_div_scale_f64 v[28:29], null, v[4:5], v[4:5], v[6:7]
	v_div_scale_f64 v[34:35], vcc_lo, v[6:7], v[4:5], v[6:7]
	v_rcp_f64_e32 v[30:31], v[28:29]
	v_nop
	s_delay_alu instid0(TRANS32_DEP_1) | instskip(NEXT) | instid1(VALU_DEP_1)
	v_fma_f64 v[32:33], -v[28:29], v[30:31], 1.0
	v_fmac_f64_e32 v[30:31], v[30:31], v[32:33]
	s_delay_alu instid0(VALU_DEP_1) | instskip(NEXT) | instid1(VALU_DEP_1)
	v_fma_f64 v[32:33], -v[28:29], v[30:31], 1.0
	v_fmac_f64_e32 v[30:31], v[30:31], v[32:33]
	s_delay_alu instid0(VALU_DEP_1) | instskip(NEXT) | instid1(VALU_DEP_1)
	v_mul_f64_e32 v[32:33], v[34:35], v[30:31]
	v_fma_f64 v[28:29], -v[28:29], v[32:33], v[34:35]
	s_delay_alu instid0(VALU_DEP_1) | instskip(NEXT) | instid1(VALU_DEP_1)
	v_div_fmas_f64 v[28:29], v[28:29], v[30:31], v[32:33]
	v_div_fixup_f64 v[28:29], v[28:29], v[4:5], v[6:7]
	s_delay_alu instid0(VALU_DEP_1) | instskip(NEXT) | instid1(VALU_DEP_1)
	v_fmac_f64_e32 v[4:5], v[6:7], v[28:29]
	v_div_scale_f64 v[6:7], null, v[4:5], v[4:5], 1.0
	s_delay_alu instid0(VALU_DEP_1) | instskip(SKIP_1) | instid1(TRANS32_DEP_1)
	v_rcp_f64_e32 v[30:31], v[6:7]
	v_nop
	v_fma_f64 v[32:33], -v[6:7], v[30:31], 1.0
	s_delay_alu instid0(VALU_DEP_1) | instskip(NEXT) | instid1(VALU_DEP_1)
	v_fmac_f64_e32 v[30:31], v[30:31], v[32:33]
	v_fma_f64 v[32:33], -v[6:7], v[30:31], 1.0
	s_delay_alu instid0(VALU_DEP_1) | instskip(SKIP_1) | instid1(VALU_DEP_1)
	v_fmac_f64_e32 v[30:31], v[30:31], v[32:33]
	v_div_scale_f64 v[32:33], vcc_lo, 1.0, v[4:5], 1.0
	v_mul_f64_e32 v[34:35], v[32:33], v[30:31]
	s_delay_alu instid0(VALU_DEP_1) | instskip(NEXT) | instid1(VALU_DEP_1)
	v_fma_f64 v[6:7], -v[6:7], v[34:35], v[32:33]
	v_div_fmas_f64 v[6:7], v[6:7], v[30:31], v[34:35]
	s_delay_alu instid0(VALU_DEP_1) | instskip(NEXT) | instid1(VALU_DEP_1)
	v_div_fixup_f64 v[4:5], v[6:7], v[4:5], 1.0
	v_mul_f64_e64 v[6:7], v[28:29], -v[4:5]
.LBB246_32:                             ;   in Loop: Header=BB246_26 Depth=2
	s_or_b32 exec_lo, exec_lo, s48
.LBB246_33:                             ;   in Loop: Header=BB246_26 Depth=2
	s_wait_loadcnt_dscnt 0x0
	s_delay_alu instid0(VALU_DEP_1) | instskip(SKIP_1) | instid1(VALU_DEP_2)
	v_mul_f64_e32 v[28:29], v[0:1], v[6:7]
	v_mul_f64_e32 v[6:7], v[2:3], v[6:7]
	v_fmac_f64_e32 v[28:29], v[2:3], v[4:5]
	s_delay_alu instid0(VALU_DEP_2) | instskip(NEXT) | instid1(VALU_DEP_2)
	v_fma_f64 v[4:5], v[0:1], v[4:5], -v[6:7]
	v_mov_b64_e32 v[2:3], v[28:29]
	s_delay_alu instid0(VALU_DEP_2)
	v_mov_b64_e32 v[0:1], v[4:5]
	ds_store_2addr_b64 v26, v[4:5], v[28:29] offset1:1
.LBB246_34:                             ;   in Loop: Header=BB246_26 Depth=2
	s_wait_xcnt 0x0
	s_or_b32 exec_lo, exec_lo, s47
	s_delay_alu instid0(SALU_CYCLE_1)
	s_mov_b32 s47, exec_lo
	s_wait_dscnt 0x0
	s_barrier_signal -1
	s_barrier_wait -1
	v_cmpx_gt_i64_e64 s[40:41], v[10:11]
	s_cbranch_execz .LBB246_25
; %bb.35:                               ;   in Loop: Header=BB246_26 Depth=2
	flat_load_b128 v[4:7], v[20:21] offset:-8
	ds_load_2addr_b64 v[28:31], v26 offset1:1
	s_wait_loadcnt_dscnt 0x1
	v_xor_b32_e32 v15, 0x80000000, v7
	s_delay_alu instid0(VALU_DEP_1) | instskip(SKIP_1) | instid1(VALU_DEP_1)
	v_cndmask_b32_e64 v7, v7, v15, s2
	s_wait_dscnt 0x0
	v_mul_f64_e32 v[32:33], v[6:7], v[30:31]
	v_mul_f64_e32 v[30:31], v[4:5], v[30:31]
	s_delay_alu instid0(VALU_DEP_2) | instskip(NEXT) | instid1(VALU_DEP_2)
	v_fma_f64 v[4:5], v[4:5], v[28:29], -v[32:33]
	v_fmac_f64_e32 v[30:31], v[6:7], v[28:29]
	s_delay_alu instid0(VALU_DEP_2) | instskip(NEXT) | instid1(VALU_DEP_2)
	v_add_f64_e64 v[0:1], v[0:1], -v[4:5]
	v_add_f64_e64 v[2:3], v[2:3], -v[30:31]
	s_branch .LBB246_25
.LBB246_36:                             ;   in Loop: Header=BB246_6 Depth=1
	s_wait_xcnt 0x0
	s_and_saveexec_b32 s38, s0
	s_cbranch_execz .LBB246_4
; %bb.37:                               ;   in Loop: Header=BB246_6 Depth=1
	s_add_nc_u64 s[34:35], s[34:35], s[36:37]
	s_and_not1_b32 vcc_lo, exec_lo, s33
	v_mul_u64_e32 v[4:5], s[34:35], v[10:11]
	s_delay_alu instid0(VALU_DEP_1)
	v_lshl_add_u64 v[4:5], v[4:5], 4, s[20:21]
	flat_load_b128 v[4:7], v[4:5]
	s_cbranch_vccnz .LBB246_3
; %bb.38:                               ;   in Loop: Header=BB246_6 Depth=1
	s_wait_loadcnt_dscnt 0x0
	v_cmp_ngt_f64_e64 s20, |v[4:5]|, |v[6:7]|
	s_wait_xcnt 0x0
	s_and_saveexec_b32 s21, s20
	s_delay_alu instid0(SALU_CYCLE_1)
	s_xor_b32 s20, exec_lo, s21
	s_cbranch_execz .LBB246_40
; %bb.39:                               ;   in Loop: Header=BB246_6 Depth=1
	v_div_scale_f64 v[20:21], null, v[6:7], v[6:7], v[4:5]
	v_div_scale_f64 v[30:31], vcc_lo, v[4:5], v[6:7], v[4:5]
	s_delay_alu instid0(VALU_DEP_2) | instskip(SKIP_1) | instid1(TRANS32_DEP_1)
	v_rcp_f64_e32 v[22:23], v[20:21]
	v_nop
	v_fma_f64 v[28:29], -v[20:21], v[22:23], 1.0
	s_delay_alu instid0(VALU_DEP_1) | instskip(NEXT) | instid1(VALU_DEP_1)
	v_fmac_f64_e32 v[22:23], v[22:23], v[28:29]
	v_fma_f64 v[28:29], -v[20:21], v[22:23], 1.0
	s_delay_alu instid0(VALU_DEP_1) | instskip(NEXT) | instid1(VALU_DEP_1)
	v_fmac_f64_e32 v[22:23], v[22:23], v[28:29]
	v_mul_f64_e32 v[28:29], v[30:31], v[22:23]
	s_delay_alu instid0(VALU_DEP_1) | instskip(NEXT) | instid1(VALU_DEP_1)
	v_fma_f64 v[20:21], -v[20:21], v[28:29], v[30:31]
	v_div_fmas_f64 v[20:21], v[20:21], v[22:23], v[28:29]
	s_delay_alu instid0(VALU_DEP_1) | instskip(NEXT) | instid1(VALU_DEP_1)
	v_div_fixup_f64 v[20:21], v[20:21], v[6:7], v[4:5]
	v_fmac_f64_e32 v[6:7], v[4:5], v[20:21]
	s_delay_alu instid0(VALU_DEP_1) | instskip(NEXT) | instid1(VALU_DEP_1)
	v_div_scale_f64 v[4:5], null, v[6:7], v[6:7], 1.0
	v_rcp_f64_e32 v[22:23], v[4:5]
	v_nop
	s_delay_alu instid0(TRANS32_DEP_1) | instskip(NEXT) | instid1(VALU_DEP_1)
	v_fma_f64 v[28:29], -v[4:5], v[22:23], 1.0
	v_fmac_f64_e32 v[22:23], v[22:23], v[28:29]
	s_delay_alu instid0(VALU_DEP_1) | instskip(NEXT) | instid1(VALU_DEP_1)
	v_fma_f64 v[28:29], -v[4:5], v[22:23], 1.0
	v_fmac_f64_e32 v[22:23], v[22:23], v[28:29]
	v_div_scale_f64 v[28:29], vcc_lo, 1.0, v[6:7], 1.0
	s_delay_alu instid0(VALU_DEP_1) | instskip(NEXT) | instid1(VALU_DEP_1)
	v_mul_f64_e32 v[30:31], v[28:29], v[22:23]
	v_fma_f64 v[4:5], -v[4:5], v[30:31], v[28:29]
	s_delay_alu instid0(VALU_DEP_1) | instskip(NEXT) | instid1(VALU_DEP_1)
	v_div_fmas_f64 v[4:5], v[4:5], v[22:23], v[30:31]
	v_div_fixup_f64 v[6:7], v[4:5], v[6:7], 1.0
	s_delay_alu instid0(VALU_DEP_1)
	v_mul_f64_e32 v[4:5], v[20:21], v[6:7]
	v_xor_b32_e32 v7, 0x80000000, v7
.LBB246_40:                             ;   in Loop: Header=BB246_6 Depth=1
	s_and_not1_saveexec_b32 s20, s20
	s_cbranch_execz .LBB246_2
; %bb.41:                               ;   in Loop: Header=BB246_6 Depth=1
	s_delay_alu instid0(VALU_DEP_1) | instskip(SKIP_1) | instid1(VALU_DEP_2)
	v_div_scale_f64 v[20:21], null, v[4:5], v[4:5], v[6:7]
	v_div_scale_f64 v[30:31], vcc_lo, v[6:7], v[4:5], v[6:7]
	v_rcp_f64_e32 v[22:23], v[20:21]
	v_nop
	s_delay_alu instid0(TRANS32_DEP_1) | instskip(NEXT) | instid1(VALU_DEP_1)
	v_fma_f64 v[28:29], -v[20:21], v[22:23], 1.0
	v_fmac_f64_e32 v[22:23], v[22:23], v[28:29]
	s_delay_alu instid0(VALU_DEP_1) | instskip(NEXT) | instid1(VALU_DEP_1)
	v_fma_f64 v[28:29], -v[20:21], v[22:23], 1.0
	v_fmac_f64_e32 v[22:23], v[22:23], v[28:29]
	s_delay_alu instid0(VALU_DEP_1) | instskip(NEXT) | instid1(VALU_DEP_1)
	v_mul_f64_e32 v[28:29], v[30:31], v[22:23]
	v_fma_f64 v[20:21], -v[20:21], v[28:29], v[30:31]
	s_delay_alu instid0(VALU_DEP_1) | instskip(NEXT) | instid1(VALU_DEP_1)
	v_div_fmas_f64 v[20:21], v[20:21], v[22:23], v[28:29]
	v_div_fixup_f64 v[20:21], v[20:21], v[4:5], v[6:7]
	s_delay_alu instid0(VALU_DEP_1) | instskip(NEXT) | instid1(VALU_DEP_1)
	v_fmac_f64_e32 v[4:5], v[6:7], v[20:21]
	v_div_scale_f64 v[6:7], null, v[4:5], v[4:5], 1.0
	s_delay_alu instid0(VALU_DEP_1) | instskip(SKIP_1) | instid1(TRANS32_DEP_1)
	v_rcp_f64_e32 v[22:23], v[6:7]
	v_nop
	v_fma_f64 v[28:29], -v[6:7], v[22:23], 1.0
	s_delay_alu instid0(VALU_DEP_1) | instskip(NEXT) | instid1(VALU_DEP_1)
	v_fmac_f64_e32 v[22:23], v[22:23], v[28:29]
	v_fma_f64 v[28:29], -v[6:7], v[22:23], 1.0
	s_delay_alu instid0(VALU_DEP_1) | instskip(SKIP_1) | instid1(VALU_DEP_1)
	v_fmac_f64_e32 v[22:23], v[22:23], v[28:29]
	v_div_scale_f64 v[28:29], vcc_lo, 1.0, v[4:5], 1.0
	v_mul_f64_e32 v[30:31], v[28:29], v[22:23]
	s_delay_alu instid0(VALU_DEP_1) | instskip(NEXT) | instid1(VALU_DEP_1)
	v_fma_f64 v[6:7], -v[6:7], v[30:31], v[28:29]
	v_div_fmas_f64 v[6:7], v[6:7], v[22:23], v[30:31]
	s_delay_alu instid0(VALU_DEP_1) | instskip(NEXT) | instid1(VALU_DEP_1)
	v_div_fixup_f64 v[4:5], v[6:7], v[4:5], 1.0
	v_mul_f64_e64 v[6:7], v[20:21], -v[4:5]
	s_branch .LBB246_2
.LBB246_42:
	s_endpgm
	.section	.rodata,"a",@progbits
	.p2align	6, 0x0
	.amdhsa_kernel _ZL40rocblas_trsm_block_backward_substitutionI19rocblas_complex_numIdES1_PKS1_PS1_Lb0ELb1ELb0EEv18rocblas_operation_llT0_T1_lllT2_lllib
		.amdhsa_group_segment_fixed_size 0
		.amdhsa_private_segment_fixed_size 0
		.amdhsa_kernarg_size 368
		.amdhsa_user_sgpr_count 2
		.amdhsa_user_sgpr_dispatch_ptr 0
		.amdhsa_user_sgpr_queue_ptr 0
		.amdhsa_user_sgpr_kernarg_segment_ptr 1
		.amdhsa_user_sgpr_dispatch_id 0
		.amdhsa_user_sgpr_kernarg_preload_length 0
		.amdhsa_user_sgpr_kernarg_preload_offset 0
		.amdhsa_user_sgpr_private_segment_size 0
		.amdhsa_wavefront_size32 1
		.amdhsa_uses_dynamic_stack 0
		.amdhsa_enable_private_segment 0
		.amdhsa_system_sgpr_workgroup_id_x 1
		.amdhsa_system_sgpr_workgroup_id_y 1
		.amdhsa_system_sgpr_workgroup_id_z 1
		.amdhsa_system_sgpr_workgroup_info 0
		.amdhsa_system_vgpr_workitem_id 1
		.amdhsa_next_free_vgpr 36
		.amdhsa_next_free_sgpr 50
		.amdhsa_named_barrier_count 0
		.amdhsa_reserve_vcc 1
		.amdhsa_float_round_mode_32 0
		.amdhsa_float_round_mode_16_64 0
		.amdhsa_float_denorm_mode_32 3
		.amdhsa_float_denorm_mode_16_64 3
		.amdhsa_fp16_overflow 0
		.amdhsa_memory_ordered 1
		.amdhsa_forward_progress 1
		.amdhsa_inst_pref_size 22
		.amdhsa_round_robin_scheduling 0
		.amdhsa_exception_fp_ieee_invalid_op 0
		.amdhsa_exception_fp_denorm_src 0
		.amdhsa_exception_fp_ieee_div_zero 0
		.amdhsa_exception_fp_ieee_overflow 0
		.amdhsa_exception_fp_ieee_underflow 0
		.amdhsa_exception_fp_ieee_inexact 0
		.amdhsa_exception_int_div_zero 0
	.end_amdhsa_kernel
	.section	.text._ZL40rocblas_trsm_block_backward_substitutionI19rocblas_complex_numIdES1_PKS1_PS1_Lb0ELb1ELb0EEv18rocblas_operation_llT0_T1_lllT2_lllib,"axG",@progbits,_ZL40rocblas_trsm_block_backward_substitutionI19rocblas_complex_numIdES1_PKS1_PS1_Lb0ELb1ELb0EEv18rocblas_operation_llT0_T1_lllT2_lllib,comdat
.Lfunc_end246:
	.size	_ZL40rocblas_trsm_block_backward_substitutionI19rocblas_complex_numIdES1_PKS1_PS1_Lb0ELb1ELb0EEv18rocblas_operation_llT0_T1_lllT2_lllib, .Lfunc_end246-_ZL40rocblas_trsm_block_backward_substitutionI19rocblas_complex_numIdES1_PKS1_PS1_Lb0ELb1ELb0EEv18rocblas_operation_llT0_T1_lllT2_lllib
                                        ; -- End function
	.set _ZL40rocblas_trsm_block_backward_substitutionI19rocblas_complex_numIdES1_PKS1_PS1_Lb0ELb1ELb0EEv18rocblas_operation_llT0_T1_lllT2_lllib.num_vgpr, 36
	.set _ZL40rocblas_trsm_block_backward_substitutionI19rocblas_complex_numIdES1_PKS1_PS1_Lb0ELb1ELb0EEv18rocblas_operation_llT0_T1_lllT2_lllib.num_agpr, 0
	.set _ZL40rocblas_trsm_block_backward_substitutionI19rocblas_complex_numIdES1_PKS1_PS1_Lb0ELb1ELb0EEv18rocblas_operation_llT0_T1_lllT2_lllib.numbered_sgpr, 50
	.set _ZL40rocblas_trsm_block_backward_substitutionI19rocblas_complex_numIdES1_PKS1_PS1_Lb0ELb1ELb0EEv18rocblas_operation_llT0_T1_lllT2_lllib.num_named_barrier, 0
	.set _ZL40rocblas_trsm_block_backward_substitutionI19rocblas_complex_numIdES1_PKS1_PS1_Lb0ELb1ELb0EEv18rocblas_operation_llT0_T1_lllT2_lllib.private_seg_size, 0
	.set _ZL40rocblas_trsm_block_backward_substitutionI19rocblas_complex_numIdES1_PKS1_PS1_Lb0ELb1ELb0EEv18rocblas_operation_llT0_T1_lllT2_lllib.uses_vcc, 1
	.set _ZL40rocblas_trsm_block_backward_substitutionI19rocblas_complex_numIdES1_PKS1_PS1_Lb0ELb1ELb0EEv18rocblas_operation_llT0_T1_lllT2_lllib.uses_flat_scratch, 0
	.set _ZL40rocblas_trsm_block_backward_substitutionI19rocblas_complex_numIdES1_PKS1_PS1_Lb0ELb1ELb0EEv18rocblas_operation_llT0_T1_lllT2_lllib.has_dyn_sized_stack, 0
	.set _ZL40rocblas_trsm_block_backward_substitutionI19rocblas_complex_numIdES1_PKS1_PS1_Lb0ELb1ELb0EEv18rocblas_operation_llT0_T1_lllT2_lllib.has_recursion, 0
	.set _ZL40rocblas_trsm_block_backward_substitutionI19rocblas_complex_numIdES1_PKS1_PS1_Lb0ELb1ELb0EEv18rocblas_operation_llT0_T1_lllT2_lllib.has_indirect_call, 0
	.section	.AMDGPU.csdata,"",@progbits
; Kernel info:
; codeLenInByte = 2720
; TotalNumSgprs: 52
; NumVgprs: 36
; ScratchSize: 0
; MemoryBound: 1
; FloatMode: 240
; IeeeMode: 1
; LDSByteSize: 0 bytes/workgroup (compile time only)
; SGPRBlocks: 0
; VGPRBlocks: 2
; NumSGPRsForWavesPerEU: 52
; NumVGPRsForWavesPerEU: 36
; NamedBarCnt: 0
; Occupancy: 16
; WaveLimiterHint : 0
; COMPUTE_PGM_RSRC2:SCRATCH_EN: 0
; COMPUTE_PGM_RSRC2:USER_SGPR: 2
; COMPUTE_PGM_RSRC2:TRAP_HANDLER: 0
; COMPUTE_PGM_RSRC2:TGID_X_EN: 1
; COMPUTE_PGM_RSRC2:TGID_Y_EN: 1
; COMPUTE_PGM_RSRC2:TGID_Z_EN: 1
; COMPUTE_PGM_RSRC2:TIDIG_COMP_CNT: 1
	.section	.text._ZL39rocblas_trsm_block_forward_substitutionI19rocblas_complex_numIdES1_PKS1_PS1_Lb0ELb1ELb1EEv18rocblas_operation_llT0_T1_lllT2_lllib,"axG",@progbits,_ZL39rocblas_trsm_block_forward_substitutionI19rocblas_complex_numIdES1_PKS1_PS1_Lb0ELb1ELb1EEv18rocblas_operation_llT0_T1_lllT2_lllib,comdat
	.globl	_ZL39rocblas_trsm_block_forward_substitutionI19rocblas_complex_numIdES1_PKS1_PS1_Lb0ELb1ELb1EEv18rocblas_operation_llT0_T1_lllT2_lllib ; -- Begin function _ZL39rocblas_trsm_block_forward_substitutionI19rocblas_complex_numIdES1_PKS1_PS1_Lb0ELb1ELb1EEv18rocblas_operation_llT0_T1_lllT2_lllib
	.p2align	8
	.type	_ZL39rocblas_trsm_block_forward_substitutionI19rocblas_complex_numIdES1_PKS1_PS1_Lb0ELb1ELb1EEv18rocblas_operation_llT0_T1_lllT2_lllib,@function
_ZL39rocblas_trsm_block_forward_substitutionI19rocblas_complex_numIdES1_PKS1_PS1_Lb0ELb1ELb1EEv18rocblas_operation_llT0_T1_lllT2_lllib: ; @_ZL39rocblas_trsm_block_forward_substitutionI19rocblas_complex_numIdES1_PKS1_PS1_Lb0ELb1ELb1EEv18rocblas_operation_llT0_T1_lllT2_lllib
; %bb.0:
	s_load_b64 s[2:3], s[0:1], 0x68
	s_bfe_u32 s4, ttmp6, 0x40014
	s_lshr_b32 s5, ttmp7, 16
	s_add_co_i32 s4, s4, 1
	s_bfe_u32 s6, ttmp6, 0x40008
	s_mul_i32 s4, s5, s4
	s_getreg_b32 s33, hwreg(HW_REG_IB_STS2, 6, 4)
	s_add_co_i32 s6, s6, s4
	s_cmp_eq_u32 s33, 0
	s_mov_b32 s29, 0
	s_cselect_b32 s28, s5, s6
	s_wait_kmcnt 0x0
	s_cmp_ge_u32 s28, s2
	s_cbranch_scc1 .LBB247_19
; %bb.1:
	s_clause 0x1
	s_load_b256 s[20:27], s[0:1], 0x48
	s_load_b32 s34, s[0:1], 0x0
	v_and_b32_e32 v6, 0x3ff, v0
	v_mov_b32_e32 v5, 0
	s_load_b512 s[4:19], s[0:1], 0x8
	s_mov_b64 s[30:31], src_shared_base
	s_load_u16 s30, s[0:1], 0x7e
	s_delay_alu instid0(VALU_DEP_1) | instskip(SKIP_4) | instid1(VALU_DEP_1)
	v_dual_mov_b32 v7, v5 :: v_dual_lshlrev_b32 v10, 4, v6
	v_mov_b32_e32 v9, v5
	s_bitcmp1_b32 s3, 0
	v_bfe_u32 v16, v0, 10, 10
	s_cselect_b32 s3, -1, 0
	v_lshl_add_u32 v17, v16, 4, 0
	s_wait_kmcnt 0x0
	v_mul_u64_e32 v[2:3], s[24:25], v[6:7]
	s_cmp_eq_u32 s34, 0x71
	s_add_nc_u64 s[24:25], s[0:1], 0x70
	s_cselect_b32 s0, -1, 0
	s_bfe_u32 s1, ttmp6, 0x40010
	s_and_b32 s34, ttmp7, 0xffff
	s_add_co_i32 s1, s1, 1
	s_bfe_u32 s35, ttmp6, 0x40004
	s_mul_i32 s1, s34, s1
	s_lshl_b64 s[14:15], s[14:15], 4
	s_lshl_b64 s[22:23], s[22:23], 4
	s_add_co_i32 s35, s35, s1
	s_cmp_eq_u32 s33, 0
	s_add_nc_u64 s[20:21], s[20:21], s[22:23]
	s_cselect_b32 s1, s34, s35
	s_lshl_b32 s22, s30, 4
	v_mad_u32 v4, s1, s30, v16
	v_cmp_gt_i64_e64 s1, s[4:5], v[6:7]
	v_cmp_gt_i64_e64 s33, s[4:5], 0
	;; [unrolled: 1-line block ×3, first 2 shown]
	s_add_nc_u64 s[12:13], s[12:13], s[14:15]
	s_add_nc_u64 s[14:15], s[4:5], -1
	v_cmp_gt_i64_e32 vcc_lo, s[6:7], v[4:5]
	s_add_co_i32 s6, s22, 0
	s_delay_alu instid0(SALU_CYCLE_1) | instskip(SKIP_3) | instid1(VALU_DEP_1)
	v_dual_add_nc_u32 v18, s6, v10 :: v_dual_bitop2_b32 v8, 8, v10 bitop3:0x54
	s_mov_b32 s7, s31
	v_lshl_add_u64 v[0:1], v[2:3], 4, s[20:21]
	s_and_b32 s31, vcc_lo, s1
	v_lshl_add_u64 v[10:11], v[4:5], 4, v[0:1]
	v_lshlrev_b32_e32 v4, 4, v6
	s_branch .LBB247_4
.LBB247_2:                              ;   in Loop: Header=BB247_4 Depth=1
	global_store_b128 v[12:13], v[0:3], off
.LBB247_3:                              ;   in Loop: Header=BB247_4 Depth=1
	s_wait_xcnt 0x0
	s_or_b32 exec_lo, exec_lo, s35
	s_add_co_i32 s28, s28, 0x10000
	s_delay_alu instid0(SALU_CYCLE_1)
	s_cmp_lt_u32 s28, s2
	s_cbranch_scc0 .LBB247_19
.LBB247_4:                              ; =>This Loop Header: Depth=1
                                        ;     Child Loop BB247_9 Depth 2
                                        ;     Child Loop BB247_15 Depth 2
	s_mul_u64 s[20:21], s[18:19], s[28:29]
	s_and_not1_b32 vcc_lo, exec_lo, s3
	s_lshl_b64 s[20:21], s[20:21], 4
	s_delay_alu instid0(SALU_CYCLE_1)
	s_add_nc_u64 s[20:21], s[12:13], s[20:21]
	s_cbranch_vccz .LBB247_6
; %bb.5:                                ;   in Loop: Header=BB247_4 Depth=1
	s_and_saveexec_b32 s35, s31
	s_cbranch_execz .LBB247_3
	s_branch .LBB247_12
.LBB247_6:                              ;   in Loop: Header=BB247_4 Depth=1
	s_and_not1_b32 vcc_lo, exec_lo, s33
	s_cbranch_vccnz .LBB247_11
; %bb.7:                                ;   in Loop: Header=BB247_4 Depth=1
	v_add_nc_u64_e32 v[0:1], s[20:21], v[4:5]
	s_mov_b32 s20, 0
	s_branch .LBB247_9
.LBB247_8:                              ;   in Loop: Header=BB247_9 Depth=2
	s_wait_xcnt 0x0
	s_or_b32 exec_lo, exec_lo, s21
	s_add_co_i32 s20, s20, s30
	s_delay_alu instid0(SALU_CYCLE_1) | instskip(NEXT) | instid1(SALU_CYCLE_1)
	s_ashr_i32 s21, s20, 31
	v_cmp_le_i64_e64 s21, s[4:5], s[20:21]
	s_and_b32 vcc_lo, exec_lo, s21
	s_cbranch_vccnz .LBB247_11
.LBB247_9:                              ;   Parent Loop BB247_4 Depth=1
                                        ; =>  This Inner Loop Header: Depth=2
	v_add_nc_u32_e32 v2, s20, v16
	s_delay_alu instid0(VALU_DEP_1) | instskip(SKIP_1) | instid1(SALU_CYCLE_1)
	v_cmp_gt_i32_e32 vcc_lo, v6, v2
	s_and_b32 s22, s1, vcc_lo
	s_and_saveexec_b32 s21, s22
	s_cbranch_execz .LBB247_8
; %bb.10:                               ;   in Loop: Header=BB247_9 Depth=2
	v_ashrrev_i32_e32 v3, 31, v2
	s_load_b32 s22, s[24:25], 0xc
	s_delay_alu instid0(VALU_DEP_1) | instskip(SKIP_2) | instid1(SALU_CYCLE_1)
	v_mul_u64_e32 v[12:13], s[16:17], v[2:3]
	s_wait_kmcnt 0x0
	s_and_b32 s22, s22, 0xffff
	v_mul_lo_u32 v2, v2, s22
	s_delay_alu instid0(VALU_DEP_1) | instskip(NEXT) | instid1(VALU_DEP_3)
	v_lshl_add_u32 v2, v2, 4, v18
	v_lshl_add_u64 v[12:13], v[12:13], 4, v[0:1]
	global_load_b128 v[12:15], v[12:13], off
	s_wait_loadcnt 0x0
	ds_store_2addr_b64 v2, v[12:13], v[14:15] offset1:1
	s_branch .LBB247_8
.LBB247_11:                             ;   in Loop: Header=BB247_4 Depth=1
	s_load_b32 s16, s[24:25], 0xc
	s_mov_b32 s17, s29
	s_mov_b64 s[20:21], s[6:7]
	s_wait_kmcnt 0x0
	s_and_b32 s16, s16, 0xffff
	s_and_saveexec_b32 s35, s31
	s_cbranch_execz .LBB247_3
.LBB247_12:                             ;   in Loop: Header=BB247_4 Depth=1
	s_mul_u64 s[22:23], s[26:27], s[28:29]
	s_and_not1_b32 vcc_lo, exec_lo, s34
	v_lshl_add_u64 v[12:13], s[22:23], 4, v[10:11]
	global_load_b128 v[20:23], v[12:13], off
	s_wait_loadcnt 0x0
	v_mul_f64_e32 v[0:1], s[10:11], v[22:23]
	v_mul_f64_e32 v[2:3], s[8:9], v[22:23]
	s_delay_alu instid0(VALU_DEP_2) | instskip(NEXT) | instid1(VALU_DEP_2)
	v_fma_f64 v[0:1], s[8:9], v[20:21], -v[0:1]
	v_fmac_f64_e32 v[2:3], s[10:11], v[20:21]
	s_cbranch_vccnz .LBB247_2
; %bb.13:                               ;   in Loop: Header=BB247_4 Depth=1
	v_add_nc_u64_e32 v[14:15], s[20:21], v[8:9]
	s_lshl_b64 s[20:21], s[16:17], 4
	s_mov_b64 s[22:23], 0
	s_branch .LBB247_15
.LBB247_14:                             ;   in Loop: Header=BB247_15 Depth=2
	s_wait_xcnt 0x0
	s_or_b32 exec_lo, exec_lo, s36
	v_add_nc_u64_e32 v[14:15], s[20:21], v[14:15]
	s_add_nc_u64 s[22:23], s[22:23], 1
	s_delay_alu instid0(SALU_CYCLE_1)
	s_cmp_eq_u64 s[14:15], s[22:23]
	s_cbranch_scc1 .LBB247_2
.LBB247_15:                             ;   Parent Loop BB247_4 Depth=1
                                        ; =>  This Inner Loop Header: Depth=2
	s_mov_b32 s36, exec_lo
	s_wait_dscnt 0x0
	s_barrier_signal -1
	s_barrier_wait -1
	s_wait_xcnt 0x0
	v_cmpx_eq_u64_e64 s[22:23], v[6:7]
; %bb.16:                               ;   in Loop: Header=BB247_15 Depth=2
	ds_store_2addr_b64 v17, v[0:1], v[2:3] offset1:1
; %bb.17:                               ;   in Loop: Header=BB247_15 Depth=2
	s_or_b32 exec_lo, exec_lo, s36
	s_delay_alu instid0(SALU_CYCLE_1)
	s_mov_b32 s36, exec_lo
	s_wait_dscnt 0x0
	s_barrier_signal -1
	s_barrier_wait -1
	v_cmpx_lt_u64_e64 s[22:23], v[6:7]
	s_cbranch_execz .LBB247_14
; %bb.18:                               ;   in Loop: Header=BB247_15 Depth=2
	flat_load_b128 v[20:23], v[14:15] offset:-8
	ds_load_2addr_b64 v[24:27], v17 offset1:1
	s_wait_loadcnt_dscnt 0x1
	v_xor_b32_e32 v19, 0x80000000, v23
	s_delay_alu instid0(VALU_DEP_1) | instskip(SKIP_1) | instid1(VALU_DEP_1)
	v_cndmask_b32_e64 v23, v23, v19, s0
	s_wait_dscnt 0x0
	v_mul_f64_e32 v[28:29], v[22:23], v[26:27]
	v_mul_f64_e32 v[26:27], v[20:21], v[26:27]
	s_delay_alu instid0(VALU_DEP_2) | instskip(NEXT) | instid1(VALU_DEP_2)
	v_fma_f64 v[20:21], v[20:21], v[24:25], -v[28:29]
	v_fmac_f64_e32 v[26:27], v[22:23], v[24:25]
	s_delay_alu instid0(VALU_DEP_2) | instskip(NEXT) | instid1(VALU_DEP_2)
	v_add_f64_e64 v[0:1], v[0:1], -v[20:21]
	v_add_f64_e64 v[2:3], v[2:3], -v[26:27]
	s_branch .LBB247_14
.LBB247_19:
	s_endpgm
	.section	.rodata,"a",@progbits
	.p2align	6, 0x0
	.amdhsa_kernel _ZL39rocblas_trsm_block_forward_substitutionI19rocblas_complex_numIdES1_PKS1_PS1_Lb0ELb1ELb1EEv18rocblas_operation_llT0_T1_lllT2_lllib
		.amdhsa_group_segment_fixed_size 0
		.amdhsa_private_segment_fixed_size 0
		.amdhsa_kernarg_size 368
		.amdhsa_user_sgpr_count 2
		.amdhsa_user_sgpr_dispatch_ptr 0
		.amdhsa_user_sgpr_queue_ptr 0
		.amdhsa_user_sgpr_kernarg_segment_ptr 1
		.amdhsa_user_sgpr_dispatch_id 0
		.amdhsa_user_sgpr_kernarg_preload_length 0
		.amdhsa_user_sgpr_kernarg_preload_offset 0
		.amdhsa_user_sgpr_private_segment_size 0
		.amdhsa_wavefront_size32 1
		.amdhsa_uses_dynamic_stack 0
		.amdhsa_enable_private_segment 0
		.amdhsa_system_sgpr_workgroup_id_x 1
		.amdhsa_system_sgpr_workgroup_id_y 1
		.amdhsa_system_sgpr_workgroup_id_z 1
		.amdhsa_system_sgpr_workgroup_info 0
		.amdhsa_system_vgpr_workitem_id 1
		.amdhsa_next_free_vgpr 30
		.amdhsa_next_free_sgpr 37
		.amdhsa_named_barrier_count 0
		.amdhsa_reserve_vcc 1
		.amdhsa_float_round_mode_32 0
		.amdhsa_float_round_mode_16_64 0
		.amdhsa_float_denorm_mode_32 3
		.amdhsa_float_denorm_mode_16_64 3
		.amdhsa_fp16_overflow 0
		.amdhsa_memory_ordered 1
		.amdhsa_forward_progress 1
		.amdhsa_inst_pref_size 8
		.amdhsa_round_robin_scheduling 0
		.amdhsa_exception_fp_ieee_invalid_op 0
		.amdhsa_exception_fp_denorm_src 0
		.amdhsa_exception_fp_ieee_div_zero 0
		.amdhsa_exception_fp_ieee_overflow 0
		.amdhsa_exception_fp_ieee_underflow 0
		.amdhsa_exception_fp_ieee_inexact 0
		.amdhsa_exception_int_div_zero 0
	.end_amdhsa_kernel
	.section	.text._ZL39rocblas_trsm_block_forward_substitutionI19rocblas_complex_numIdES1_PKS1_PS1_Lb0ELb1ELb1EEv18rocblas_operation_llT0_T1_lllT2_lllib,"axG",@progbits,_ZL39rocblas_trsm_block_forward_substitutionI19rocblas_complex_numIdES1_PKS1_PS1_Lb0ELb1ELb1EEv18rocblas_operation_llT0_T1_lllT2_lllib,comdat
.Lfunc_end247:
	.size	_ZL39rocblas_trsm_block_forward_substitutionI19rocblas_complex_numIdES1_PKS1_PS1_Lb0ELb1ELb1EEv18rocblas_operation_llT0_T1_lllT2_lllib, .Lfunc_end247-_ZL39rocblas_trsm_block_forward_substitutionI19rocblas_complex_numIdES1_PKS1_PS1_Lb0ELb1ELb1EEv18rocblas_operation_llT0_T1_lllT2_lllib
                                        ; -- End function
	.set _ZL39rocblas_trsm_block_forward_substitutionI19rocblas_complex_numIdES1_PKS1_PS1_Lb0ELb1ELb1EEv18rocblas_operation_llT0_T1_lllT2_lllib.num_vgpr, 30
	.set _ZL39rocblas_trsm_block_forward_substitutionI19rocblas_complex_numIdES1_PKS1_PS1_Lb0ELb1ELb1EEv18rocblas_operation_llT0_T1_lllT2_lllib.num_agpr, 0
	.set _ZL39rocblas_trsm_block_forward_substitutionI19rocblas_complex_numIdES1_PKS1_PS1_Lb0ELb1ELb1EEv18rocblas_operation_llT0_T1_lllT2_lllib.numbered_sgpr, 37
	.set _ZL39rocblas_trsm_block_forward_substitutionI19rocblas_complex_numIdES1_PKS1_PS1_Lb0ELb1ELb1EEv18rocblas_operation_llT0_T1_lllT2_lllib.num_named_barrier, 0
	.set _ZL39rocblas_trsm_block_forward_substitutionI19rocblas_complex_numIdES1_PKS1_PS1_Lb0ELb1ELb1EEv18rocblas_operation_llT0_T1_lllT2_lllib.private_seg_size, 0
	.set _ZL39rocblas_trsm_block_forward_substitutionI19rocblas_complex_numIdES1_PKS1_PS1_Lb0ELb1ELb1EEv18rocblas_operation_llT0_T1_lllT2_lllib.uses_vcc, 1
	.set _ZL39rocblas_trsm_block_forward_substitutionI19rocblas_complex_numIdES1_PKS1_PS1_Lb0ELb1ELb1EEv18rocblas_operation_llT0_T1_lllT2_lllib.uses_flat_scratch, 0
	.set _ZL39rocblas_trsm_block_forward_substitutionI19rocblas_complex_numIdES1_PKS1_PS1_Lb0ELb1ELb1EEv18rocblas_operation_llT0_T1_lllT2_lllib.has_dyn_sized_stack, 0
	.set _ZL39rocblas_trsm_block_forward_substitutionI19rocblas_complex_numIdES1_PKS1_PS1_Lb0ELb1ELb1EEv18rocblas_operation_llT0_T1_lllT2_lllib.has_recursion, 0
	.set _ZL39rocblas_trsm_block_forward_substitutionI19rocblas_complex_numIdES1_PKS1_PS1_Lb0ELb1ELb1EEv18rocblas_operation_llT0_T1_lllT2_lllib.has_indirect_call, 0
	.section	.AMDGPU.csdata,"",@progbits
; Kernel info:
; codeLenInByte = 900
; TotalNumSgprs: 39
; NumVgprs: 30
; ScratchSize: 0
; MemoryBound: 0
; FloatMode: 240
; IeeeMode: 1
; LDSByteSize: 0 bytes/workgroup (compile time only)
; SGPRBlocks: 0
; VGPRBlocks: 1
; NumSGPRsForWavesPerEU: 39
; NumVGPRsForWavesPerEU: 30
; NamedBarCnt: 0
; Occupancy: 16
; WaveLimiterHint : 0
; COMPUTE_PGM_RSRC2:SCRATCH_EN: 0
; COMPUTE_PGM_RSRC2:USER_SGPR: 2
; COMPUTE_PGM_RSRC2:TRAP_HANDLER: 0
; COMPUTE_PGM_RSRC2:TGID_X_EN: 1
; COMPUTE_PGM_RSRC2:TGID_Y_EN: 1
; COMPUTE_PGM_RSRC2:TGID_Z_EN: 1
; COMPUTE_PGM_RSRC2:TIDIG_COMP_CNT: 1
	.section	.text._ZL40rocblas_trsm_block_backward_substitutionI19rocblas_complex_numIdES1_PKS1_PS1_Lb0ELb1ELb1EEv18rocblas_operation_llT0_T1_lllT2_lllib,"axG",@progbits,_ZL40rocblas_trsm_block_backward_substitutionI19rocblas_complex_numIdES1_PKS1_PS1_Lb0ELb1ELb1EEv18rocblas_operation_llT0_T1_lllT2_lllib,comdat
	.globl	_ZL40rocblas_trsm_block_backward_substitutionI19rocblas_complex_numIdES1_PKS1_PS1_Lb0ELb1ELb1EEv18rocblas_operation_llT0_T1_lllT2_lllib ; -- Begin function _ZL40rocblas_trsm_block_backward_substitutionI19rocblas_complex_numIdES1_PKS1_PS1_Lb0ELb1ELb1EEv18rocblas_operation_llT0_T1_lllT2_lllib
	.p2align	8
	.type	_ZL40rocblas_trsm_block_backward_substitutionI19rocblas_complex_numIdES1_PKS1_PS1_Lb0ELb1ELb1EEv18rocblas_operation_llT0_T1_lllT2_lllib,@function
_ZL40rocblas_trsm_block_backward_substitutionI19rocblas_complex_numIdES1_PKS1_PS1_Lb0ELb1ELb1EEv18rocblas_operation_llT0_T1_lllT2_lllib: ; @_ZL40rocblas_trsm_block_backward_substitutionI19rocblas_complex_numIdES1_PKS1_PS1_Lb0ELb1ELb1EEv18rocblas_operation_llT0_T1_lllT2_lllib
; %bb.0:
	s_load_b64 s[28:29], s[0:1], 0x68
	s_bfe_u32 s2, ttmp6, 0x40014
	s_lshr_b32 s3, ttmp7, 16
	s_add_co_i32 s2, s2, 1
	s_bfe_u32 s4, ttmp6, 0x40008
	s_mul_i32 s2, s3, s2
	s_getreg_b32 s33, hwreg(HW_REG_IB_STS2, 6, 4)
	s_add_co_i32 s4, s4, s2
	s_cmp_eq_u32 s33, 0
	s_mov_b32 s31, 0
	s_cselect_b32 s30, s3, s4
	s_wait_kmcnt 0x0
	s_cmp_ge_u32 s30, s28
	s_cbranch_scc1 .LBB248_19
; %bb.1:
	s_clause 0x3
	s_load_b32 s2, s[0:1], 0x0
	s_load_b512 s[4:19], s[0:1], 0x8
	s_load_b256 s[20:27], s[0:1], 0x48
	s_load_u16 s3, s[0:1], 0x7e
	s_bitcmp1_b32 s29, 0
	s_mov_b64 s[34:35], src_shared_base
	s_cselect_b32 s29, -1, 0
	v_bfe_u32 v16, v0, 10, 10
	v_mov_b32_e32 v3, 0
	v_and_b32_e32 v4, 0x3ff, v0
	s_delay_alu instid0(VALU_DEP_3) | instskip(NEXT) | instid1(VALU_DEP_3)
	v_lshl_add_u32 v17, v16, 4, 0
	v_mov_b32_e32 v5, v3
	s_delay_alu instid0(VALU_DEP_1)
	v_lshlrev_b64_e32 v[8:9], 4, v[4:5]
	s_wait_kmcnt 0x0
	s_cmp_eq_u32 s2, 0x71
	v_mul_u64_e32 v[6:7], s[16:17], v[4:5]
	s_cselect_b32 s2, -1, 0
	s_lshl_b64 s[36:37], s[14:15], 4
	s_bfe_u32 s14, ttmp6, 0x40010
	s_and_b32 s15, ttmp7, 0xffff
	s_add_co_i32 s14, s14, 1
	s_bfe_u32 s34, ttmp6, 0x40004
	s_mul_i32 s14, s15, s14
	s_lshl_b64 s[38:39], s[22:23], 4
	s_add_co_i32 s34, s34, s14
	s_cmp_eq_u32 s33, 0
	s_add_nc_u64 s[20:21], s[20:21], s[38:39]
	s_cselect_b32 s14, s15, s34
	v_cmp_gt_i64_e64 s33, s[4:5], 0
	v_mad_u32 v2, s14, s3, v16
	s_add_nc_u64 s[14:15], s[0:1], 0x70
	v_cmp_gt_i64_e64 s0, s[4:5], v[4:5]
	s_lshl_b32 s1, s3, 4
	v_cmp_gt_i64_e64 s38, s[4:5], 1
	s_add_co_i32 s22, s1, 0
	s_mov_b32 s23, s35
	v_lshl_add_u32 v18, v4, 4, s22
	s_add_nc_u64 s[12:13], s[12:13], s[36:37]
	v_mul_u64_e32 v[10:11], s[24:25], v[2:3]
	v_cmp_gt_i64_e32 vcc_lo, s[6:7], v[2:3]
	s_add_nc_u64 s[6:7], s[4:5], -1
	s_and_b32 s39, vcc_lo, s0
	s_delay_alu instid0(VALU_DEP_2) | instskip(SKIP_1) | instid1(VALU_DEP_1)
	v_lshl_add_u64 v[0:1], v[10:11], 4, s[20:21]
	s_lshl_b64 s[20:21], s[6:7], 4
	v_add_nc_u64_e32 v[10:11], v[0:1], v[8:9]
	s_branch .LBB248_4
.LBB248_2:                              ;   in Loop: Header=BB248_4 Depth=1
	global_store_b128 v[12:13], v[0:3], off
.LBB248_3:                              ;   in Loop: Header=BB248_4 Depth=1
	s_wait_xcnt 0x0
	s_or_b32 exec_lo, exec_lo, s1
	s_add_co_i32 s30, s30, 0x10000
	s_delay_alu instid0(SALU_CYCLE_1)
	s_cmp_lt_u32 s30, s28
	s_cbranch_scc0 .LBB248_19
.LBB248_4:                              ; =>This Loop Header: Depth=1
                                        ;     Child Loop BB248_8 Depth 2
                                        ;     Child Loop BB248_15 Depth 2
	s_mul_u64 s[24:25], s[18:19], s[30:31]
	s_and_not1_b32 vcc_lo, exec_lo, s29
	s_lshl_b64 s[24:25], s[24:25], 4
	s_delay_alu instid0(SALU_CYCLE_1)
	s_add_nc_u64 s[34:35], s[12:13], s[24:25]
	s_cbranch_vccnz .LBB248_10
; %bb.5:                                ;   in Loop: Header=BB248_4 Depth=1
	s_and_not1_b32 vcc_lo, exec_lo, s33
	s_cbranch_vccnz .LBB248_11
; %bb.6:                                ;   in Loop: Header=BB248_4 Depth=1
	v_lshl_add_u64 v[0:1], v[6:7], 4, s[34:35]
	s_mov_b32 s24, 0
	s_branch .LBB248_8
.LBB248_7:                              ;   in Loop: Header=BB248_8 Depth=2
	s_wait_xcnt 0x0
	s_or_b32 exec_lo, exec_lo, s1
	s_add_co_i32 s24, s24, s3
	s_delay_alu instid0(SALU_CYCLE_1) | instskip(NEXT) | instid1(SALU_CYCLE_1)
	s_ashr_i32 s25, s24, 31
	v_cmp_le_i64_e64 s1, s[4:5], s[24:25]
	s_and_b32 vcc_lo, exec_lo, s1
	s_cbranch_vccnz .LBB248_11
.LBB248_8:                              ;   Parent Loop BB248_4 Depth=1
                                        ; =>  This Inner Loop Header: Depth=2
	v_add_nc_u32_e32 v2, s24, v16
	s_delay_alu instid0(VALU_DEP_1) | instskip(SKIP_1) | instid1(VALU_DEP_2)
	v_ashrrev_i32_e32 v3, 31, v2
	v_cmp_lt_i32_e64 s1, v4, v2
	v_cmp_gt_i64_e32 vcc_lo, s[4:5], v[2:3]
	s_and_b32 s1, s1, vcc_lo
	s_delay_alu instid0(SALU_CYCLE_1) | instskip(NEXT) | instid1(SALU_CYCLE_1)
	s_and_b32 s25, s0, s1
	s_and_saveexec_b32 s1, s25
	s_cbranch_execz .LBB248_7
; %bb.9:                                ;   in Loop: Header=BB248_8 Depth=2
	v_lshl_add_u64 v[12:13], v[2:3], 4, v[0:1]
	s_load_b32 s25, s[14:15], 0xc
	global_load_b128 v[12:15], v[12:13], off
	s_wait_kmcnt 0x0
	s_and_b32 s25, s25, 0xffff
	s_delay_alu instid0(SALU_CYCLE_1) | instskip(NEXT) | instid1(VALU_DEP_1)
	v_mul_lo_u32 v2, v2, s25
	v_lshl_add_u32 v2, v2, 4, v18
	s_wait_loadcnt 0x0
	ds_store_2addr_b64 v2, v[12:13], v[14:15] offset1:1
	s_branch .LBB248_7
.LBB248_10:                             ;   in Loop: Header=BB248_4 Depth=1
	s_mov_b64 s[24:25], 1
	s_mov_b64 s[36:37], s[16:17]
	s_and_saveexec_b32 s1, s39
	s_cbranch_execz .LBB248_3
	s_branch .LBB248_12
.LBB248_11:                             ;   in Loop: Header=BB248_4 Depth=1
	s_load_b32 s1, s[14:15], 0xc
	s_mov_b32 s25, s31
	s_mov_b64 s[36:37], 1
	s_mov_b64 s[34:35], s[22:23]
	s_wait_kmcnt 0x0
	s_and_b32 s24, s1, 0xffff
	s_and_saveexec_b32 s1, s39
	s_cbranch_execz .LBB248_3
.LBB248_12:                             ;   in Loop: Header=BB248_4 Depth=1
	s_mul_u64 s[40:41], s[26:27], s[30:31]
	s_and_not1_b32 vcc_lo, exec_lo, s38
	v_lshl_add_u64 v[12:13], s[40:41], 4, v[10:11]
	global_load_b128 v[20:23], v[12:13], off
	s_wait_loadcnt 0x0
	v_mul_f64_e32 v[0:1], s[10:11], v[22:23]
	v_mul_f64_e32 v[2:3], s[8:9], v[22:23]
	s_delay_alu instid0(VALU_DEP_2) | instskip(NEXT) | instid1(VALU_DEP_2)
	v_fma_f64 v[0:1], s[8:9], v[20:21], -v[0:1]
	v_fmac_f64_e32 v[2:3], s[10:11], v[20:21]
	s_cbranch_vccnz .LBB248_2
; %bb.13:                               ;   in Loop: Header=BB248_4 Depth=1
	s_mul_u64 s[40:41], s[20:21], s[24:25]
	s_lshl_b32 s24, s24, 4
	s_add_nc_u64 s[34:35], s[34:35], s[40:41]
	s_mov_b32 s25, s31
	v_mad_nc_u64_u32 v[14:15], v8, s36, s[34:35]
	s_sub_nc_u64 s[24:25], 0, s[24:25]
	s_mov_b64 s[34:35], s[6:7]
	s_delay_alu instid0(VALU_DEP_1) | instskip(NEXT) | instid1(VALU_DEP_1)
	v_mad_u32 v15, v8, s37, v15
	v_add_nc_u64_e32 v[14:15], 8, v[14:15]
	s_branch .LBB248_15
.LBB248_14:                             ;   in Loop: Header=BB248_15 Depth=2
	s_wait_xcnt 0x0
	s_or_b32 exec_lo, exec_lo, s36
	s_add_nc_u64 s[36:37], s[34:35], 1
	v_add_nc_u64_e32 v[14:15], s[24:25], v[14:15]
	v_cmp_lt_u64_e64 s36, s[36:37], 3
	s_add_nc_u64 s[34:35], s[34:35], -1
	s_and_b32 vcc_lo, exec_lo, s36
	s_cbranch_vccnz .LBB248_2
.LBB248_15:                             ;   Parent Loop BB248_4 Depth=1
                                        ; =>  This Inner Loop Header: Depth=2
	s_mov_b32 s36, exec_lo
	s_wait_dscnt 0x0
	s_barrier_signal -1
	s_barrier_wait -1
	s_wait_xcnt 0x0
	v_cmpx_eq_u64_e64 s[34:35], v[4:5]
; %bb.16:                               ;   in Loop: Header=BB248_15 Depth=2
	ds_store_2addr_b64 v17, v[0:1], v[2:3] offset1:1
; %bb.17:                               ;   in Loop: Header=BB248_15 Depth=2
	s_or_b32 exec_lo, exec_lo, s36
	s_delay_alu instid0(SALU_CYCLE_1)
	s_mov_b32 s36, exec_lo
	s_wait_dscnt 0x0
	s_barrier_signal -1
	s_barrier_wait -1
	v_cmpx_gt_i64_e64 s[34:35], v[4:5]
	s_cbranch_execz .LBB248_14
; %bb.18:                               ;   in Loop: Header=BB248_15 Depth=2
	flat_load_b128 v[20:23], v[14:15] offset:-8
	ds_load_2addr_b64 v[24:27], v17 offset1:1
	s_wait_loadcnt_dscnt 0x1
	v_xor_b32_e32 v9, 0x80000000, v23
	s_delay_alu instid0(VALU_DEP_1) | instskip(SKIP_1) | instid1(VALU_DEP_1)
	v_cndmask_b32_e64 v23, v23, v9, s2
	s_wait_dscnt 0x0
	v_mul_f64_e32 v[28:29], v[22:23], v[26:27]
	v_mul_f64_e32 v[26:27], v[20:21], v[26:27]
	s_delay_alu instid0(VALU_DEP_2) | instskip(NEXT) | instid1(VALU_DEP_2)
	v_fma_f64 v[20:21], v[20:21], v[24:25], -v[28:29]
	v_fmac_f64_e32 v[26:27], v[22:23], v[24:25]
	s_delay_alu instid0(VALU_DEP_2) | instskip(NEXT) | instid1(VALU_DEP_2)
	v_add_f64_e64 v[0:1], v[0:1], -v[20:21]
	v_add_f64_e64 v[2:3], v[2:3], -v[26:27]
	s_branch .LBB248_14
.LBB248_19:
	s_endpgm
	.section	.rodata,"a",@progbits
	.p2align	6, 0x0
	.amdhsa_kernel _ZL40rocblas_trsm_block_backward_substitutionI19rocblas_complex_numIdES1_PKS1_PS1_Lb0ELb1ELb1EEv18rocblas_operation_llT0_T1_lllT2_lllib
		.amdhsa_group_segment_fixed_size 0
		.amdhsa_private_segment_fixed_size 0
		.amdhsa_kernarg_size 368
		.amdhsa_user_sgpr_count 2
		.amdhsa_user_sgpr_dispatch_ptr 0
		.amdhsa_user_sgpr_queue_ptr 0
		.amdhsa_user_sgpr_kernarg_segment_ptr 1
		.amdhsa_user_sgpr_dispatch_id 0
		.amdhsa_user_sgpr_kernarg_preload_length 0
		.amdhsa_user_sgpr_kernarg_preload_offset 0
		.amdhsa_user_sgpr_private_segment_size 0
		.amdhsa_wavefront_size32 1
		.amdhsa_uses_dynamic_stack 0
		.amdhsa_enable_private_segment 0
		.amdhsa_system_sgpr_workgroup_id_x 1
		.amdhsa_system_sgpr_workgroup_id_y 1
		.amdhsa_system_sgpr_workgroup_id_z 1
		.amdhsa_system_sgpr_workgroup_info 0
		.amdhsa_system_vgpr_workitem_id 1
		.amdhsa_next_free_vgpr 30
		.amdhsa_next_free_sgpr 42
		.amdhsa_named_barrier_count 0
		.amdhsa_reserve_vcc 1
		.amdhsa_float_round_mode_32 0
		.amdhsa_float_round_mode_16_64 0
		.amdhsa_float_denorm_mode_32 3
		.amdhsa_float_denorm_mode_16_64 3
		.amdhsa_fp16_overflow 0
		.amdhsa_memory_ordered 1
		.amdhsa_forward_progress 1
		.amdhsa_inst_pref_size 8
		.amdhsa_round_robin_scheduling 0
		.amdhsa_exception_fp_ieee_invalid_op 0
		.amdhsa_exception_fp_denorm_src 0
		.amdhsa_exception_fp_ieee_div_zero 0
		.amdhsa_exception_fp_ieee_overflow 0
		.amdhsa_exception_fp_ieee_underflow 0
		.amdhsa_exception_fp_ieee_inexact 0
		.amdhsa_exception_int_div_zero 0
	.end_amdhsa_kernel
	.section	.text._ZL40rocblas_trsm_block_backward_substitutionI19rocblas_complex_numIdES1_PKS1_PS1_Lb0ELb1ELb1EEv18rocblas_operation_llT0_T1_lllT2_lllib,"axG",@progbits,_ZL40rocblas_trsm_block_backward_substitutionI19rocblas_complex_numIdES1_PKS1_PS1_Lb0ELb1ELb1EEv18rocblas_operation_llT0_T1_lllT2_lllib,comdat
.Lfunc_end248:
	.size	_ZL40rocblas_trsm_block_backward_substitutionI19rocblas_complex_numIdES1_PKS1_PS1_Lb0ELb1ELb1EEv18rocblas_operation_llT0_T1_lllT2_lllib, .Lfunc_end248-_ZL40rocblas_trsm_block_backward_substitutionI19rocblas_complex_numIdES1_PKS1_PS1_Lb0ELb1ELb1EEv18rocblas_operation_llT0_T1_lllT2_lllib
                                        ; -- End function
	.set _ZL40rocblas_trsm_block_backward_substitutionI19rocblas_complex_numIdES1_PKS1_PS1_Lb0ELb1ELb1EEv18rocblas_operation_llT0_T1_lllT2_lllib.num_vgpr, 30
	.set _ZL40rocblas_trsm_block_backward_substitutionI19rocblas_complex_numIdES1_PKS1_PS1_Lb0ELb1ELb1EEv18rocblas_operation_llT0_T1_lllT2_lllib.num_agpr, 0
	.set _ZL40rocblas_trsm_block_backward_substitutionI19rocblas_complex_numIdES1_PKS1_PS1_Lb0ELb1ELb1EEv18rocblas_operation_llT0_T1_lllT2_lllib.numbered_sgpr, 42
	.set _ZL40rocblas_trsm_block_backward_substitutionI19rocblas_complex_numIdES1_PKS1_PS1_Lb0ELb1ELb1EEv18rocblas_operation_llT0_T1_lllT2_lllib.num_named_barrier, 0
	.set _ZL40rocblas_trsm_block_backward_substitutionI19rocblas_complex_numIdES1_PKS1_PS1_Lb0ELb1ELb1EEv18rocblas_operation_llT0_T1_lllT2_lllib.private_seg_size, 0
	.set _ZL40rocblas_trsm_block_backward_substitutionI19rocblas_complex_numIdES1_PKS1_PS1_Lb0ELb1ELb1EEv18rocblas_operation_llT0_T1_lllT2_lllib.uses_vcc, 1
	.set _ZL40rocblas_trsm_block_backward_substitutionI19rocblas_complex_numIdES1_PKS1_PS1_Lb0ELb1ELb1EEv18rocblas_operation_llT0_T1_lllT2_lllib.uses_flat_scratch, 0
	.set _ZL40rocblas_trsm_block_backward_substitutionI19rocblas_complex_numIdES1_PKS1_PS1_Lb0ELb1ELb1EEv18rocblas_operation_llT0_T1_lllT2_lllib.has_dyn_sized_stack, 0
	.set _ZL40rocblas_trsm_block_backward_substitutionI19rocblas_complex_numIdES1_PKS1_PS1_Lb0ELb1ELb1EEv18rocblas_operation_llT0_T1_lllT2_lllib.has_recursion, 0
	.set _ZL40rocblas_trsm_block_backward_substitutionI19rocblas_complex_numIdES1_PKS1_PS1_Lb0ELb1ELb1EEv18rocblas_operation_llT0_T1_lllT2_lllib.has_indirect_call, 0
	.section	.AMDGPU.csdata,"",@progbits
; Kernel info:
; codeLenInByte = 964
; TotalNumSgprs: 44
; NumVgprs: 30
; ScratchSize: 0
; MemoryBound: 0
; FloatMode: 240
; IeeeMode: 1
; LDSByteSize: 0 bytes/workgroup (compile time only)
; SGPRBlocks: 0
; VGPRBlocks: 1
; NumSGPRsForWavesPerEU: 44
; NumVGPRsForWavesPerEU: 30
; NamedBarCnt: 0
; Occupancy: 16
; WaveLimiterHint : 0
; COMPUTE_PGM_RSRC2:SCRATCH_EN: 0
; COMPUTE_PGM_RSRC2:USER_SGPR: 2
; COMPUTE_PGM_RSRC2:TRAP_HANDLER: 0
; COMPUTE_PGM_RSRC2:TGID_X_EN: 1
; COMPUTE_PGM_RSRC2:TGID_Y_EN: 1
; COMPUTE_PGM_RSRC2:TGID_Z_EN: 1
; COMPUTE_PGM_RSRC2:TIDIG_COMP_CNT: 1
	.section	.text._ZL39rocblas_trsm_block_forward_substitutionI19rocblas_complex_numIdES1_PKS1_PS1_Lb1ELb1ELb0EEv18rocblas_operation_llT0_T1_lllT2_lllib,"axG",@progbits,_ZL39rocblas_trsm_block_forward_substitutionI19rocblas_complex_numIdES1_PKS1_PS1_Lb1ELb1ELb0EEv18rocblas_operation_llT0_T1_lllT2_lllib,comdat
	.globl	_ZL39rocblas_trsm_block_forward_substitutionI19rocblas_complex_numIdES1_PKS1_PS1_Lb1ELb1ELb0EEv18rocblas_operation_llT0_T1_lllT2_lllib ; -- Begin function _ZL39rocblas_trsm_block_forward_substitutionI19rocblas_complex_numIdES1_PKS1_PS1_Lb1ELb1ELb0EEv18rocblas_operation_llT0_T1_lllT2_lllib
	.p2align	8
	.type	_ZL39rocblas_trsm_block_forward_substitutionI19rocblas_complex_numIdES1_PKS1_PS1_Lb1ELb1ELb0EEv18rocblas_operation_llT0_T1_lllT2_lllib,@function
_ZL39rocblas_trsm_block_forward_substitutionI19rocblas_complex_numIdES1_PKS1_PS1_Lb1ELb1ELb0EEv18rocblas_operation_llT0_T1_lllT2_lllib: ; @_ZL39rocblas_trsm_block_forward_substitutionI19rocblas_complex_numIdES1_PKS1_PS1_Lb1ELb1ELb0EEv18rocblas_operation_llT0_T1_lllT2_lllib
; %bb.0:
	s_load_b64 s[28:29], s[0:1], 0x68
	s_bfe_u32 s2, ttmp6, 0x40014
	s_lshr_b32 s3, ttmp7, 16
	s_add_co_i32 s2, s2, 1
	s_bfe_u32 s5, ttmp6, 0x40008
	s_mul_i32 s4, s3, s2
	s_getreg_b32 s2, hwreg(HW_REG_IB_STS2, 6, 4)
	s_add_co_i32 s5, s5, s4
	s_cmp_eq_u32 s2, 0
	s_mov_b32 s31, 0
	s_cselect_b32 s30, s3, s5
	s_wait_kmcnt 0x0
	s_cmp_ge_u32 s30, s28
	s_cbranch_scc1 .LBB249_41
; %bb.1:
	s_clause 0x1
	s_load_b256 s[20:27], s[0:1], 0x48
	s_load_b32 s3, s[0:1], 0x0
	v_and_b32_e32 v8, 0x3ff, v0
	v_mov_b32_e32 v1, 0
	s_load_b512 s[4:19], s[0:1], 0x8
	s_bitcmp1_b32 s29, 0
	s_load_u16 s29, s[0:1], 0x7e
	s_delay_alu instid0(VALU_DEP_1) | instskip(SKIP_2) | instid1(VALU_DEP_1)
	v_dual_mov_b32 v9, v1 :: v_dual_lshlrev_b32 v10, 4, v8
	v_bfe_u32 v11, v0, 10, 10
	s_mov_b64 s[34:35], src_shared_base
	v_lshl_add_u32 v21, v11, 4, 0
	s_wait_kmcnt 0x0
	v_mul_u64_e32 v[2:3], s[24:25], v[8:9]
	s_cselect_b32 s24, -1, 0
	s_delay_alu instid0(SALU_CYCLE_1)
	s_xor_b32 s33, s24, -1
	s_cmp_eq_u32 s3, 0x71
	v_cndmask_b32_e64 v20, 0, 1, s24
	s_add_nc_u64 s[24:25], s[0:1], 0x70
	s_cselect_b32 s0, -1, 0
	s_bfe_u32 s1, ttmp6, 0x40010
	s_and_b32 s3, ttmp7, 0xffff
	s_add_co_i32 s1, s1, 1
	s_lshl_b64 s[38:39], s[14:15], 4
	s_bfe_u32 s14, ttmp6, 0x40004
	s_mul_i32 s1, s3, s1
	s_lshl_b64 s[40:41], s[22:23], 4
	s_add_co_i32 s14, s14, s1
	s_cmp_eq_u32 s2, 0
	s_add_nc_u64 s[20:21], s[20:21], s[40:41]
	s_cselect_b32 s1, s3, s14
	s_lshl_b32 s3, s29, 4
	v_mad_u32 v0, s1, s29, v11
	s_add_co_i32 s14, s3, 0
	s_add_nc_u64 s[22:23], s[4:5], -1
	v_add_nc_u32_e32 v22, s14, v10
	v_cmp_le_i64_e32 vcc_lo, s[4:5], v[8:9]
	v_cmp_gt_i64_e64 s2, s[4:5], v[8:9]
	v_cmp_gt_i64_e64 s36, s[4:5], 1
	v_cmp_eq_u64_e64 s1, s[22:23], v[8:9]
	v_cmp_gt_i64_e64 s37, s[4:5], 0
	s_mov_b32 s15, s35
	v_cmp_gt_i64_e64 s3, s[6:7], v[0:1]
	v_lshl_add_u64 v[2:3], v[2:3], 4, s[20:21]
	s_add_nc_u64 s[6:7], s[12:13], s[38:39]
	s_mov_b64 s[12:13], 1
	s_xor_b32 s39, vcc_lo, -1
	s_delay_alu instid0(VALU_DEP_1)
	v_lshl_add_u64 v[12:13], v[0:1], 4, v[2:3]
	s_and_b32 s38, s3, s2
	s_branch .LBB249_6
.LBB249_2:                              ;   in Loop: Header=BB249_6 Depth=1
	s_or_b32 exec_lo, exec_lo, s2
.LBB249_3:                              ;   in Loop: Header=BB249_6 Depth=1
	s_wait_loadcnt_dscnt 0x0
	s_delay_alu instid0(VALU_DEP_1) | instskip(NEXT) | instid1(VALU_DEP_3)
	v_mul_f64_e32 v[16:17], v[2:3], v[6:7]
	v_mul_f64_e32 v[2:3], v[2:3], v[4:5]
	s_wait_xcnt 0x0
	s_delay_alu instid0(VALU_DEP_2) | instskip(NEXT) | instid1(VALU_DEP_2)
	v_fma_f64 v[4:5], v[0:1], v[4:5], -v[16:17]
	v_fmac_f64_e32 v[2:3], v[0:1], v[6:7]
	s_delay_alu instid0(VALU_DEP_2)
	v_mov_b64_e32 v[0:1], v[4:5]
.LBB249_4:                              ;   in Loop: Header=BB249_6 Depth=1
	s_or_b32 exec_lo, exec_lo, s20
	global_store_b128 v[14:15], v[0:3], off
.LBB249_5:                              ;   in Loop: Header=BB249_6 Depth=1
	s_wait_xcnt 0x0
	s_or_b32 exec_lo, exec_lo, s40
	s_add_co_i32 s30, s30, 0x10000
	s_delay_alu instid0(SALU_CYCLE_1)
	s_cmp_lt_u32 s30, s28
	s_cbranch_scc0 .LBB249_41
.LBB249_6:                              ; =>This Loop Header: Depth=1
                                        ;     Child Loop BB249_13 Depth 2
                                        ;     Child Loop BB249_25 Depth 2
	v_cmp_ne_u32_e32 vcc_lo, 1, v20
	s_mul_u64 s[2:3], s[18:19], s[30:31]
	s_delay_alu instid0(SALU_CYCLE_1) | instskip(NEXT) | instid1(SALU_CYCLE_1)
	s_lshl_b64 s[2:3], s[2:3], 4
	s_add_nc_u64 s[2:3], s[6:7], s[2:3]
	s_cbranch_vccz .LBB249_8
; %bb.7:                                ;   in Loop: Header=BB249_6 Depth=1
	s_and_saveexec_b32 s40, s38
	s_cbranch_execz .LBB249_5
	s_branch .LBB249_22
.LBB249_8:                              ;   in Loop: Header=BB249_6 Depth=1
	s_and_not1_b32 vcc_lo, exec_lo, s37
	s_cbranch_vccnz .LBB249_21
; %bb.9:                                ;   in Loop: Header=BB249_6 Depth=1
	v_mul_u64_e32 v[0:1], s[16:17], v[8:9]
	v_mul_hi_u32_u24_e32 v3, s12, v8
	v_mul_u32_u24_e32 v2, s12, v8
	v_mov_b32_e32 v14, v11
	s_delay_alu instid0(VALU_DEP_4) | instskip(SKIP_1) | instid1(VALU_DEP_1)
	v_lshl_add_u64 v[4:5], v[0:1], 4, s[2:3]
	s_mov_b32 s2, s29
	v_lshl_add_u64 v[6:7], v[2:3], 4, v[4:5]
	s_branch .LBB249_13
.LBB249_10:                             ;   in Loop: Header=BB249_13 Depth=2
	s_or_b32 exec_lo, exec_lo, s17
	s_load_b32 s17, s[24:25], 0xc
	s_wait_kmcnt 0x0
	s_and_b32 s17, s17, 0xffff
	s_delay_alu instid0(SALU_CYCLE_1) | instskip(NEXT) | instid1(VALU_DEP_1)
	v_mul_u32_u24_e32 v0, s17, v8
	v_lshl_add_u32 v0, v0, 4, v22
	ds_store_2addr_b64 v0, v[16:17], v[18:19] offset1:1
.LBB249_11:                             ;   in Loop: Header=BB249_13 Depth=2
	s_or_b32 exec_lo, exec_lo, s16
.LBB249_12:                             ;   in Loop: Header=BB249_13 Depth=2
	s_delay_alu instid0(SALU_CYCLE_1)
	s_or_b32 exec_lo, exec_lo, s3
	s_ashr_i32 s3, s2, 31
	v_add_nc_u32_e32 v14, s29, v14
	v_cmp_le_i64_e64 s3, s[4:5], s[2:3]
	s_add_co_i32 s2, s2, s29
	s_and_b32 vcc_lo, exec_lo, s3
	s_cbranch_vccnz .LBB249_21
.LBB249_13:                             ;   Parent Loop BB249_6 Depth=1
                                        ; =>  This Inner Loop Header: Depth=2
	v_cmp_gt_i32_e32 vcc_lo, v8, v14
	s_and_b32 s3, s39, vcc_lo
	s_delay_alu instid0(SALU_CYCLE_1) | instskip(NEXT) | instid1(SALU_CYCLE_1)
	s_and_saveexec_b32 s16, s3
	s_xor_b32 s3, exec_lo, s16
	s_cbranch_execz .LBB249_15
; %bb.14:                               ;   in Loop: Header=BB249_13 Depth=2
	v_ashrrev_i32_e32 v15, 31, v14
	s_load_b32 s16, s[24:25], 0xc
	s_delay_alu instid0(VALU_DEP_1) | instskip(SKIP_2) | instid1(SALU_CYCLE_1)
	v_mul_u64_e32 v[0:1], s[12:13], v[14:15]
	s_wait_kmcnt 0x0
	s_and_b32 s16, s16, 0xffff
	v_mul_lo_u32 v15, v14, s16
	s_delay_alu instid0(VALU_DEP_1) | instskip(NEXT) | instid1(VALU_DEP_3)
	v_lshl_add_u32 v15, v15, 4, v22
	v_lshl_add_u64 v[0:1], v[0:1], 4, v[4:5]
	global_load_b128 v[0:3], v[0:1], off
	s_wait_loadcnt 0x0
	ds_store_2addr_b64 v15, v[0:1], v[2:3] offset1:1
.LBB249_15:                             ;   in Loop: Header=BB249_13 Depth=2
	s_wait_xcnt 0x0
	s_and_not1_saveexec_b32 s3, s3
	s_cbranch_execz .LBB249_12
; %bb.16:                               ;   in Loop: Header=BB249_13 Depth=2
	v_cmp_eq_u32_e32 vcc_lo, v8, v14
	s_and_b32 s17, s39, vcc_lo
	s_delay_alu instid0(SALU_CYCLE_1)
	s_and_saveexec_b32 s16, s17
	s_cbranch_execz .LBB249_11
; %bb.17:                               ;   in Loop: Header=BB249_13 Depth=2
	global_load_b128 v[0:3], v[6:7], off
                                        ; implicit-def: $vgpr16_vgpr17
	s_wait_loadcnt 0x0
	v_cmp_ngt_f64_e64 s17, |v[0:1]|, |v[2:3]|
	s_wait_xcnt 0x0
	s_and_saveexec_b32 s20, s17
	s_delay_alu instid0(SALU_CYCLE_1)
	s_xor_b32 s17, exec_lo, s20
                                        ; implicit-def: $vgpr18_vgpr19
	s_cbranch_execz .LBB249_19
; %bb.18:                               ;   in Loop: Header=BB249_13 Depth=2
	v_div_scale_f64 v[16:17], null, v[2:3], v[2:3], v[0:1]
	v_div_scale_f64 v[26:27], vcc_lo, v[0:1], v[2:3], v[0:1]
	s_delay_alu instid0(VALU_DEP_2) | instskip(SKIP_1) | instid1(TRANS32_DEP_1)
	v_rcp_f64_e32 v[18:19], v[16:17]
	v_nop
	v_fma_f64 v[24:25], -v[16:17], v[18:19], 1.0
	s_delay_alu instid0(VALU_DEP_1) | instskip(NEXT) | instid1(VALU_DEP_1)
	v_fmac_f64_e32 v[18:19], v[18:19], v[24:25]
	v_fma_f64 v[24:25], -v[16:17], v[18:19], 1.0
	s_delay_alu instid0(VALU_DEP_1) | instskip(NEXT) | instid1(VALU_DEP_1)
	v_fmac_f64_e32 v[18:19], v[18:19], v[24:25]
	v_mul_f64_e32 v[24:25], v[26:27], v[18:19]
	s_delay_alu instid0(VALU_DEP_1) | instskip(NEXT) | instid1(VALU_DEP_1)
	v_fma_f64 v[16:17], -v[16:17], v[24:25], v[26:27]
	v_div_fmas_f64 v[16:17], v[16:17], v[18:19], v[24:25]
	s_delay_alu instid0(VALU_DEP_1) | instskip(NEXT) | instid1(VALU_DEP_1)
	v_div_fixup_f64 v[16:17], v[16:17], v[2:3], v[0:1]
	v_fmac_f64_e32 v[2:3], v[0:1], v[16:17]
	s_delay_alu instid0(VALU_DEP_1) | instskip(NEXT) | instid1(VALU_DEP_1)
	v_div_scale_f64 v[0:1], null, v[2:3], v[2:3], 1.0
	v_rcp_f64_e32 v[18:19], v[0:1]
	v_nop
	s_delay_alu instid0(TRANS32_DEP_1) | instskip(NEXT) | instid1(VALU_DEP_1)
	v_fma_f64 v[24:25], -v[0:1], v[18:19], 1.0
	v_fmac_f64_e32 v[18:19], v[18:19], v[24:25]
	s_delay_alu instid0(VALU_DEP_1) | instskip(NEXT) | instid1(VALU_DEP_1)
	v_fma_f64 v[24:25], -v[0:1], v[18:19], 1.0
	v_fmac_f64_e32 v[18:19], v[18:19], v[24:25]
	v_div_scale_f64 v[24:25], vcc_lo, 1.0, v[2:3], 1.0
	s_delay_alu instid0(VALU_DEP_1) | instskip(NEXT) | instid1(VALU_DEP_1)
	v_mul_f64_e32 v[26:27], v[24:25], v[18:19]
	v_fma_f64 v[0:1], -v[0:1], v[26:27], v[24:25]
	s_delay_alu instid0(VALU_DEP_1) | instskip(NEXT) | instid1(VALU_DEP_1)
	v_div_fmas_f64 v[0:1], v[0:1], v[18:19], v[26:27]
	v_div_fixup_f64 v[18:19], v[0:1], v[2:3], 1.0
                                        ; implicit-def: $vgpr0_vgpr1
	s_delay_alu instid0(VALU_DEP_1)
	v_mul_f64_e32 v[16:17], v[16:17], v[18:19]
	v_xor_b32_e32 v19, 0x80000000, v19
.LBB249_19:                             ;   in Loop: Header=BB249_13 Depth=2
	s_and_not1_saveexec_b32 s17, s17
	s_cbranch_execz .LBB249_10
; %bb.20:                               ;   in Loop: Header=BB249_13 Depth=2
	v_div_scale_f64 v[16:17], null, v[0:1], v[0:1], v[2:3]
	v_div_scale_f64 v[26:27], vcc_lo, v[2:3], v[0:1], v[2:3]
	s_delay_alu instid0(VALU_DEP_2) | instskip(SKIP_1) | instid1(TRANS32_DEP_1)
	v_rcp_f64_e32 v[18:19], v[16:17]
	v_nop
	v_fma_f64 v[24:25], -v[16:17], v[18:19], 1.0
	s_delay_alu instid0(VALU_DEP_1) | instskip(NEXT) | instid1(VALU_DEP_1)
	v_fmac_f64_e32 v[18:19], v[18:19], v[24:25]
	v_fma_f64 v[24:25], -v[16:17], v[18:19], 1.0
	s_delay_alu instid0(VALU_DEP_1) | instskip(NEXT) | instid1(VALU_DEP_1)
	v_fmac_f64_e32 v[18:19], v[18:19], v[24:25]
	v_mul_f64_e32 v[24:25], v[26:27], v[18:19]
	s_delay_alu instid0(VALU_DEP_1) | instskip(NEXT) | instid1(VALU_DEP_1)
	v_fma_f64 v[16:17], -v[16:17], v[24:25], v[26:27]
	v_div_fmas_f64 v[16:17], v[16:17], v[18:19], v[24:25]
	s_delay_alu instid0(VALU_DEP_1) | instskip(NEXT) | instid1(VALU_DEP_1)
	v_div_fixup_f64 v[18:19], v[16:17], v[0:1], v[2:3]
	v_fmac_f64_e32 v[0:1], v[2:3], v[18:19]
	s_delay_alu instid0(VALU_DEP_1) | instskip(NEXT) | instid1(VALU_DEP_1)
	v_div_scale_f64 v[2:3], null, v[0:1], v[0:1], 1.0
	v_rcp_f64_e32 v[16:17], v[2:3]
	v_nop
	s_delay_alu instid0(TRANS32_DEP_1) | instskip(NEXT) | instid1(VALU_DEP_1)
	v_fma_f64 v[24:25], -v[2:3], v[16:17], 1.0
	v_fmac_f64_e32 v[16:17], v[16:17], v[24:25]
	s_delay_alu instid0(VALU_DEP_1) | instskip(NEXT) | instid1(VALU_DEP_1)
	v_fma_f64 v[24:25], -v[2:3], v[16:17], 1.0
	v_fmac_f64_e32 v[16:17], v[16:17], v[24:25]
	v_div_scale_f64 v[24:25], vcc_lo, 1.0, v[0:1], 1.0
	s_delay_alu instid0(VALU_DEP_1) | instskip(NEXT) | instid1(VALU_DEP_1)
	v_mul_f64_e32 v[26:27], v[24:25], v[16:17]
	v_fma_f64 v[2:3], -v[2:3], v[26:27], v[24:25]
	s_delay_alu instid0(VALU_DEP_1) | instskip(NEXT) | instid1(VALU_DEP_1)
	v_div_fmas_f64 v[2:3], v[2:3], v[16:17], v[26:27]
	v_div_fixup_f64 v[16:17], v[2:3], v[0:1], 1.0
	s_delay_alu instid0(VALU_DEP_1)
	v_mul_f64_e64 v[18:19], v[18:19], -v[16:17]
	s_branch .LBB249_10
.LBB249_21:                             ;   in Loop: Header=BB249_6 Depth=1
	s_load_b32 s2, s[24:25], 0xc
	s_mov_b32 s13, s31
	s_mov_b64 s[16:17], 1
	s_wait_kmcnt 0x0
	s_and_b32 s12, s2, 0xffff
	s_mov_b64 s[2:3], s[14:15]
	s_and_saveexec_b32 s40, s38
	s_cbranch_execz .LBB249_5
.LBB249_22:                             ;   in Loop: Header=BB249_6 Depth=1
	s_mul_u64 s[20:21], s[26:27], s[30:31]
	s_and_not1_b32 vcc_lo, exec_lo, s36
	v_lshl_add_u64 v[14:15], s[20:21], 4, v[12:13]
	global_load_b128 v[4:7], v[14:15], off
	s_wait_loadcnt 0x0
	v_mul_f64_e32 v[0:1], s[10:11], v[6:7]
	v_mul_f64_e32 v[2:3], s[8:9], v[6:7]
	s_delay_alu instid0(VALU_DEP_2) | instskip(NEXT) | instid1(VALU_DEP_2)
	v_fma_f64 v[0:1], s[8:9], v[4:5], -v[0:1]
	v_fmac_f64_e32 v[2:3], s[10:11], v[4:5]
	s_cbranch_vccnz .LBB249_35
; %bb.23:                               ;   in Loop: Header=BB249_6 Depth=1
	s_add_nc_u64 s[20:21], s[12:13], s[16:17]
	v_mad_nc_u64_u32 v[6:7], v10, s16, s[2:3]
	v_mul_u64_e32 v[4:5], s[20:21], v[8:9]
	s_lshl_b64 s[20:21], s[12:13], 4
	s_mov_b64 s[34:35], 0
	s_delay_alu instid0(VALU_DEP_2) | instskip(NEXT) | instid1(VALU_DEP_1)
	v_mad_u32 v7, v10, s17, v7
	v_add_nc_u64_e32 v[16:17], 8, v[6:7]
	s_delay_alu instid0(VALU_DEP_3)
	v_lshl_add_u64 v[18:19], v[4:5], 4, s[2:3]
	s_branch .LBB249_25
.LBB249_24:                             ;   in Loop: Header=BB249_25 Depth=2
	s_wait_xcnt 0x0
	s_or_b32 exec_lo, exec_lo, s41
	v_add_nc_u64_e32 v[16:17], s[20:21], v[16:17]
	s_add_nc_u64 s[34:35], s[34:35], 1
	s_delay_alu instid0(SALU_CYCLE_1)
	s_cmp_eq_u64 s[22:23], s[34:35]
	s_cbranch_scc1 .LBB249_35
.LBB249_25:                             ;   Parent Loop BB249_6 Depth=1
                                        ; =>  This Inner Loop Header: Depth=2
	s_mov_b32 s41, exec_lo
	s_wait_dscnt 0x0
	s_barrier_signal -1
	s_barrier_wait -1
	s_wait_xcnt 0x0
	v_cmpx_eq_u64_e64 s[34:35], v[8:9]
	s_cbranch_execz .LBB249_33
; %bb.26:                               ;   in Loop: Header=BB249_25 Depth=2
	flat_load_b128 v[4:7], v[18:19]
	s_and_not1_b32 vcc_lo, exec_lo, s33
	s_cbranch_vccnz .LBB249_32
; %bb.27:                               ;   in Loop: Header=BB249_25 Depth=2
	s_wait_loadcnt_dscnt 0x0
	v_cmp_ngt_f64_e64 s42, |v[4:5]|, |v[6:7]|
	s_wait_xcnt 0x0
	s_and_saveexec_b32 s43, s42
	s_delay_alu instid0(SALU_CYCLE_1)
	s_xor_b32 s42, exec_lo, s43
	s_cbranch_execz .LBB249_29
; %bb.28:                               ;   in Loop: Header=BB249_25 Depth=2
	v_div_scale_f64 v[24:25], null, v[6:7], v[6:7], v[4:5]
	v_div_scale_f64 v[30:31], vcc_lo, v[4:5], v[6:7], v[4:5]
	s_delay_alu instid0(VALU_DEP_2) | instskip(SKIP_1) | instid1(TRANS32_DEP_1)
	v_rcp_f64_e32 v[26:27], v[24:25]
	v_nop
	v_fma_f64 v[28:29], -v[24:25], v[26:27], 1.0
	s_delay_alu instid0(VALU_DEP_1) | instskip(NEXT) | instid1(VALU_DEP_1)
	v_fmac_f64_e32 v[26:27], v[26:27], v[28:29]
	v_fma_f64 v[28:29], -v[24:25], v[26:27], 1.0
	s_delay_alu instid0(VALU_DEP_1) | instskip(NEXT) | instid1(VALU_DEP_1)
	v_fmac_f64_e32 v[26:27], v[26:27], v[28:29]
	v_mul_f64_e32 v[28:29], v[30:31], v[26:27]
	s_delay_alu instid0(VALU_DEP_1) | instskip(NEXT) | instid1(VALU_DEP_1)
	v_fma_f64 v[24:25], -v[24:25], v[28:29], v[30:31]
	v_div_fmas_f64 v[24:25], v[24:25], v[26:27], v[28:29]
	s_delay_alu instid0(VALU_DEP_1) | instskip(NEXT) | instid1(VALU_DEP_1)
	v_div_fixup_f64 v[24:25], v[24:25], v[6:7], v[4:5]
	v_fmac_f64_e32 v[6:7], v[4:5], v[24:25]
	s_delay_alu instid0(VALU_DEP_1) | instskip(NEXT) | instid1(VALU_DEP_1)
	v_div_scale_f64 v[4:5], null, v[6:7], v[6:7], 1.0
	v_rcp_f64_e32 v[26:27], v[4:5]
	v_nop
	s_delay_alu instid0(TRANS32_DEP_1) | instskip(NEXT) | instid1(VALU_DEP_1)
	v_fma_f64 v[28:29], -v[4:5], v[26:27], 1.0
	v_fmac_f64_e32 v[26:27], v[26:27], v[28:29]
	s_delay_alu instid0(VALU_DEP_1) | instskip(NEXT) | instid1(VALU_DEP_1)
	v_fma_f64 v[28:29], -v[4:5], v[26:27], 1.0
	v_fmac_f64_e32 v[26:27], v[26:27], v[28:29]
	v_div_scale_f64 v[28:29], vcc_lo, 1.0, v[6:7], 1.0
	s_delay_alu instid0(VALU_DEP_1) | instskip(NEXT) | instid1(VALU_DEP_1)
	v_mul_f64_e32 v[30:31], v[28:29], v[26:27]
	v_fma_f64 v[4:5], -v[4:5], v[30:31], v[28:29]
	s_delay_alu instid0(VALU_DEP_1) | instskip(NEXT) | instid1(VALU_DEP_1)
	v_div_fmas_f64 v[4:5], v[4:5], v[26:27], v[30:31]
	v_div_fixup_f64 v[6:7], v[4:5], v[6:7], 1.0
	s_delay_alu instid0(VALU_DEP_1)
	v_mul_f64_e32 v[4:5], v[24:25], v[6:7]
	v_xor_b32_e32 v7, 0x80000000, v7
.LBB249_29:                             ;   in Loop: Header=BB249_25 Depth=2
	s_and_not1_saveexec_b32 s42, s42
	s_cbranch_execz .LBB249_31
; %bb.30:                               ;   in Loop: Header=BB249_25 Depth=2
	s_delay_alu instid0(VALU_DEP_1) | instskip(SKIP_1) | instid1(VALU_DEP_2)
	v_div_scale_f64 v[24:25], null, v[4:5], v[4:5], v[6:7]
	v_div_scale_f64 v[30:31], vcc_lo, v[6:7], v[4:5], v[6:7]
	v_rcp_f64_e32 v[26:27], v[24:25]
	v_nop
	s_delay_alu instid0(TRANS32_DEP_1) | instskip(NEXT) | instid1(VALU_DEP_1)
	v_fma_f64 v[28:29], -v[24:25], v[26:27], 1.0
	v_fmac_f64_e32 v[26:27], v[26:27], v[28:29]
	s_delay_alu instid0(VALU_DEP_1) | instskip(NEXT) | instid1(VALU_DEP_1)
	v_fma_f64 v[28:29], -v[24:25], v[26:27], 1.0
	v_fmac_f64_e32 v[26:27], v[26:27], v[28:29]
	s_delay_alu instid0(VALU_DEP_1) | instskip(NEXT) | instid1(VALU_DEP_1)
	v_mul_f64_e32 v[28:29], v[30:31], v[26:27]
	v_fma_f64 v[24:25], -v[24:25], v[28:29], v[30:31]
	s_delay_alu instid0(VALU_DEP_1) | instskip(NEXT) | instid1(VALU_DEP_1)
	v_div_fmas_f64 v[24:25], v[24:25], v[26:27], v[28:29]
	v_div_fixup_f64 v[24:25], v[24:25], v[4:5], v[6:7]
	s_delay_alu instid0(VALU_DEP_1) | instskip(NEXT) | instid1(VALU_DEP_1)
	v_fmac_f64_e32 v[4:5], v[6:7], v[24:25]
	v_div_scale_f64 v[6:7], null, v[4:5], v[4:5], 1.0
	s_delay_alu instid0(VALU_DEP_1) | instskip(SKIP_1) | instid1(TRANS32_DEP_1)
	v_rcp_f64_e32 v[26:27], v[6:7]
	v_nop
	v_fma_f64 v[28:29], -v[6:7], v[26:27], 1.0
	s_delay_alu instid0(VALU_DEP_1) | instskip(NEXT) | instid1(VALU_DEP_1)
	v_fmac_f64_e32 v[26:27], v[26:27], v[28:29]
	v_fma_f64 v[28:29], -v[6:7], v[26:27], 1.0
	s_delay_alu instid0(VALU_DEP_1) | instskip(SKIP_1) | instid1(VALU_DEP_1)
	v_fmac_f64_e32 v[26:27], v[26:27], v[28:29]
	v_div_scale_f64 v[28:29], vcc_lo, 1.0, v[4:5], 1.0
	v_mul_f64_e32 v[30:31], v[28:29], v[26:27]
	s_delay_alu instid0(VALU_DEP_1) | instskip(NEXT) | instid1(VALU_DEP_1)
	v_fma_f64 v[6:7], -v[6:7], v[30:31], v[28:29]
	v_div_fmas_f64 v[6:7], v[6:7], v[26:27], v[30:31]
	s_delay_alu instid0(VALU_DEP_1) | instskip(NEXT) | instid1(VALU_DEP_1)
	v_div_fixup_f64 v[4:5], v[6:7], v[4:5], 1.0
	v_mul_f64_e64 v[6:7], v[24:25], -v[4:5]
.LBB249_31:                             ;   in Loop: Header=BB249_25 Depth=2
	s_or_b32 exec_lo, exec_lo, s42
.LBB249_32:                             ;   in Loop: Header=BB249_25 Depth=2
	s_wait_loadcnt_dscnt 0x0
	s_delay_alu instid0(VALU_DEP_1) | instskip(SKIP_1) | instid1(VALU_DEP_2)
	v_mul_f64_e32 v[24:25], v[0:1], v[6:7]
	v_mul_f64_e32 v[6:7], v[2:3], v[6:7]
	v_fmac_f64_e32 v[24:25], v[2:3], v[4:5]
	s_delay_alu instid0(VALU_DEP_2) | instskip(NEXT) | instid1(VALU_DEP_2)
	v_fma_f64 v[4:5], v[0:1], v[4:5], -v[6:7]
	v_mov_b64_e32 v[2:3], v[24:25]
	s_delay_alu instid0(VALU_DEP_2)
	v_mov_b64_e32 v[0:1], v[4:5]
	ds_store_2addr_b64 v21, v[4:5], v[24:25] offset1:1
.LBB249_33:                             ;   in Loop: Header=BB249_25 Depth=2
	s_wait_xcnt 0x0
	s_or_b32 exec_lo, exec_lo, s41
	s_delay_alu instid0(SALU_CYCLE_1)
	s_mov_b32 s41, exec_lo
	s_wait_dscnt 0x0
	s_barrier_signal -1
	s_barrier_wait -1
	v_cmpx_lt_u64_e64 s[34:35], v[8:9]
	s_cbranch_execz .LBB249_24
; %bb.34:                               ;   in Loop: Header=BB249_25 Depth=2
	flat_load_b128 v[4:7], v[16:17] offset:-8
	ds_load_2addr_b64 v[24:27], v21 offset1:1
	s_wait_loadcnt_dscnt 0x1
	v_xor_b32_e32 v23, 0x80000000, v7
	s_delay_alu instid0(VALU_DEP_1) | instskip(SKIP_1) | instid1(VALU_DEP_1)
	v_cndmask_b32_e64 v7, v7, v23, s0
	s_wait_dscnt 0x0
	v_mul_f64_e32 v[28:29], v[6:7], v[26:27]
	v_mul_f64_e32 v[26:27], v[4:5], v[26:27]
	s_delay_alu instid0(VALU_DEP_2) | instskip(NEXT) | instid1(VALU_DEP_2)
	v_fma_f64 v[4:5], v[4:5], v[24:25], -v[28:29]
	v_fmac_f64_e32 v[26:27], v[6:7], v[24:25]
	s_delay_alu instid0(VALU_DEP_2) | instskip(NEXT) | instid1(VALU_DEP_2)
	v_add_f64_e64 v[0:1], v[0:1], -v[4:5]
	v_add_f64_e64 v[2:3], v[2:3], -v[26:27]
	s_branch .LBB249_24
.LBB249_35:                             ;   in Loop: Header=BB249_6 Depth=1
	s_wait_xcnt 0x0
	s_and_saveexec_b32 s20, s1
	s_cbranch_execz .LBB249_4
; %bb.36:                               ;   in Loop: Header=BB249_6 Depth=1
	s_add_nc_u64 s[34:35], s[12:13], s[16:17]
	s_and_not1_b32 vcc_lo, exec_lo, s33
	v_mul_u64_e32 v[4:5], s[34:35], v[8:9]
	s_delay_alu instid0(VALU_DEP_1)
	v_lshl_add_u64 v[4:5], v[4:5], 4, s[2:3]
	flat_load_b128 v[4:7], v[4:5]
	s_cbranch_vccnz .LBB249_3
; %bb.37:                               ;   in Loop: Header=BB249_6 Depth=1
	s_wait_loadcnt_dscnt 0x0
	v_cmp_ngt_f64_e64 s2, |v[4:5]|, |v[6:7]|
	s_wait_xcnt 0x0
	s_and_saveexec_b32 s3, s2
	s_delay_alu instid0(SALU_CYCLE_1)
	s_xor_b32 s2, exec_lo, s3
	s_cbranch_execz .LBB249_39
; %bb.38:                               ;   in Loop: Header=BB249_6 Depth=1
	v_div_scale_f64 v[16:17], null, v[6:7], v[6:7], v[4:5]
	v_div_scale_f64 v[26:27], vcc_lo, v[4:5], v[6:7], v[4:5]
	s_delay_alu instid0(VALU_DEP_2) | instskip(SKIP_1) | instid1(TRANS32_DEP_1)
	v_rcp_f64_e32 v[18:19], v[16:17]
	v_nop
	v_fma_f64 v[24:25], -v[16:17], v[18:19], 1.0
	s_delay_alu instid0(VALU_DEP_1) | instskip(NEXT) | instid1(VALU_DEP_1)
	v_fmac_f64_e32 v[18:19], v[18:19], v[24:25]
	v_fma_f64 v[24:25], -v[16:17], v[18:19], 1.0
	s_delay_alu instid0(VALU_DEP_1) | instskip(NEXT) | instid1(VALU_DEP_1)
	v_fmac_f64_e32 v[18:19], v[18:19], v[24:25]
	v_mul_f64_e32 v[24:25], v[26:27], v[18:19]
	s_delay_alu instid0(VALU_DEP_1) | instskip(NEXT) | instid1(VALU_DEP_1)
	v_fma_f64 v[16:17], -v[16:17], v[24:25], v[26:27]
	v_div_fmas_f64 v[16:17], v[16:17], v[18:19], v[24:25]
	s_delay_alu instid0(VALU_DEP_1) | instskip(NEXT) | instid1(VALU_DEP_1)
	v_div_fixup_f64 v[16:17], v[16:17], v[6:7], v[4:5]
	v_fmac_f64_e32 v[6:7], v[4:5], v[16:17]
	s_delay_alu instid0(VALU_DEP_1) | instskip(NEXT) | instid1(VALU_DEP_1)
	v_div_scale_f64 v[4:5], null, v[6:7], v[6:7], 1.0
	v_rcp_f64_e32 v[18:19], v[4:5]
	v_nop
	s_delay_alu instid0(TRANS32_DEP_1) | instskip(NEXT) | instid1(VALU_DEP_1)
	v_fma_f64 v[24:25], -v[4:5], v[18:19], 1.0
	v_fmac_f64_e32 v[18:19], v[18:19], v[24:25]
	s_delay_alu instid0(VALU_DEP_1) | instskip(NEXT) | instid1(VALU_DEP_1)
	v_fma_f64 v[24:25], -v[4:5], v[18:19], 1.0
	v_fmac_f64_e32 v[18:19], v[18:19], v[24:25]
	v_div_scale_f64 v[24:25], vcc_lo, 1.0, v[6:7], 1.0
	s_delay_alu instid0(VALU_DEP_1) | instskip(NEXT) | instid1(VALU_DEP_1)
	v_mul_f64_e32 v[26:27], v[24:25], v[18:19]
	v_fma_f64 v[4:5], -v[4:5], v[26:27], v[24:25]
	s_delay_alu instid0(VALU_DEP_1) | instskip(NEXT) | instid1(VALU_DEP_1)
	v_div_fmas_f64 v[4:5], v[4:5], v[18:19], v[26:27]
	v_div_fixup_f64 v[6:7], v[4:5], v[6:7], 1.0
	s_delay_alu instid0(VALU_DEP_1)
	v_mul_f64_e32 v[4:5], v[16:17], v[6:7]
	v_xor_b32_e32 v7, 0x80000000, v7
.LBB249_39:                             ;   in Loop: Header=BB249_6 Depth=1
	s_and_not1_saveexec_b32 s2, s2
	s_cbranch_execz .LBB249_2
; %bb.40:                               ;   in Loop: Header=BB249_6 Depth=1
	s_delay_alu instid0(VALU_DEP_1) | instskip(SKIP_1) | instid1(VALU_DEP_2)
	v_div_scale_f64 v[16:17], null, v[4:5], v[4:5], v[6:7]
	v_div_scale_f64 v[26:27], vcc_lo, v[6:7], v[4:5], v[6:7]
	v_rcp_f64_e32 v[18:19], v[16:17]
	v_nop
	s_delay_alu instid0(TRANS32_DEP_1) | instskip(NEXT) | instid1(VALU_DEP_1)
	v_fma_f64 v[24:25], -v[16:17], v[18:19], 1.0
	v_fmac_f64_e32 v[18:19], v[18:19], v[24:25]
	s_delay_alu instid0(VALU_DEP_1) | instskip(NEXT) | instid1(VALU_DEP_1)
	v_fma_f64 v[24:25], -v[16:17], v[18:19], 1.0
	v_fmac_f64_e32 v[18:19], v[18:19], v[24:25]
	s_delay_alu instid0(VALU_DEP_1) | instskip(NEXT) | instid1(VALU_DEP_1)
	v_mul_f64_e32 v[24:25], v[26:27], v[18:19]
	v_fma_f64 v[16:17], -v[16:17], v[24:25], v[26:27]
	s_delay_alu instid0(VALU_DEP_1) | instskip(NEXT) | instid1(VALU_DEP_1)
	v_div_fmas_f64 v[16:17], v[16:17], v[18:19], v[24:25]
	v_div_fixup_f64 v[16:17], v[16:17], v[4:5], v[6:7]
	s_delay_alu instid0(VALU_DEP_1) | instskip(NEXT) | instid1(VALU_DEP_1)
	v_fmac_f64_e32 v[4:5], v[6:7], v[16:17]
	v_div_scale_f64 v[6:7], null, v[4:5], v[4:5], 1.0
	s_delay_alu instid0(VALU_DEP_1) | instskip(SKIP_1) | instid1(TRANS32_DEP_1)
	v_rcp_f64_e32 v[18:19], v[6:7]
	v_nop
	v_fma_f64 v[24:25], -v[6:7], v[18:19], 1.0
	s_delay_alu instid0(VALU_DEP_1) | instskip(NEXT) | instid1(VALU_DEP_1)
	v_fmac_f64_e32 v[18:19], v[18:19], v[24:25]
	v_fma_f64 v[24:25], -v[6:7], v[18:19], 1.0
	s_delay_alu instid0(VALU_DEP_1) | instskip(SKIP_1) | instid1(VALU_DEP_1)
	v_fmac_f64_e32 v[18:19], v[18:19], v[24:25]
	v_div_scale_f64 v[24:25], vcc_lo, 1.0, v[4:5], 1.0
	v_mul_f64_e32 v[26:27], v[24:25], v[18:19]
	s_delay_alu instid0(VALU_DEP_1) | instskip(NEXT) | instid1(VALU_DEP_1)
	v_fma_f64 v[6:7], -v[6:7], v[26:27], v[24:25]
	v_div_fmas_f64 v[6:7], v[6:7], v[18:19], v[26:27]
	s_delay_alu instid0(VALU_DEP_1) | instskip(NEXT) | instid1(VALU_DEP_1)
	v_div_fixup_f64 v[4:5], v[6:7], v[4:5], 1.0
	v_mul_f64_e64 v[6:7], v[16:17], -v[4:5]
	s_branch .LBB249_2
.LBB249_41:
	s_endpgm
	.section	.rodata,"a",@progbits
	.p2align	6, 0x0
	.amdhsa_kernel _ZL39rocblas_trsm_block_forward_substitutionI19rocblas_complex_numIdES1_PKS1_PS1_Lb1ELb1ELb0EEv18rocblas_operation_llT0_T1_lllT2_lllib
		.amdhsa_group_segment_fixed_size 0
		.amdhsa_private_segment_fixed_size 0
		.amdhsa_kernarg_size 368
		.amdhsa_user_sgpr_count 2
		.amdhsa_user_sgpr_dispatch_ptr 0
		.amdhsa_user_sgpr_queue_ptr 0
		.amdhsa_user_sgpr_kernarg_segment_ptr 1
		.amdhsa_user_sgpr_dispatch_id 0
		.amdhsa_user_sgpr_kernarg_preload_length 0
		.amdhsa_user_sgpr_kernarg_preload_offset 0
		.amdhsa_user_sgpr_private_segment_size 0
		.amdhsa_wavefront_size32 1
		.amdhsa_uses_dynamic_stack 0
		.amdhsa_enable_private_segment 0
		.amdhsa_system_sgpr_workgroup_id_x 1
		.amdhsa_system_sgpr_workgroup_id_y 1
		.amdhsa_system_sgpr_workgroup_id_z 1
		.amdhsa_system_sgpr_workgroup_info 0
		.amdhsa_system_vgpr_workitem_id 1
		.amdhsa_next_free_vgpr 32
		.amdhsa_next_free_sgpr 44
		.amdhsa_named_barrier_count 0
		.amdhsa_reserve_vcc 1
		.amdhsa_float_round_mode_32 0
		.amdhsa_float_round_mode_16_64 0
		.amdhsa_float_denorm_mode_32 3
		.amdhsa_float_denorm_mode_16_64 3
		.amdhsa_fp16_overflow 0
		.amdhsa_memory_ordered 1
		.amdhsa_forward_progress 1
		.amdhsa_inst_pref_size 21
		.amdhsa_round_robin_scheduling 0
		.amdhsa_exception_fp_ieee_invalid_op 0
		.amdhsa_exception_fp_denorm_src 0
		.amdhsa_exception_fp_ieee_div_zero 0
		.amdhsa_exception_fp_ieee_overflow 0
		.amdhsa_exception_fp_ieee_underflow 0
		.amdhsa_exception_fp_ieee_inexact 0
		.amdhsa_exception_int_div_zero 0
	.end_amdhsa_kernel
	.section	.text._ZL39rocblas_trsm_block_forward_substitutionI19rocblas_complex_numIdES1_PKS1_PS1_Lb1ELb1ELb0EEv18rocblas_operation_llT0_T1_lllT2_lllib,"axG",@progbits,_ZL39rocblas_trsm_block_forward_substitutionI19rocblas_complex_numIdES1_PKS1_PS1_Lb1ELb1ELb0EEv18rocblas_operation_llT0_T1_lllT2_lllib,comdat
.Lfunc_end249:
	.size	_ZL39rocblas_trsm_block_forward_substitutionI19rocblas_complex_numIdES1_PKS1_PS1_Lb1ELb1ELb0EEv18rocblas_operation_llT0_T1_lllT2_lllib, .Lfunc_end249-_ZL39rocblas_trsm_block_forward_substitutionI19rocblas_complex_numIdES1_PKS1_PS1_Lb1ELb1ELb0EEv18rocblas_operation_llT0_T1_lllT2_lllib
                                        ; -- End function
	.set _ZL39rocblas_trsm_block_forward_substitutionI19rocblas_complex_numIdES1_PKS1_PS1_Lb1ELb1ELb0EEv18rocblas_operation_llT0_T1_lllT2_lllib.num_vgpr, 32
	.set _ZL39rocblas_trsm_block_forward_substitutionI19rocblas_complex_numIdES1_PKS1_PS1_Lb1ELb1ELb0EEv18rocblas_operation_llT0_T1_lllT2_lllib.num_agpr, 0
	.set _ZL39rocblas_trsm_block_forward_substitutionI19rocblas_complex_numIdES1_PKS1_PS1_Lb1ELb1ELb0EEv18rocblas_operation_llT0_T1_lllT2_lllib.numbered_sgpr, 44
	.set _ZL39rocblas_trsm_block_forward_substitutionI19rocblas_complex_numIdES1_PKS1_PS1_Lb1ELb1ELb0EEv18rocblas_operation_llT0_T1_lllT2_lllib.num_named_barrier, 0
	.set _ZL39rocblas_trsm_block_forward_substitutionI19rocblas_complex_numIdES1_PKS1_PS1_Lb1ELb1ELb0EEv18rocblas_operation_llT0_T1_lllT2_lllib.private_seg_size, 0
	.set _ZL39rocblas_trsm_block_forward_substitutionI19rocblas_complex_numIdES1_PKS1_PS1_Lb1ELb1ELb0EEv18rocblas_operation_llT0_T1_lllT2_lllib.uses_vcc, 1
	.set _ZL39rocblas_trsm_block_forward_substitutionI19rocblas_complex_numIdES1_PKS1_PS1_Lb1ELb1ELb0EEv18rocblas_operation_llT0_T1_lllT2_lllib.uses_flat_scratch, 0
	.set _ZL39rocblas_trsm_block_forward_substitutionI19rocblas_complex_numIdES1_PKS1_PS1_Lb1ELb1ELb0EEv18rocblas_operation_llT0_T1_lllT2_lllib.has_dyn_sized_stack, 0
	.set _ZL39rocblas_trsm_block_forward_substitutionI19rocblas_complex_numIdES1_PKS1_PS1_Lb1ELb1ELb0EEv18rocblas_operation_llT0_T1_lllT2_lllib.has_recursion, 0
	.set _ZL39rocblas_trsm_block_forward_substitutionI19rocblas_complex_numIdES1_PKS1_PS1_Lb1ELb1ELb0EEv18rocblas_operation_llT0_T1_lllT2_lllib.has_indirect_call, 0
	.section	.AMDGPU.csdata,"",@progbits
; Kernel info:
; codeLenInByte = 2660
; TotalNumSgprs: 46
; NumVgprs: 32
; ScratchSize: 0
; MemoryBound: 1
; FloatMode: 240
; IeeeMode: 1
; LDSByteSize: 0 bytes/workgroup (compile time only)
; SGPRBlocks: 0
; VGPRBlocks: 1
; NumSGPRsForWavesPerEU: 46
; NumVGPRsForWavesPerEU: 32
; NamedBarCnt: 0
; Occupancy: 16
; WaveLimiterHint : 0
; COMPUTE_PGM_RSRC2:SCRATCH_EN: 0
; COMPUTE_PGM_RSRC2:USER_SGPR: 2
; COMPUTE_PGM_RSRC2:TRAP_HANDLER: 0
; COMPUTE_PGM_RSRC2:TGID_X_EN: 1
; COMPUTE_PGM_RSRC2:TGID_Y_EN: 1
; COMPUTE_PGM_RSRC2:TGID_Z_EN: 1
; COMPUTE_PGM_RSRC2:TIDIG_COMP_CNT: 1
	.section	.text._ZL40rocblas_trsm_block_backward_substitutionI19rocblas_complex_numIdES1_PKS1_PS1_Lb1ELb1ELb0EEv18rocblas_operation_llT0_T1_lllT2_lllib,"axG",@progbits,_ZL40rocblas_trsm_block_backward_substitutionI19rocblas_complex_numIdES1_PKS1_PS1_Lb1ELb1ELb0EEv18rocblas_operation_llT0_T1_lllT2_lllib,comdat
	.globl	_ZL40rocblas_trsm_block_backward_substitutionI19rocblas_complex_numIdES1_PKS1_PS1_Lb1ELb1ELb0EEv18rocblas_operation_llT0_T1_lllT2_lllib ; -- Begin function _ZL40rocblas_trsm_block_backward_substitutionI19rocblas_complex_numIdES1_PKS1_PS1_Lb1ELb1ELb0EEv18rocblas_operation_llT0_T1_lllT2_lllib
	.p2align	8
	.type	_ZL40rocblas_trsm_block_backward_substitutionI19rocblas_complex_numIdES1_PKS1_PS1_Lb1ELb1ELb0EEv18rocblas_operation_llT0_T1_lllT2_lllib,@function
_ZL40rocblas_trsm_block_backward_substitutionI19rocblas_complex_numIdES1_PKS1_PS1_Lb1ELb1ELb0EEv18rocblas_operation_llT0_T1_lllT2_lllib: ; @_ZL40rocblas_trsm_block_backward_substitutionI19rocblas_complex_numIdES1_PKS1_PS1_Lb1ELb1ELb0EEv18rocblas_operation_llT0_T1_lllT2_lllib
; %bb.0:
	s_load_b64 s[28:29], s[0:1], 0x68
	s_bfe_u32 s2, ttmp6, 0x40014
	s_lshr_b32 s3, ttmp7, 16
	s_add_co_i32 s2, s2, 1
	s_bfe_u32 s4, ttmp6, 0x40008
	s_mul_i32 s2, s3, s2
	s_getreg_b32 s34, hwreg(HW_REG_IB_STS2, 6, 4)
	s_add_co_i32 s4, s4, s2
	s_cmp_eq_u32 s34, 0
	s_mov_b32 s31, 0
	s_cselect_b32 s30, s3, s4
	s_wait_kmcnt 0x0
	s_cmp_ge_u32 s30, s28
	s_cbranch_scc1 .LBB250_42
; %bb.1:
	s_mov_b64 s[2:3], src_shared_base
	s_clause 0x2
	s_load_b32 s2, s[0:1], 0x0
	s_load_b512 s[4:19], s[0:1], 0x8
	s_load_b256 s[20:27], s[0:1], 0x48
	s_bitcmp1_b32 s29, 0
	s_load_u16 s29, s[0:1], 0x7e
	s_cselect_b32 s33, -1, 0
	v_bfe_u32 v25, v0, 10, 10
	v_cndmask_b32_e64 v24, 0, 1, s33
	s_xor_b32 s33, s33, -1
	v_and_b32_e32 v10, 0x3ff, v0
	v_mov_b32_e32 v9, 0
	v_lshl_add_u32 v26, v25, 4, 0
	s_delay_alu instid0(VALU_DEP_2) | instskip(SKIP_1) | instid1(VALU_DEP_2)
	v_dual_mov_b32 v11, v9 :: v_dual_lshlrev_b32 v0, 4, v10
	v_dual_mov_b32 v1, v9 :: v_dual_mov_b32 v15, v9
	v_or_b32_e32 v14, 8, v0
	s_wait_kmcnt 0x0
	s_cmp_eq_u32 s2, 0x71
	v_mul_u64_e32 v[12:13], s[16:17], v[10:11]
	s_cselect_b32 s2, -1, 0
	s_lshl_b64 s[36:37], s[14:15], 4
	s_bfe_u32 s14, ttmp6, 0x40010
	s_and_b32 s15, ttmp7, 0xffff
	s_add_co_i32 s14, s14, 1
	s_bfe_u32 s35, ttmp6, 0x40004
	s_mul_i32 s14, s15, s14
	s_lshl_b64 s[38:39], s[22:23], 4
	s_add_co_i32 s35, s35, s14
	s_cmp_eq_u32 s34, 0
	s_add_nc_u64 s[20:21], s[20:21], s[38:39]
	s_cselect_b32 s14, s15, s35
	s_mov_b32 s23, s3
	v_mad_u32 v8, s14, s29, v25
	s_add_nc_u64 s[14:15], s[0:1], 0x70
	v_cmp_le_i64_e64 s40, s[4:5], v[10:11]
	v_cmp_gt_i64_e64 s1, s[4:5], v[10:11]
	s_lshl_b32 s3, s29, 4
	v_cmp_gt_i64_e64 s41, s[4:5], 1
	s_add_co_i32 s22, s3, 0
	v_cmp_gt_i64_e64 s42, s[4:5], 0
	v_cmp_eq_u32_e64 s0, 0, v10
	v_add_nc_u32_e32 v27, s22, v0
	s_xor_b32 s44, s40, -1
	v_mul_u64_e32 v[2:3], s[24:25], v[8:9]
	v_cmp_gt_i64_e32 vcc_lo, s[6:7], v[8:9]
	v_lshlrev_b32_e32 v8, 4, v10
	s_add_nc_u64 s[24:25], s[4:5], -1
	s_add_nc_u64 s[6:7], s[12:13], s[36:37]
	s_lshl_b64 s[12:13], s[24:25], 4
	s_and_b32 s43, vcc_lo, s1
	s_delay_alu instid0(VALU_DEP_3) | instskip(NEXT) | instid1(VALU_DEP_1)
	v_lshl_add_u64 v[2:3], v[2:3], 4, s[20:21]
	v_add_nc_u64_e32 v[16:17], v[2:3], v[0:1]
	s_branch .LBB250_6
.LBB250_2:                              ;   in Loop: Header=BB250_6 Depth=1
	s_or_b32 exec_lo, exec_lo, s20
.LBB250_3:                              ;   in Loop: Header=BB250_6 Depth=1
	s_wait_loadcnt_dscnt 0x0
	s_delay_alu instid0(VALU_DEP_1) | instskip(NEXT) | instid1(VALU_DEP_3)
	v_mul_f64_e32 v[20:21], v[2:3], v[6:7]
	v_mul_f64_e32 v[2:3], v[2:3], v[4:5]
	s_wait_xcnt 0x0
	s_delay_alu instid0(VALU_DEP_2) | instskip(NEXT) | instid1(VALU_DEP_2)
	v_fma_f64 v[4:5], v[0:1], v[4:5], -v[20:21]
	v_fmac_f64_e32 v[2:3], v[0:1], v[6:7]
	s_delay_alu instid0(VALU_DEP_2)
	v_mov_b64_e32 v[0:1], v[4:5]
.LBB250_4:                              ;   in Loop: Header=BB250_6 Depth=1
	s_or_b32 exec_lo, exec_lo, s36
	global_store_b128 v[18:19], v[0:3], off
.LBB250_5:                              ;   in Loop: Header=BB250_6 Depth=1
	s_wait_xcnt 0x0
	s_or_b32 exec_lo, exec_lo, s3
	s_add_co_i32 s30, s30, 0x10000
	s_delay_alu instid0(SALU_CYCLE_1)
	s_cmp_lt_u32 s30, s28
	s_cbranch_scc0 .LBB250_42
.LBB250_6:                              ; =>This Loop Header: Depth=1
                                        ;     Child Loop BB250_11 Depth 2
                                        ;     Child Loop BB250_26 Depth 2
	v_cmp_ne_u32_e32 vcc_lo, 1, v24
	s_mul_u64 s[20:21], s[18:19], s[30:31]
	s_delay_alu instid0(SALU_CYCLE_1) | instskip(NEXT) | instid1(SALU_CYCLE_1)
	s_lshl_b64 s[20:21], s[20:21], 4
	s_add_nc_u64 s[20:21], s[6:7], s[20:21]
	s_cbranch_vccnz .LBB250_21
; %bb.7:                                ;   in Loop: Header=BB250_6 Depth=1
	s_and_not1_b32 vcc_lo, exec_lo, s42
	s_cbranch_vccnz .LBB250_22
; %bb.8:                                ;   in Loop: Header=BB250_6 Depth=1
	v_add_nc_u64_e32 v[4:5], s[20:21], v[8:9]
	v_mov_b32_e32 v18, v25
	s_mov_b32 s20, s29
	s_delay_alu instid0(VALU_DEP_2)
	v_lshl_add_u64 v[6:7], v[12:13], 4, v[4:5]
	s_branch .LBB250_11
.LBB250_9:                              ;   in Loop: Header=BB250_11 Depth=2
	s_or_b32 exec_lo, exec_lo, s21
	s_load_b32 s21, s[14:15], 0xc
	s_wait_kmcnt 0x0
	s_and_b32 s21, s21, 0xffff
	s_delay_alu instid0(SALU_CYCLE_1) | instskip(NEXT) | instid1(VALU_DEP_1)
	v_mul_u32_u24_e32 v0, s21, v10
	v_lshl_add_u32 v0, v0, 4, v27
	ds_store_2addr_b64 v0, v[20:21], v[22:23] offset1:1
.LBB250_10:                             ;   in Loop: Header=BB250_11 Depth=2
	s_or_b32 exec_lo, exec_lo, s3
	s_ashr_i32 s21, s20, 31
	v_add_nc_u32_e32 v18, s29, v18
	v_cmp_le_i64_e64 s3, s[4:5], s[20:21]
	s_add_co_i32 s20, s20, s29
	s_and_b32 vcc_lo, exec_lo, s3
	s_cbranch_vccnz .LBB250_22
.LBB250_11:                             ;   Parent Loop BB250_6 Depth=1
                                        ; =>  This Inner Loop Header: Depth=2
	s_mov_b32 s34, s40
	s_and_saveexec_b32 s21, s1
	s_cbranch_execz .LBB250_15
; %bb.12:                               ;   in Loop: Header=BB250_11 Depth=2
	v_ashrrev_i32_e32 v19, 31, v18
	v_cmp_lt_i32_e64 s3, v10, v18
	s_mov_b32 s34, -1
	v_cmp_gt_i64_e32 vcc_lo, s[4:5], v[18:19]
	s_and_b32 s35, s3, vcc_lo
	s_delay_alu instid0(SALU_CYCLE_1)
	s_and_saveexec_b32 s3, s35
	s_cbranch_execz .LBB250_14
; %bb.13:                               ;   in Loop: Header=BB250_11 Depth=2
	v_mul_u64_e32 v[0:1], s[16:17], v[18:19]
	s_load_b32 s34, s[14:15], 0xc
	s_wait_kmcnt 0x0
	s_and_b32 s34, s34, 0xffff
	s_delay_alu instid0(SALU_CYCLE_1) | instskip(SKIP_1) | instid1(VALU_DEP_2)
	v_mul_lo_u32 v19, v18, s34
	s_xor_b32 s34, exec_lo, -1
	v_lshl_add_u64 v[0:1], v[0:1], 4, v[4:5]
	s_delay_alu instid0(VALU_DEP_2)
	v_lshl_add_u32 v19, v19, 4, v27
	global_load_b128 v[0:3], v[0:1], off
	s_wait_loadcnt 0x0
	ds_store_2addr_b64 v19, v[0:1], v[2:3] offset1:1
.LBB250_14:                             ;   in Loop: Header=BB250_11 Depth=2
	s_wait_xcnt 0x0
	s_or_b32 exec_lo, exec_lo, s3
	s_delay_alu instid0(SALU_CYCLE_1) | instskip(SKIP_1) | instid1(SALU_CYCLE_1)
	s_and_not1_b32 s3, s40, exec_lo
	s_and_b32 s34, s34, exec_lo
	s_or_b32 s34, s3, s34
.LBB250_15:                             ;   in Loop: Header=BB250_11 Depth=2
	s_or_b32 exec_lo, exec_lo, s21
	s_and_saveexec_b32 s3, s34
	s_cbranch_execz .LBB250_10
; %bb.16:                               ;   in Loop: Header=BB250_11 Depth=2
	v_cmp_eq_u32_e32 vcc_lo, v10, v18
	s_and_b32 s21, s44, vcc_lo
	s_delay_alu instid0(SALU_CYCLE_1)
	s_and_b32 exec_lo, exec_lo, s21
	s_cbranch_execz .LBB250_10
; %bb.17:                               ;   in Loop: Header=BB250_11 Depth=2
	global_load_b128 v[0:3], v[6:7], off
                                        ; implicit-def: $vgpr20_vgpr21
	s_wait_loadcnt 0x0
	v_cmp_ngt_f64_e64 s21, |v[0:1]|, |v[2:3]|
	s_wait_xcnt 0x0
	s_and_saveexec_b32 s34, s21
	s_delay_alu instid0(SALU_CYCLE_1)
	s_xor_b32 s21, exec_lo, s34
                                        ; implicit-def: $vgpr22_vgpr23
	s_cbranch_execz .LBB250_19
; %bb.18:                               ;   in Loop: Header=BB250_11 Depth=2
	v_div_scale_f64 v[20:21], null, v[2:3], v[2:3], v[0:1]
	v_div_scale_f64 v[30:31], vcc_lo, v[0:1], v[2:3], v[0:1]
	s_delay_alu instid0(VALU_DEP_2) | instskip(SKIP_1) | instid1(TRANS32_DEP_1)
	v_rcp_f64_e32 v[22:23], v[20:21]
	v_nop
	v_fma_f64 v[28:29], -v[20:21], v[22:23], 1.0
	s_delay_alu instid0(VALU_DEP_1) | instskip(NEXT) | instid1(VALU_DEP_1)
	v_fmac_f64_e32 v[22:23], v[22:23], v[28:29]
	v_fma_f64 v[28:29], -v[20:21], v[22:23], 1.0
	s_delay_alu instid0(VALU_DEP_1) | instskip(NEXT) | instid1(VALU_DEP_1)
	v_fmac_f64_e32 v[22:23], v[22:23], v[28:29]
	v_mul_f64_e32 v[28:29], v[30:31], v[22:23]
	s_delay_alu instid0(VALU_DEP_1) | instskip(NEXT) | instid1(VALU_DEP_1)
	v_fma_f64 v[20:21], -v[20:21], v[28:29], v[30:31]
	v_div_fmas_f64 v[20:21], v[20:21], v[22:23], v[28:29]
	s_delay_alu instid0(VALU_DEP_1) | instskip(NEXT) | instid1(VALU_DEP_1)
	v_div_fixup_f64 v[20:21], v[20:21], v[2:3], v[0:1]
	v_fmac_f64_e32 v[2:3], v[0:1], v[20:21]
	s_delay_alu instid0(VALU_DEP_1) | instskip(NEXT) | instid1(VALU_DEP_1)
	v_div_scale_f64 v[0:1], null, v[2:3], v[2:3], 1.0
	v_rcp_f64_e32 v[22:23], v[0:1]
	v_nop
	s_delay_alu instid0(TRANS32_DEP_1) | instskip(NEXT) | instid1(VALU_DEP_1)
	v_fma_f64 v[28:29], -v[0:1], v[22:23], 1.0
	v_fmac_f64_e32 v[22:23], v[22:23], v[28:29]
	s_delay_alu instid0(VALU_DEP_1) | instskip(NEXT) | instid1(VALU_DEP_1)
	v_fma_f64 v[28:29], -v[0:1], v[22:23], 1.0
	v_fmac_f64_e32 v[22:23], v[22:23], v[28:29]
	v_div_scale_f64 v[28:29], vcc_lo, 1.0, v[2:3], 1.0
	s_delay_alu instid0(VALU_DEP_1) | instskip(NEXT) | instid1(VALU_DEP_1)
	v_mul_f64_e32 v[30:31], v[28:29], v[22:23]
	v_fma_f64 v[0:1], -v[0:1], v[30:31], v[28:29]
	s_delay_alu instid0(VALU_DEP_1) | instskip(NEXT) | instid1(VALU_DEP_1)
	v_div_fmas_f64 v[0:1], v[0:1], v[22:23], v[30:31]
	v_div_fixup_f64 v[22:23], v[0:1], v[2:3], 1.0
                                        ; implicit-def: $vgpr0_vgpr1
	s_delay_alu instid0(VALU_DEP_1)
	v_mul_f64_e32 v[20:21], v[20:21], v[22:23]
	v_xor_b32_e32 v23, 0x80000000, v23
.LBB250_19:                             ;   in Loop: Header=BB250_11 Depth=2
	s_and_not1_saveexec_b32 s21, s21
	s_cbranch_execz .LBB250_9
; %bb.20:                               ;   in Loop: Header=BB250_11 Depth=2
	v_div_scale_f64 v[20:21], null, v[0:1], v[0:1], v[2:3]
	v_div_scale_f64 v[30:31], vcc_lo, v[2:3], v[0:1], v[2:3]
	s_delay_alu instid0(VALU_DEP_2) | instskip(SKIP_1) | instid1(TRANS32_DEP_1)
	v_rcp_f64_e32 v[22:23], v[20:21]
	v_nop
	v_fma_f64 v[28:29], -v[20:21], v[22:23], 1.0
	s_delay_alu instid0(VALU_DEP_1) | instskip(NEXT) | instid1(VALU_DEP_1)
	v_fmac_f64_e32 v[22:23], v[22:23], v[28:29]
	v_fma_f64 v[28:29], -v[20:21], v[22:23], 1.0
	s_delay_alu instid0(VALU_DEP_1) | instskip(NEXT) | instid1(VALU_DEP_1)
	v_fmac_f64_e32 v[22:23], v[22:23], v[28:29]
	v_mul_f64_e32 v[28:29], v[30:31], v[22:23]
	s_delay_alu instid0(VALU_DEP_1) | instskip(NEXT) | instid1(VALU_DEP_1)
	v_fma_f64 v[20:21], -v[20:21], v[28:29], v[30:31]
	v_div_fmas_f64 v[20:21], v[20:21], v[22:23], v[28:29]
	s_delay_alu instid0(VALU_DEP_1) | instskip(NEXT) | instid1(VALU_DEP_1)
	v_div_fixup_f64 v[22:23], v[20:21], v[0:1], v[2:3]
	v_fmac_f64_e32 v[0:1], v[2:3], v[22:23]
	s_delay_alu instid0(VALU_DEP_1) | instskip(NEXT) | instid1(VALU_DEP_1)
	v_div_scale_f64 v[2:3], null, v[0:1], v[0:1], 1.0
	v_rcp_f64_e32 v[20:21], v[2:3]
	v_nop
	s_delay_alu instid0(TRANS32_DEP_1) | instskip(NEXT) | instid1(VALU_DEP_1)
	v_fma_f64 v[28:29], -v[2:3], v[20:21], 1.0
	v_fmac_f64_e32 v[20:21], v[20:21], v[28:29]
	s_delay_alu instid0(VALU_DEP_1) | instskip(NEXT) | instid1(VALU_DEP_1)
	v_fma_f64 v[28:29], -v[2:3], v[20:21], 1.0
	v_fmac_f64_e32 v[20:21], v[20:21], v[28:29]
	v_div_scale_f64 v[28:29], vcc_lo, 1.0, v[0:1], 1.0
	s_delay_alu instid0(VALU_DEP_1) | instskip(NEXT) | instid1(VALU_DEP_1)
	v_mul_f64_e32 v[30:31], v[28:29], v[20:21]
	v_fma_f64 v[2:3], -v[2:3], v[30:31], v[28:29]
	s_delay_alu instid0(VALU_DEP_1) | instskip(NEXT) | instid1(VALU_DEP_1)
	v_div_fmas_f64 v[2:3], v[2:3], v[20:21], v[30:31]
	v_div_fixup_f64 v[20:21], v[2:3], v[0:1], 1.0
	s_delay_alu instid0(VALU_DEP_1)
	v_mul_f64_e64 v[22:23], v[22:23], -v[20:21]
	s_branch .LBB250_9
.LBB250_21:                             ;   in Loop: Header=BB250_6 Depth=1
	s_mov_b64 s[34:35], s[16:17]
	s_and_saveexec_b32 s3, s43
	s_cbranch_execz .LBB250_5
	s_branch .LBB250_23
.LBB250_22:                             ;   in Loop: Header=BB250_6 Depth=1
	s_load_b32 s3, s[14:15], 0xc
	s_mov_b32 s35, s31
	s_mov_b64 s[20:21], s[22:23]
	s_wait_kmcnt 0x0
	s_and_b32 s34, s3, 0xffff
	s_and_saveexec_b32 s3, s43
	s_cbranch_execz .LBB250_5
.LBB250_23:                             ;   in Loop: Header=BB250_6 Depth=1
	s_mul_u64 s[36:37], s[26:27], s[30:31]
	s_and_not1_b32 vcc_lo, exec_lo, s41
	v_lshl_add_u64 v[18:19], s[36:37], 4, v[16:17]
	global_load_b128 v[4:7], v[18:19], off
	s_wait_loadcnt 0x0
	v_mul_f64_e32 v[0:1], s[10:11], v[6:7]
	v_mul_f64_e32 v[2:3], s[8:9], v[6:7]
	s_delay_alu instid0(VALU_DEP_2) | instskip(NEXT) | instid1(VALU_DEP_2)
	v_fma_f64 v[0:1], s[8:9], v[4:5], -v[0:1]
	v_fmac_f64_e32 v[2:3], s[10:11], v[4:5]
	s_cbranch_vccnz .LBB250_36
; %bb.24:                               ;   in Loop: Header=BB250_6 Depth=1
	v_mad_nc_u64_u32 v[4:5], v10, s34, v[10:11]
	v_add_nc_u64_e32 v[6:7], s[20:21], v[14:15]
	s_mul_i32 s36, s13, s34
	s_mul_i32 s37, s12, s35
	s_mov_b64 s[38:39], s[24:25]
	s_delay_alu instid0(VALU_DEP_1) | instskip(NEXT) | instid1(VALU_DEP_3)
	v_mad_nc_u64_u32 v[20:21], s12, s34, v[6:7]
	v_mad_u32 v5, v10, s35, v5
	s_delay_alu instid0(VALU_DEP_2) | instskip(SKIP_1) | instid1(SALU_CYCLE_1)
	v_add3_u32 v21, s37, s36, v21
	s_lshl_b64 s[36:37], s[34:35], 4
	s_sub_nc_u64 s[36:37], 0, s[36:37]
	s_delay_alu instid0(VALU_DEP_2)
	v_lshl_add_u64 v[22:23], v[4:5], 4, s[20:21]
	s_branch .LBB250_26
.LBB250_25:                             ;   in Loop: Header=BB250_26 Depth=2
	s_wait_xcnt 0x0
	s_or_b32 exec_lo, exec_lo, s45
	s_add_nc_u64 s[46:47], s[38:39], 1
	v_add_nc_u64_e32 v[20:21], s[36:37], v[20:21]
	v_cmp_lt_u64_e64 s45, s[46:47], 3
	s_add_nc_u64 s[38:39], s[38:39], -1
	s_and_b32 vcc_lo, exec_lo, s45
	s_cbranch_vccnz .LBB250_36
.LBB250_26:                             ;   Parent Loop BB250_6 Depth=1
                                        ; =>  This Inner Loop Header: Depth=2
	s_mov_b32 s45, exec_lo
	s_wait_dscnt 0x0
	s_barrier_signal -1
	s_barrier_wait -1
	s_wait_xcnt 0x0
	v_cmpx_eq_u64_e64 s[38:39], v[10:11]
	s_cbranch_execz .LBB250_34
; %bb.27:                               ;   in Loop: Header=BB250_26 Depth=2
	flat_load_b128 v[4:7], v[22:23]
	s_and_not1_b32 vcc_lo, exec_lo, s33
	s_cbranch_vccnz .LBB250_33
; %bb.28:                               ;   in Loop: Header=BB250_26 Depth=2
	s_wait_loadcnt_dscnt 0x0
	v_cmp_ngt_f64_e64 s46, |v[4:5]|, |v[6:7]|
	s_wait_xcnt 0x0
	s_and_saveexec_b32 s47, s46
	s_delay_alu instid0(SALU_CYCLE_1)
	s_xor_b32 s46, exec_lo, s47
	s_cbranch_execz .LBB250_30
; %bb.29:                               ;   in Loop: Header=BB250_26 Depth=2
	v_div_scale_f64 v[28:29], null, v[6:7], v[6:7], v[4:5]
	v_div_scale_f64 v[34:35], vcc_lo, v[4:5], v[6:7], v[4:5]
	s_delay_alu instid0(VALU_DEP_2) | instskip(SKIP_1) | instid1(TRANS32_DEP_1)
	v_rcp_f64_e32 v[30:31], v[28:29]
	v_nop
	v_fma_f64 v[32:33], -v[28:29], v[30:31], 1.0
	s_delay_alu instid0(VALU_DEP_1) | instskip(NEXT) | instid1(VALU_DEP_1)
	v_fmac_f64_e32 v[30:31], v[30:31], v[32:33]
	v_fma_f64 v[32:33], -v[28:29], v[30:31], 1.0
	s_delay_alu instid0(VALU_DEP_1) | instskip(NEXT) | instid1(VALU_DEP_1)
	v_fmac_f64_e32 v[30:31], v[30:31], v[32:33]
	v_mul_f64_e32 v[32:33], v[34:35], v[30:31]
	s_delay_alu instid0(VALU_DEP_1) | instskip(NEXT) | instid1(VALU_DEP_1)
	v_fma_f64 v[28:29], -v[28:29], v[32:33], v[34:35]
	v_div_fmas_f64 v[28:29], v[28:29], v[30:31], v[32:33]
	s_delay_alu instid0(VALU_DEP_1) | instskip(NEXT) | instid1(VALU_DEP_1)
	v_div_fixup_f64 v[28:29], v[28:29], v[6:7], v[4:5]
	v_fmac_f64_e32 v[6:7], v[4:5], v[28:29]
	s_delay_alu instid0(VALU_DEP_1) | instskip(NEXT) | instid1(VALU_DEP_1)
	v_div_scale_f64 v[4:5], null, v[6:7], v[6:7], 1.0
	v_rcp_f64_e32 v[30:31], v[4:5]
	v_nop
	s_delay_alu instid0(TRANS32_DEP_1) | instskip(NEXT) | instid1(VALU_DEP_1)
	v_fma_f64 v[32:33], -v[4:5], v[30:31], 1.0
	v_fmac_f64_e32 v[30:31], v[30:31], v[32:33]
	s_delay_alu instid0(VALU_DEP_1) | instskip(NEXT) | instid1(VALU_DEP_1)
	v_fma_f64 v[32:33], -v[4:5], v[30:31], 1.0
	v_fmac_f64_e32 v[30:31], v[30:31], v[32:33]
	v_div_scale_f64 v[32:33], vcc_lo, 1.0, v[6:7], 1.0
	s_delay_alu instid0(VALU_DEP_1) | instskip(NEXT) | instid1(VALU_DEP_1)
	v_mul_f64_e32 v[34:35], v[32:33], v[30:31]
	v_fma_f64 v[4:5], -v[4:5], v[34:35], v[32:33]
	s_delay_alu instid0(VALU_DEP_1) | instskip(NEXT) | instid1(VALU_DEP_1)
	v_div_fmas_f64 v[4:5], v[4:5], v[30:31], v[34:35]
	v_div_fixup_f64 v[6:7], v[4:5], v[6:7], 1.0
	s_delay_alu instid0(VALU_DEP_1)
	v_mul_f64_e32 v[4:5], v[28:29], v[6:7]
	v_xor_b32_e32 v7, 0x80000000, v7
.LBB250_30:                             ;   in Loop: Header=BB250_26 Depth=2
	s_and_not1_saveexec_b32 s46, s46
	s_cbranch_execz .LBB250_32
; %bb.31:                               ;   in Loop: Header=BB250_26 Depth=2
	s_delay_alu instid0(VALU_DEP_1) | instskip(SKIP_1) | instid1(VALU_DEP_2)
	v_div_scale_f64 v[28:29], null, v[4:5], v[4:5], v[6:7]
	v_div_scale_f64 v[34:35], vcc_lo, v[6:7], v[4:5], v[6:7]
	v_rcp_f64_e32 v[30:31], v[28:29]
	v_nop
	s_delay_alu instid0(TRANS32_DEP_1) | instskip(NEXT) | instid1(VALU_DEP_1)
	v_fma_f64 v[32:33], -v[28:29], v[30:31], 1.0
	v_fmac_f64_e32 v[30:31], v[30:31], v[32:33]
	s_delay_alu instid0(VALU_DEP_1) | instskip(NEXT) | instid1(VALU_DEP_1)
	v_fma_f64 v[32:33], -v[28:29], v[30:31], 1.0
	v_fmac_f64_e32 v[30:31], v[30:31], v[32:33]
	s_delay_alu instid0(VALU_DEP_1) | instskip(NEXT) | instid1(VALU_DEP_1)
	v_mul_f64_e32 v[32:33], v[34:35], v[30:31]
	v_fma_f64 v[28:29], -v[28:29], v[32:33], v[34:35]
	s_delay_alu instid0(VALU_DEP_1) | instskip(NEXT) | instid1(VALU_DEP_1)
	v_div_fmas_f64 v[28:29], v[28:29], v[30:31], v[32:33]
	v_div_fixup_f64 v[28:29], v[28:29], v[4:5], v[6:7]
	s_delay_alu instid0(VALU_DEP_1) | instskip(NEXT) | instid1(VALU_DEP_1)
	v_fmac_f64_e32 v[4:5], v[6:7], v[28:29]
	v_div_scale_f64 v[6:7], null, v[4:5], v[4:5], 1.0
	s_delay_alu instid0(VALU_DEP_1) | instskip(SKIP_1) | instid1(TRANS32_DEP_1)
	v_rcp_f64_e32 v[30:31], v[6:7]
	v_nop
	v_fma_f64 v[32:33], -v[6:7], v[30:31], 1.0
	s_delay_alu instid0(VALU_DEP_1) | instskip(NEXT) | instid1(VALU_DEP_1)
	v_fmac_f64_e32 v[30:31], v[30:31], v[32:33]
	v_fma_f64 v[32:33], -v[6:7], v[30:31], 1.0
	s_delay_alu instid0(VALU_DEP_1) | instskip(SKIP_1) | instid1(VALU_DEP_1)
	v_fmac_f64_e32 v[30:31], v[30:31], v[32:33]
	v_div_scale_f64 v[32:33], vcc_lo, 1.0, v[4:5], 1.0
	v_mul_f64_e32 v[34:35], v[32:33], v[30:31]
	s_delay_alu instid0(VALU_DEP_1) | instskip(NEXT) | instid1(VALU_DEP_1)
	v_fma_f64 v[6:7], -v[6:7], v[34:35], v[32:33]
	v_div_fmas_f64 v[6:7], v[6:7], v[30:31], v[34:35]
	s_delay_alu instid0(VALU_DEP_1) | instskip(NEXT) | instid1(VALU_DEP_1)
	v_div_fixup_f64 v[4:5], v[6:7], v[4:5], 1.0
	v_mul_f64_e64 v[6:7], v[28:29], -v[4:5]
.LBB250_32:                             ;   in Loop: Header=BB250_26 Depth=2
	s_or_b32 exec_lo, exec_lo, s46
.LBB250_33:                             ;   in Loop: Header=BB250_26 Depth=2
	s_wait_loadcnt_dscnt 0x0
	s_delay_alu instid0(VALU_DEP_1) | instskip(SKIP_1) | instid1(VALU_DEP_2)
	v_mul_f64_e32 v[28:29], v[0:1], v[6:7]
	v_mul_f64_e32 v[6:7], v[2:3], v[6:7]
	v_fmac_f64_e32 v[28:29], v[2:3], v[4:5]
	s_delay_alu instid0(VALU_DEP_2) | instskip(NEXT) | instid1(VALU_DEP_2)
	v_fma_f64 v[4:5], v[0:1], v[4:5], -v[6:7]
	v_mov_b64_e32 v[2:3], v[28:29]
	s_delay_alu instid0(VALU_DEP_2)
	v_mov_b64_e32 v[0:1], v[4:5]
	ds_store_2addr_b64 v26, v[4:5], v[28:29] offset1:1
.LBB250_34:                             ;   in Loop: Header=BB250_26 Depth=2
	s_wait_xcnt 0x0
	s_or_b32 exec_lo, exec_lo, s45
	s_delay_alu instid0(SALU_CYCLE_1)
	s_mov_b32 s45, exec_lo
	s_wait_dscnt 0x0
	s_barrier_signal -1
	s_barrier_wait -1
	v_cmpx_gt_i64_e64 s[38:39], v[10:11]
	s_cbranch_execz .LBB250_25
; %bb.35:                               ;   in Loop: Header=BB250_26 Depth=2
	flat_load_b128 v[4:7], v[20:21] offset:-8
	ds_load_2addr_b64 v[28:31], v26 offset1:1
	s_wait_loadcnt_dscnt 0x1
	v_xor_b32_e32 v32, 0x80000000, v7
	s_delay_alu instid0(VALU_DEP_1) | instskip(SKIP_1) | instid1(VALU_DEP_1)
	v_cndmask_b32_e64 v7, v7, v32, s2
	s_wait_dscnt 0x0
	v_mul_f64_e32 v[32:33], v[6:7], v[30:31]
	v_mul_f64_e32 v[30:31], v[4:5], v[30:31]
	s_delay_alu instid0(VALU_DEP_2) | instskip(NEXT) | instid1(VALU_DEP_2)
	v_fma_f64 v[4:5], v[4:5], v[28:29], -v[32:33]
	v_fmac_f64_e32 v[30:31], v[6:7], v[28:29]
	s_delay_alu instid0(VALU_DEP_2) | instskip(NEXT) | instid1(VALU_DEP_2)
	v_add_f64_e64 v[0:1], v[0:1], -v[4:5]
	v_add_f64_e64 v[2:3], v[2:3], -v[30:31]
	s_branch .LBB250_25
.LBB250_36:                             ;   in Loop: Header=BB250_6 Depth=1
	s_wait_xcnt 0x0
	s_and_saveexec_b32 s36, s0
	s_cbranch_execz .LBB250_4
; %bb.37:                               ;   in Loop: Header=BB250_6 Depth=1
	v_mad_nc_u64_u32 v[4:5], v10, s34, v[10:11]
	s_and_not1_b32 vcc_lo, exec_lo, s33
	s_delay_alu instid0(VALU_DEP_1) | instskip(NEXT) | instid1(VALU_DEP_1)
	v_mad_u32 v5, v10, s35, v5
	v_lshl_add_u64 v[4:5], v[4:5], 4, s[20:21]
	flat_load_b128 v[4:7], v[4:5]
	s_cbranch_vccnz .LBB250_3
; %bb.38:                               ;   in Loop: Header=BB250_6 Depth=1
	s_wait_loadcnt_dscnt 0x0
	v_cmp_ngt_f64_e64 s20, |v[4:5]|, |v[6:7]|
	s_wait_xcnt 0x0
	s_and_saveexec_b32 s21, s20
	s_delay_alu instid0(SALU_CYCLE_1)
	s_xor_b32 s20, exec_lo, s21
	s_cbranch_execz .LBB250_40
; %bb.39:                               ;   in Loop: Header=BB250_6 Depth=1
	v_div_scale_f64 v[20:21], null, v[6:7], v[6:7], v[4:5]
	v_div_scale_f64 v[30:31], vcc_lo, v[4:5], v[6:7], v[4:5]
	s_delay_alu instid0(VALU_DEP_2) | instskip(SKIP_1) | instid1(TRANS32_DEP_1)
	v_rcp_f64_e32 v[22:23], v[20:21]
	v_nop
	v_fma_f64 v[28:29], -v[20:21], v[22:23], 1.0
	s_delay_alu instid0(VALU_DEP_1) | instskip(NEXT) | instid1(VALU_DEP_1)
	v_fmac_f64_e32 v[22:23], v[22:23], v[28:29]
	v_fma_f64 v[28:29], -v[20:21], v[22:23], 1.0
	s_delay_alu instid0(VALU_DEP_1) | instskip(NEXT) | instid1(VALU_DEP_1)
	v_fmac_f64_e32 v[22:23], v[22:23], v[28:29]
	v_mul_f64_e32 v[28:29], v[30:31], v[22:23]
	s_delay_alu instid0(VALU_DEP_1) | instskip(NEXT) | instid1(VALU_DEP_1)
	v_fma_f64 v[20:21], -v[20:21], v[28:29], v[30:31]
	v_div_fmas_f64 v[20:21], v[20:21], v[22:23], v[28:29]
	s_delay_alu instid0(VALU_DEP_1) | instskip(NEXT) | instid1(VALU_DEP_1)
	v_div_fixup_f64 v[20:21], v[20:21], v[6:7], v[4:5]
	v_fmac_f64_e32 v[6:7], v[4:5], v[20:21]
	s_delay_alu instid0(VALU_DEP_1) | instskip(NEXT) | instid1(VALU_DEP_1)
	v_div_scale_f64 v[4:5], null, v[6:7], v[6:7], 1.0
	v_rcp_f64_e32 v[22:23], v[4:5]
	v_nop
	s_delay_alu instid0(TRANS32_DEP_1) | instskip(NEXT) | instid1(VALU_DEP_1)
	v_fma_f64 v[28:29], -v[4:5], v[22:23], 1.0
	v_fmac_f64_e32 v[22:23], v[22:23], v[28:29]
	s_delay_alu instid0(VALU_DEP_1) | instskip(NEXT) | instid1(VALU_DEP_1)
	v_fma_f64 v[28:29], -v[4:5], v[22:23], 1.0
	v_fmac_f64_e32 v[22:23], v[22:23], v[28:29]
	v_div_scale_f64 v[28:29], vcc_lo, 1.0, v[6:7], 1.0
	s_delay_alu instid0(VALU_DEP_1) | instskip(NEXT) | instid1(VALU_DEP_1)
	v_mul_f64_e32 v[30:31], v[28:29], v[22:23]
	v_fma_f64 v[4:5], -v[4:5], v[30:31], v[28:29]
	s_delay_alu instid0(VALU_DEP_1) | instskip(NEXT) | instid1(VALU_DEP_1)
	v_div_fmas_f64 v[4:5], v[4:5], v[22:23], v[30:31]
	v_div_fixup_f64 v[6:7], v[4:5], v[6:7], 1.0
	s_delay_alu instid0(VALU_DEP_1)
	v_mul_f64_e32 v[4:5], v[20:21], v[6:7]
	v_xor_b32_e32 v7, 0x80000000, v7
.LBB250_40:                             ;   in Loop: Header=BB250_6 Depth=1
	s_and_not1_saveexec_b32 s20, s20
	s_cbranch_execz .LBB250_2
; %bb.41:                               ;   in Loop: Header=BB250_6 Depth=1
	s_delay_alu instid0(VALU_DEP_1) | instskip(SKIP_1) | instid1(VALU_DEP_2)
	v_div_scale_f64 v[20:21], null, v[4:5], v[4:5], v[6:7]
	v_div_scale_f64 v[30:31], vcc_lo, v[6:7], v[4:5], v[6:7]
	v_rcp_f64_e32 v[22:23], v[20:21]
	v_nop
	s_delay_alu instid0(TRANS32_DEP_1) | instskip(NEXT) | instid1(VALU_DEP_1)
	v_fma_f64 v[28:29], -v[20:21], v[22:23], 1.0
	v_fmac_f64_e32 v[22:23], v[22:23], v[28:29]
	s_delay_alu instid0(VALU_DEP_1) | instskip(NEXT) | instid1(VALU_DEP_1)
	v_fma_f64 v[28:29], -v[20:21], v[22:23], 1.0
	v_fmac_f64_e32 v[22:23], v[22:23], v[28:29]
	s_delay_alu instid0(VALU_DEP_1) | instskip(NEXT) | instid1(VALU_DEP_1)
	v_mul_f64_e32 v[28:29], v[30:31], v[22:23]
	v_fma_f64 v[20:21], -v[20:21], v[28:29], v[30:31]
	s_delay_alu instid0(VALU_DEP_1) | instskip(NEXT) | instid1(VALU_DEP_1)
	v_div_fmas_f64 v[20:21], v[20:21], v[22:23], v[28:29]
	v_div_fixup_f64 v[20:21], v[20:21], v[4:5], v[6:7]
	s_delay_alu instid0(VALU_DEP_1) | instskip(NEXT) | instid1(VALU_DEP_1)
	v_fmac_f64_e32 v[4:5], v[6:7], v[20:21]
	v_div_scale_f64 v[6:7], null, v[4:5], v[4:5], 1.0
	s_delay_alu instid0(VALU_DEP_1) | instskip(SKIP_1) | instid1(TRANS32_DEP_1)
	v_rcp_f64_e32 v[22:23], v[6:7]
	v_nop
	v_fma_f64 v[28:29], -v[6:7], v[22:23], 1.0
	s_delay_alu instid0(VALU_DEP_1) | instskip(NEXT) | instid1(VALU_DEP_1)
	v_fmac_f64_e32 v[22:23], v[22:23], v[28:29]
	v_fma_f64 v[28:29], -v[6:7], v[22:23], 1.0
	s_delay_alu instid0(VALU_DEP_1) | instskip(SKIP_1) | instid1(VALU_DEP_1)
	v_fmac_f64_e32 v[22:23], v[22:23], v[28:29]
	v_div_scale_f64 v[28:29], vcc_lo, 1.0, v[4:5], 1.0
	v_mul_f64_e32 v[30:31], v[28:29], v[22:23]
	s_delay_alu instid0(VALU_DEP_1) | instskip(NEXT) | instid1(VALU_DEP_1)
	v_fma_f64 v[6:7], -v[6:7], v[30:31], v[28:29]
	v_div_fmas_f64 v[6:7], v[6:7], v[22:23], v[30:31]
	s_delay_alu instid0(VALU_DEP_1) | instskip(NEXT) | instid1(VALU_DEP_1)
	v_div_fixup_f64 v[4:5], v[6:7], v[4:5], 1.0
	v_mul_f64_e64 v[6:7], v[20:21], -v[4:5]
	s_branch .LBB250_2
.LBB250_42:
	s_endpgm
	.section	.rodata,"a",@progbits
	.p2align	6, 0x0
	.amdhsa_kernel _ZL40rocblas_trsm_block_backward_substitutionI19rocblas_complex_numIdES1_PKS1_PS1_Lb1ELb1ELb0EEv18rocblas_operation_llT0_T1_lllT2_lllib
		.amdhsa_group_segment_fixed_size 0
		.amdhsa_private_segment_fixed_size 0
		.amdhsa_kernarg_size 368
		.amdhsa_user_sgpr_count 2
		.amdhsa_user_sgpr_dispatch_ptr 0
		.amdhsa_user_sgpr_queue_ptr 0
		.amdhsa_user_sgpr_kernarg_segment_ptr 1
		.amdhsa_user_sgpr_dispatch_id 0
		.amdhsa_user_sgpr_kernarg_preload_length 0
		.amdhsa_user_sgpr_kernarg_preload_offset 0
		.amdhsa_user_sgpr_private_segment_size 0
		.amdhsa_wavefront_size32 1
		.amdhsa_uses_dynamic_stack 0
		.amdhsa_enable_private_segment 0
		.amdhsa_system_sgpr_workgroup_id_x 1
		.amdhsa_system_sgpr_workgroup_id_y 1
		.amdhsa_system_sgpr_workgroup_id_z 1
		.amdhsa_system_sgpr_workgroup_info 0
		.amdhsa_system_vgpr_workitem_id 1
		.amdhsa_next_free_vgpr 36
		.amdhsa_next_free_sgpr 48
		.amdhsa_named_barrier_count 0
		.amdhsa_reserve_vcc 1
		.amdhsa_float_round_mode_32 0
		.amdhsa_float_round_mode_16_64 0
		.amdhsa_float_denorm_mode_32 3
		.amdhsa_float_denorm_mode_16_64 3
		.amdhsa_fp16_overflow 0
		.amdhsa_memory_ordered 1
		.amdhsa_forward_progress 1
		.amdhsa_inst_pref_size 22
		.amdhsa_round_robin_scheduling 0
		.amdhsa_exception_fp_ieee_invalid_op 0
		.amdhsa_exception_fp_denorm_src 0
		.amdhsa_exception_fp_ieee_div_zero 0
		.amdhsa_exception_fp_ieee_overflow 0
		.amdhsa_exception_fp_ieee_underflow 0
		.amdhsa_exception_fp_ieee_inexact 0
		.amdhsa_exception_int_div_zero 0
	.end_amdhsa_kernel
	.section	.text._ZL40rocblas_trsm_block_backward_substitutionI19rocblas_complex_numIdES1_PKS1_PS1_Lb1ELb1ELb0EEv18rocblas_operation_llT0_T1_lllT2_lllib,"axG",@progbits,_ZL40rocblas_trsm_block_backward_substitutionI19rocblas_complex_numIdES1_PKS1_PS1_Lb1ELb1ELb0EEv18rocblas_operation_llT0_T1_lllT2_lllib,comdat
.Lfunc_end250:
	.size	_ZL40rocblas_trsm_block_backward_substitutionI19rocblas_complex_numIdES1_PKS1_PS1_Lb1ELb1ELb0EEv18rocblas_operation_llT0_T1_lllT2_lllib, .Lfunc_end250-_ZL40rocblas_trsm_block_backward_substitutionI19rocblas_complex_numIdES1_PKS1_PS1_Lb1ELb1ELb0EEv18rocblas_operation_llT0_T1_lllT2_lllib
                                        ; -- End function
	.set _ZL40rocblas_trsm_block_backward_substitutionI19rocblas_complex_numIdES1_PKS1_PS1_Lb1ELb1ELb0EEv18rocblas_operation_llT0_T1_lllT2_lllib.num_vgpr, 36
	.set _ZL40rocblas_trsm_block_backward_substitutionI19rocblas_complex_numIdES1_PKS1_PS1_Lb1ELb1ELb0EEv18rocblas_operation_llT0_T1_lllT2_lllib.num_agpr, 0
	.set _ZL40rocblas_trsm_block_backward_substitutionI19rocblas_complex_numIdES1_PKS1_PS1_Lb1ELb1ELb0EEv18rocblas_operation_llT0_T1_lllT2_lllib.numbered_sgpr, 48
	.set _ZL40rocblas_trsm_block_backward_substitutionI19rocblas_complex_numIdES1_PKS1_PS1_Lb1ELb1ELb0EEv18rocblas_operation_llT0_T1_lllT2_lllib.num_named_barrier, 0
	.set _ZL40rocblas_trsm_block_backward_substitutionI19rocblas_complex_numIdES1_PKS1_PS1_Lb1ELb1ELb0EEv18rocblas_operation_llT0_T1_lllT2_lllib.private_seg_size, 0
	.set _ZL40rocblas_trsm_block_backward_substitutionI19rocblas_complex_numIdES1_PKS1_PS1_Lb1ELb1ELb0EEv18rocblas_operation_llT0_T1_lllT2_lllib.uses_vcc, 1
	.set _ZL40rocblas_trsm_block_backward_substitutionI19rocblas_complex_numIdES1_PKS1_PS1_Lb1ELb1ELb0EEv18rocblas_operation_llT0_T1_lllT2_lllib.uses_flat_scratch, 0
	.set _ZL40rocblas_trsm_block_backward_substitutionI19rocblas_complex_numIdES1_PKS1_PS1_Lb1ELb1ELb0EEv18rocblas_operation_llT0_T1_lllT2_lllib.has_dyn_sized_stack, 0
	.set _ZL40rocblas_trsm_block_backward_substitutionI19rocblas_complex_numIdES1_PKS1_PS1_Lb1ELb1ELb0EEv18rocblas_operation_llT0_T1_lllT2_lllib.has_recursion, 0
	.set _ZL40rocblas_trsm_block_backward_substitutionI19rocblas_complex_numIdES1_PKS1_PS1_Lb1ELb1ELb0EEv18rocblas_operation_llT0_T1_lllT2_lllib.has_indirect_call, 0
	.section	.AMDGPU.csdata,"",@progbits
; Kernel info:
; codeLenInByte = 2740
; TotalNumSgprs: 50
; NumVgprs: 36
; ScratchSize: 0
; MemoryBound: 1
; FloatMode: 240
; IeeeMode: 1
; LDSByteSize: 0 bytes/workgroup (compile time only)
; SGPRBlocks: 0
; VGPRBlocks: 2
; NumSGPRsForWavesPerEU: 50
; NumVGPRsForWavesPerEU: 36
; NamedBarCnt: 0
; Occupancy: 16
; WaveLimiterHint : 0
; COMPUTE_PGM_RSRC2:SCRATCH_EN: 0
; COMPUTE_PGM_RSRC2:USER_SGPR: 2
; COMPUTE_PGM_RSRC2:TRAP_HANDLER: 0
; COMPUTE_PGM_RSRC2:TGID_X_EN: 1
; COMPUTE_PGM_RSRC2:TGID_Y_EN: 1
; COMPUTE_PGM_RSRC2:TGID_Z_EN: 1
; COMPUTE_PGM_RSRC2:TIDIG_COMP_CNT: 1
	.section	.text._ZL39rocblas_trsm_block_forward_substitutionI19rocblas_complex_numIdES1_PKS1_PS1_Lb1ELb1ELb1EEv18rocblas_operation_llT0_T1_lllT2_lllib,"axG",@progbits,_ZL39rocblas_trsm_block_forward_substitutionI19rocblas_complex_numIdES1_PKS1_PS1_Lb1ELb1ELb1EEv18rocblas_operation_llT0_T1_lllT2_lllib,comdat
	.globl	_ZL39rocblas_trsm_block_forward_substitutionI19rocblas_complex_numIdES1_PKS1_PS1_Lb1ELb1ELb1EEv18rocblas_operation_llT0_T1_lllT2_lllib ; -- Begin function _ZL39rocblas_trsm_block_forward_substitutionI19rocblas_complex_numIdES1_PKS1_PS1_Lb1ELb1ELb1EEv18rocblas_operation_llT0_T1_lllT2_lllib
	.p2align	8
	.type	_ZL39rocblas_trsm_block_forward_substitutionI19rocblas_complex_numIdES1_PKS1_PS1_Lb1ELb1ELb1EEv18rocblas_operation_llT0_T1_lllT2_lllib,@function
_ZL39rocblas_trsm_block_forward_substitutionI19rocblas_complex_numIdES1_PKS1_PS1_Lb1ELb1ELb1EEv18rocblas_operation_llT0_T1_lllT2_lllib: ; @_ZL39rocblas_trsm_block_forward_substitutionI19rocblas_complex_numIdES1_PKS1_PS1_Lb1ELb1ELb1EEv18rocblas_operation_llT0_T1_lllT2_lllib
; %bb.0:
	s_load_b64 s[28:29], s[0:1], 0x68
	s_bfe_u32 s2, ttmp6, 0x40014
	s_lshr_b32 s3, ttmp7, 16
	s_add_co_i32 s2, s2, 1
	s_bfe_u32 s4, ttmp6, 0x40008
	s_mul_i32 s2, s3, s2
	s_getreg_b32 s33, hwreg(HW_REG_IB_STS2, 6, 4)
	s_add_co_i32 s4, s4, s2
	s_cmp_eq_u32 s33, 0
	s_mov_b32 s31, 0
	s_cselect_b32 s30, s3, s4
	s_wait_kmcnt 0x0
	s_cmp_ge_u32 s30, s28
	s_cbranch_scc1 .LBB251_19
; %bb.1:
	s_clause 0x1
	s_load_b256 s[20:27], s[0:1], 0x48
	s_load_b32 s2, s[0:1], 0x0
	v_and_b32_e32 v4, 0x3ff, v0
	v_mov_b32_e32 v1, 0
	s_clause 0x1
	s_load_b512 s[4:19], s[0:1], 0x8
	s_load_u16 s3, s[0:1], 0x7e
	s_bitcmp1_b32 s29, 0
	v_dual_mov_b32 v5, v1 :: v_dual_lshlrev_b32 v6, 4, v4
	s_cselect_b32 s29, -1, 0
	s_mov_b64 s[34:35], src_shared_base
	v_bfe_u32 v7, v0, 10, 10
	s_delay_alu instid0(VALU_DEP_1)
	v_lshl_add_u32 v14, v7, 4, 0
	s_wait_kmcnt 0x0
	v_mul_u64_e32 v[2:3], s[24:25], v[4:5]
	s_cmp_eq_u32 s2, 0x71
	s_cselect_b32 s2, -1, 0
	s_lshl_b64 s[24:25], s[14:15], 4
	s_bfe_u32 s14, ttmp6, 0x40010
	s_and_b32 s34, ttmp7, 0xffff
	s_add_co_i32 s14, s14, 1
	s_bfe_u32 s15, ttmp6, 0x40004
	s_mul_i32 s14, s34, s14
	s_lshl_b64 s[36:37], s[22:23], 4
	s_add_co_i32 s22, s15, s14
	s_cmp_eq_u32 s33, 0
	s_add_nc_u64 s[14:15], s[0:1], 0x70
	s_cselect_b32 s0, s34, s22
	s_lshl_b32 s22, s3, 4
	v_mad_u32 v0, s0, s3, v7
	s_add_nc_u64 s[20:21], s[20:21], s[36:37]
	s_add_co_i32 s22, s22, 0
	v_cmp_gt_i64_e64 s1, s[4:5], 0
	v_add_nc_u32_e32 v15, s22, v6
	v_cmp_gt_i64_e64 s0, s[4:5], v[4:5]
	v_cmp_gt_i64_e64 s33, s[4:5], 1
	s_mov_b32 s23, s35
	v_cmp_gt_i64_e32 vcc_lo, s[6:7], v[0:1]
	s_add_nc_u64 s[6:7], s[12:13], s[24:25]
	s_add_nc_u64 s[12:13], s[4:5], -1
	v_lshl_add_u64 v[2:3], v[2:3], 4, s[20:21]
	s_mov_b64 s[20:21], 1
	s_and_b32 s36, vcc_lo, s0
	s_delay_alu instid0(VALU_DEP_1)
	v_lshl_add_u64 v[8:9], v[0:1], 4, v[2:3]
	s_branch .LBB251_4
.LBB251_2:                              ;   in Loop: Header=BB251_4 Depth=1
	global_store_b128 v[10:11], v[0:3], off
.LBB251_3:                              ;   in Loop: Header=BB251_4 Depth=1
	s_wait_xcnt 0x0
	s_or_b32 exec_lo, exec_lo, s37
	s_add_co_i32 s30, s30, 0x10000
	s_delay_alu instid0(SALU_CYCLE_1)
	s_cmp_lt_u32 s30, s28
	s_cbranch_scc0 .LBB251_19
.LBB251_4:                              ; =>This Loop Header: Depth=1
                                        ;     Child Loop BB251_9 Depth 2
                                        ;     Child Loop BB251_15 Depth 2
	s_mul_u64 s[24:25], s[18:19], s[30:31]
	s_and_not1_b32 vcc_lo, exec_lo, s29
	s_lshl_b64 s[24:25], s[24:25], 4
	s_delay_alu instid0(SALU_CYCLE_1)
	s_add_nc_u64 s[24:25], s[6:7], s[24:25]
	s_cbranch_vccz .LBB251_6
; %bb.5:                                ;   in Loop: Header=BB251_4 Depth=1
	s_and_saveexec_b32 s37, s36
	s_cbranch_execz .LBB251_3
	s_branch .LBB251_12
.LBB251_6:                              ;   in Loop: Header=BB251_4 Depth=1
	s_and_not1_b32 vcc_lo, exec_lo, s1
	s_cbranch_vccnz .LBB251_11
; %bb.7:                                ;   in Loop: Header=BB251_4 Depth=1
	v_mul_u64_e32 v[0:1], s[16:17], v[4:5]
	s_mov_b32 s16, 0
	s_delay_alu instid0(VALU_DEP_1)
	v_lshl_add_u64 v[0:1], v[0:1], 4, s[24:25]
	s_branch .LBB251_9
.LBB251_8:                              ;   in Loop: Header=BB251_9 Depth=2
	s_wait_xcnt 0x0
	s_or_b32 exec_lo, exec_lo, s17
	s_add_co_i32 s16, s16, s3
	s_delay_alu instid0(SALU_CYCLE_1) | instskip(NEXT) | instid1(SALU_CYCLE_1)
	s_ashr_i32 s17, s16, 31
	v_cmp_le_i64_e64 s17, s[4:5], s[16:17]
	s_and_b32 vcc_lo, exec_lo, s17
	s_cbranch_vccnz .LBB251_11
.LBB251_9:                              ;   Parent Loop BB251_4 Depth=1
                                        ; =>  This Inner Loop Header: Depth=2
	v_add_nc_u32_e32 v2, s16, v7
	s_delay_alu instid0(VALU_DEP_1) | instskip(SKIP_1) | instid1(SALU_CYCLE_1)
	v_cmp_gt_i32_e32 vcc_lo, v4, v2
	s_and_b32 s24, s0, vcc_lo
	s_and_saveexec_b32 s17, s24
	s_cbranch_execz .LBB251_8
; %bb.10:                               ;   in Loop: Header=BB251_9 Depth=2
	v_ashrrev_i32_e32 v3, 31, v2
	s_load_b32 s24, s[14:15], 0xc
	s_delay_alu instid0(VALU_DEP_1) | instskip(SKIP_2) | instid1(SALU_CYCLE_1)
	v_mul_u64_e32 v[10:11], s[20:21], v[2:3]
	s_wait_kmcnt 0x0
	s_and_b32 s24, s24, 0xffff
	v_mul_lo_u32 v2, v2, s24
	s_delay_alu instid0(VALU_DEP_1) | instskip(NEXT) | instid1(VALU_DEP_3)
	v_lshl_add_u32 v2, v2, 4, v15
	v_lshl_add_u64 v[10:11], v[10:11], 4, v[0:1]
	global_load_b128 v[10:13], v[10:11], off
	s_wait_loadcnt 0x0
	ds_store_2addr_b64 v2, v[10:11], v[12:13] offset1:1
	s_branch .LBB251_8
.LBB251_11:                             ;   in Loop: Header=BB251_4 Depth=1
	s_load_b32 s20, s[14:15], 0xc
	s_mov_b32 s21, s31
	s_mov_b64 s[16:17], 1
	s_mov_b64 s[24:25], s[22:23]
	s_wait_kmcnt 0x0
	s_and_b32 s20, s20, 0xffff
	s_and_saveexec_b32 s37, s36
	s_cbranch_execz .LBB251_3
.LBB251_12:                             ;   in Loop: Header=BB251_4 Depth=1
	s_mul_u64 s[34:35], s[26:27], s[30:31]
	s_and_not1_b32 vcc_lo, exec_lo, s33
	v_lshl_add_u64 v[10:11], s[34:35], 4, v[8:9]
	global_load_b128 v[16:19], v[10:11], off
	s_wait_loadcnt 0x0
	v_mul_f64_e32 v[0:1], s[10:11], v[18:19]
	v_mul_f64_e32 v[2:3], s[8:9], v[18:19]
	s_delay_alu instid0(VALU_DEP_2) | instskip(NEXT) | instid1(VALU_DEP_2)
	v_fma_f64 v[0:1], s[8:9], v[16:17], -v[0:1]
	v_fmac_f64_e32 v[2:3], s[10:11], v[16:17]
	s_cbranch_vccnz .LBB251_2
; %bb.13:                               ;   in Loop: Header=BB251_4 Depth=1
	v_mad_nc_u64_u32 v[12:13], v6, s16, s[24:25]
	s_lshl_b64 s[24:25], s[20:21], 4
	s_mov_b64 s[34:35], 0
	s_delay_alu instid0(VALU_DEP_1) | instskip(NEXT) | instid1(VALU_DEP_1)
	v_mad_u32 v13, v6, s17, v13
	v_add_nc_u64_e32 v[12:13], 8, v[12:13]
	s_branch .LBB251_15
.LBB251_14:                             ;   in Loop: Header=BB251_15 Depth=2
	s_wait_xcnt 0x0
	s_or_b32 exec_lo, exec_lo, s38
	v_add_nc_u64_e32 v[12:13], s[24:25], v[12:13]
	s_add_nc_u64 s[34:35], s[34:35], 1
	s_delay_alu instid0(SALU_CYCLE_1)
	s_cmp_eq_u64 s[12:13], s[34:35]
	s_cbranch_scc1 .LBB251_2
.LBB251_15:                             ;   Parent Loop BB251_4 Depth=1
                                        ; =>  This Inner Loop Header: Depth=2
	s_mov_b32 s38, exec_lo
	s_wait_dscnt 0x0
	s_barrier_signal -1
	s_barrier_wait -1
	s_wait_xcnt 0x0
	v_cmpx_eq_u64_e64 s[34:35], v[4:5]
; %bb.16:                               ;   in Loop: Header=BB251_15 Depth=2
	ds_store_2addr_b64 v14, v[0:1], v[2:3] offset1:1
; %bb.17:                               ;   in Loop: Header=BB251_15 Depth=2
	s_or_b32 exec_lo, exec_lo, s38
	s_delay_alu instid0(SALU_CYCLE_1)
	s_mov_b32 s38, exec_lo
	s_wait_dscnt 0x0
	s_barrier_signal -1
	s_barrier_wait -1
	v_cmpx_lt_u64_e64 s[34:35], v[4:5]
	s_cbranch_execz .LBB251_14
; %bb.18:                               ;   in Loop: Header=BB251_15 Depth=2
	flat_load_b128 v[16:19], v[12:13] offset:-8
	ds_load_2addr_b64 v[20:23], v14 offset1:1
	s_wait_loadcnt_dscnt 0x1
	v_xor_b32_e32 v24, 0x80000000, v19
	s_delay_alu instid0(VALU_DEP_1) | instskip(SKIP_1) | instid1(VALU_DEP_1)
	v_cndmask_b32_e64 v19, v19, v24, s2
	s_wait_dscnt 0x0
	v_mul_f64_e32 v[24:25], v[18:19], v[22:23]
	v_mul_f64_e32 v[22:23], v[16:17], v[22:23]
	s_delay_alu instid0(VALU_DEP_2) | instskip(NEXT) | instid1(VALU_DEP_2)
	v_fma_f64 v[16:17], v[16:17], v[20:21], -v[24:25]
	v_fmac_f64_e32 v[22:23], v[18:19], v[20:21]
	s_delay_alu instid0(VALU_DEP_2) | instskip(NEXT) | instid1(VALU_DEP_2)
	v_add_f64_e64 v[0:1], v[0:1], -v[16:17]
	v_add_f64_e64 v[2:3], v[2:3], -v[22:23]
	s_branch .LBB251_14
.LBB251_19:
	s_endpgm
	.section	.rodata,"a",@progbits
	.p2align	6, 0x0
	.amdhsa_kernel _ZL39rocblas_trsm_block_forward_substitutionI19rocblas_complex_numIdES1_PKS1_PS1_Lb1ELb1ELb1EEv18rocblas_operation_llT0_T1_lllT2_lllib
		.amdhsa_group_segment_fixed_size 0
		.amdhsa_private_segment_fixed_size 0
		.amdhsa_kernarg_size 368
		.amdhsa_user_sgpr_count 2
		.amdhsa_user_sgpr_dispatch_ptr 0
		.amdhsa_user_sgpr_queue_ptr 0
		.amdhsa_user_sgpr_kernarg_segment_ptr 1
		.amdhsa_user_sgpr_dispatch_id 0
		.amdhsa_user_sgpr_kernarg_preload_length 0
		.amdhsa_user_sgpr_kernarg_preload_offset 0
		.amdhsa_user_sgpr_private_segment_size 0
		.amdhsa_wavefront_size32 1
		.amdhsa_uses_dynamic_stack 0
		.amdhsa_enable_private_segment 0
		.amdhsa_system_sgpr_workgroup_id_x 1
		.amdhsa_system_sgpr_workgroup_id_y 1
		.amdhsa_system_sgpr_workgroup_id_z 1
		.amdhsa_system_sgpr_workgroup_info 0
		.amdhsa_system_vgpr_workitem_id 1
		.amdhsa_next_free_vgpr 26
		.amdhsa_next_free_sgpr 39
		.amdhsa_named_barrier_count 0
		.amdhsa_reserve_vcc 1
		.amdhsa_float_round_mode_32 0
		.amdhsa_float_round_mode_16_64 0
		.amdhsa_float_denorm_mode_32 3
		.amdhsa_float_denorm_mode_16_64 3
		.amdhsa_fp16_overflow 0
		.amdhsa_memory_ordered 1
		.amdhsa_forward_progress 1
		.amdhsa_inst_pref_size 8
		.amdhsa_round_robin_scheduling 0
		.amdhsa_exception_fp_ieee_invalid_op 0
		.amdhsa_exception_fp_denorm_src 0
		.amdhsa_exception_fp_ieee_div_zero 0
		.amdhsa_exception_fp_ieee_overflow 0
		.amdhsa_exception_fp_ieee_underflow 0
		.amdhsa_exception_fp_ieee_inexact 0
		.amdhsa_exception_int_div_zero 0
	.end_amdhsa_kernel
	.section	.text._ZL39rocblas_trsm_block_forward_substitutionI19rocblas_complex_numIdES1_PKS1_PS1_Lb1ELb1ELb1EEv18rocblas_operation_llT0_T1_lllT2_lllib,"axG",@progbits,_ZL39rocblas_trsm_block_forward_substitutionI19rocblas_complex_numIdES1_PKS1_PS1_Lb1ELb1ELb1EEv18rocblas_operation_llT0_T1_lllT2_lllib,comdat
.Lfunc_end251:
	.size	_ZL39rocblas_trsm_block_forward_substitutionI19rocblas_complex_numIdES1_PKS1_PS1_Lb1ELb1ELb1EEv18rocblas_operation_llT0_T1_lllT2_lllib, .Lfunc_end251-_ZL39rocblas_trsm_block_forward_substitutionI19rocblas_complex_numIdES1_PKS1_PS1_Lb1ELb1ELb1EEv18rocblas_operation_llT0_T1_lllT2_lllib
                                        ; -- End function
	.set _ZL39rocblas_trsm_block_forward_substitutionI19rocblas_complex_numIdES1_PKS1_PS1_Lb1ELb1ELb1EEv18rocblas_operation_llT0_T1_lllT2_lllib.num_vgpr, 26
	.set _ZL39rocblas_trsm_block_forward_substitutionI19rocblas_complex_numIdES1_PKS1_PS1_Lb1ELb1ELb1EEv18rocblas_operation_llT0_T1_lllT2_lllib.num_agpr, 0
	.set _ZL39rocblas_trsm_block_forward_substitutionI19rocblas_complex_numIdES1_PKS1_PS1_Lb1ELb1ELb1EEv18rocblas_operation_llT0_T1_lllT2_lllib.numbered_sgpr, 39
	.set _ZL39rocblas_trsm_block_forward_substitutionI19rocblas_complex_numIdES1_PKS1_PS1_Lb1ELb1ELb1EEv18rocblas_operation_llT0_T1_lllT2_lllib.num_named_barrier, 0
	.set _ZL39rocblas_trsm_block_forward_substitutionI19rocblas_complex_numIdES1_PKS1_PS1_Lb1ELb1ELb1EEv18rocblas_operation_llT0_T1_lllT2_lllib.private_seg_size, 0
	.set _ZL39rocblas_trsm_block_forward_substitutionI19rocblas_complex_numIdES1_PKS1_PS1_Lb1ELb1ELb1EEv18rocblas_operation_llT0_T1_lllT2_lllib.uses_vcc, 1
	.set _ZL39rocblas_trsm_block_forward_substitutionI19rocblas_complex_numIdES1_PKS1_PS1_Lb1ELb1ELb1EEv18rocblas_operation_llT0_T1_lllT2_lllib.uses_flat_scratch, 0
	.set _ZL39rocblas_trsm_block_forward_substitutionI19rocblas_complex_numIdES1_PKS1_PS1_Lb1ELb1ELb1EEv18rocblas_operation_llT0_T1_lllT2_lllib.has_dyn_sized_stack, 0
	.set _ZL39rocblas_trsm_block_forward_substitutionI19rocblas_complex_numIdES1_PKS1_PS1_Lb1ELb1ELb1EEv18rocblas_operation_llT0_T1_lllT2_lllib.has_recursion, 0
	.set _ZL39rocblas_trsm_block_forward_substitutionI19rocblas_complex_numIdES1_PKS1_PS1_Lb1ELb1ELb1EEv18rocblas_operation_llT0_T1_lllT2_lllib.has_indirect_call, 0
	.section	.AMDGPU.csdata,"",@progbits
; Kernel info:
; codeLenInByte = 928
; TotalNumSgprs: 41
; NumVgprs: 26
; ScratchSize: 0
; MemoryBound: 0
; FloatMode: 240
; IeeeMode: 1
; LDSByteSize: 0 bytes/workgroup (compile time only)
; SGPRBlocks: 0
; VGPRBlocks: 1
; NumSGPRsForWavesPerEU: 41
; NumVGPRsForWavesPerEU: 26
; NamedBarCnt: 0
; Occupancy: 16
; WaveLimiterHint : 0
; COMPUTE_PGM_RSRC2:SCRATCH_EN: 0
; COMPUTE_PGM_RSRC2:USER_SGPR: 2
; COMPUTE_PGM_RSRC2:TRAP_HANDLER: 0
; COMPUTE_PGM_RSRC2:TGID_X_EN: 1
; COMPUTE_PGM_RSRC2:TGID_Y_EN: 1
; COMPUTE_PGM_RSRC2:TGID_Z_EN: 1
; COMPUTE_PGM_RSRC2:TIDIG_COMP_CNT: 1
	.section	.text._ZL40rocblas_trsm_block_backward_substitutionI19rocblas_complex_numIdES1_PKS1_PS1_Lb1ELb1ELb1EEv18rocblas_operation_llT0_T1_lllT2_lllib,"axG",@progbits,_ZL40rocblas_trsm_block_backward_substitutionI19rocblas_complex_numIdES1_PKS1_PS1_Lb1ELb1ELb1EEv18rocblas_operation_llT0_T1_lllT2_lllib,comdat
	.globl	_ZL40rocblas_trsm_block_backward_substitutionI19rocblas_complex_numIdES1_PKS1_PS1_Lb1ELb1ELb1EEv18rocblas_operation_llT0_T1_lllT2_lllib ; -- Begin function _ZL40rocblas_trsm_block_backward_substitutionI19rocblas_complex_numIdES1_PKS1_PS1_Lb1ELb1ELb1EEv18rocblas_operation_llT0_T1_lllT2_lllib
	.p2align	8
	.type	_ZL40rocblas_trsm_block_backward_substitutionI19rocblas_complex_numIdES1_PKS1_PS1_Lb1ELb1ELb1EEv18rocblas_operation_llT0_T1_lllT2_lllib,@function
_ZL40rocblas_trsm_block_backward_substitutionI19rocblas_complex_numIdES1_PKS1_PS1_Lb1ELb1ELb1EEv18rocblas_operation_llT0_T1_lllT2_lllib: ; @_ZL40rocblas_trsm_block_backward_substitutionI19rocblas_complex_numIdES1_PKS1_PS1_Lb1ELb1ELb1EEv18rocblas_operation_llT0_T1_lllT2_lllib
; %bb.0:
	s_load_b64 s[28:29], s[0:1], 0x68
	s_bfe_u32 s2, ttmp6, 0x40014
	s_lshr_b32 s3, ttmp7, 16
	s_add_co_i32 s2, s2, 1
	s_bfe_u32 s4, ttmp6, 0x40008
	s_mul_i32 s2, s3, s2
	s_getreg_b32 s33, hwreg(HW_REG_IB_STS2, 6, 4)
	s_add_co_i32 s4, s4, s2
	s_cmp_eq_u32 s33, 0
	s_mov_b32 s31, 0
	s_cselect_b32 s30, s3, s4
	s_wait_kmcnt 0x0
	s_cmp_ge_u32 s30, s28
	s_cbranch_scc1 .LBB252_19
; %bb.1:
	s_clause 0x3
	s_load_b32 s2, s[0:1], 0x0
	s_load_b512 s[4:19], s[0:1], 0x8
	s_load_b256 s[20:27], s[0:1], 0x48
	s_load_u16 s3, s[0:1], 0x7e
	s_bitcmp1_b32 s29, 0
	s_mov_b64 s[34:35], src_shared_base
	s_cselect_b32 s29, -1, 0
	v_bfe_u32 v16, v0, 10, 10
	v_and_b32_e32 v6, 0x3ff, v0
	v_mov_b32_e32 v5, 0
	s_delay_alu instid0(VALU_DEP_3) | instskip(NEXT) | instid1(VALU_DEP_2)
	v_lshl_add_u32 v17, v16, 4, 0
	v_dual_mov_b32 v7, v5 :: v_dual_lshlrev_b32 v0, 4, v6
	v_dual_mov_b32 v1, v5 :: v_dual_mov_b32 v9, v5
	s_delay_alu instid0(VALU_DEP_2)
	v_or_b32_e32 v8, 8, v0
	s_wait_kmcnt 0x0
	s_cmp_eq_u32 s2, 0x71
	s_cselect_b32 s2, -1, 0
	s_lshl_b64 s[36:37], s[14:15], 4
	s_bfe_u32 s14, ttmp6, 0x40010
	s_and_b32 s15, ttmp7, 0xffff
	s_add_co_i32 s14, s14, 1
	s_bfe_u32 s34, ttmp6, 0x40004
	s_mul_i32 s14, s15, s14
	s_lshl_b64 s[38:39], s[22:23], 4
	s_add_co_i32 s34, s34, s14
	s_cmp_eq_u32 s33, 0
	s_add_nc_u64 s[20:21], s[20:21], s[38:39]
	s_cselect_b32 s14, s15, s34
	v_cmp_gt_i64_e64 s33, s[4:5], 0
	v_mad_u32 v4, s14, s3, v16
	s_add_nc_u64 s[14:15], s[0:1], 0x70
	v_cmp_gt_i64_e64 s0, s[4:5], v[6:7]
	s_lshl_b32 s1, s3, 4
	s_add_nc_u64 s[12:13], s[12:13], s[36:37]
	s_add_co_i32 s22, s1, 0
	v_cmp_gt_i64_e64 s36, s[4:5], 1
	v_add_nc_u32_e32 v18, s22, v0
	s_mov_b32 s23, s35
	v_mul_u64_e32 v[2:3], s[24:25], v[4:5]
	v_cmp_gt_i64_e32 vcc_lo, s[6:7], v[4:5]
	v_lshlrev_b32_e32 v4, 4, v6
	s_add_nc_u64 s[6:7], s[4:5], -1
	s_and_b32 s37, vcc_lo, s0
	s_delay_alu instid0(VALU_DEP_3) | instskip(SKIP_1) | instid1(VALU_DEP_1)
	v_lshl_add_u64 v[2:3], v[2:3], 4, s[20:21]
	s_lshl_b64 s[20:21], s[6:7], 4
	v_add_nc_u64_e32 v[10:11], v[2:3], v[0:1]
	s_branch .LBB252_4
.LBB252_2:                              ;   in Loop: Header=BB252_4 Depth=1
	global_store_b128 v[12:13], v[0:3], off
.LBB252_3:                              ;   in Loop: Header=BB252_4 Depth=1
	s_wait_xcnt 0x0
	s_or_b32 exec_lo, exec_lo, s1
	s_add_co_i32 s30, s30, 0x10000
	s_delay_alu instid0(SALU_CYCLE_1)
	s_cmp_lt_u32 s30, s28
	s_cbranch_scc0 .LBB252_19
.LBB252_4:                              ; =>This Loop Header: Depth=1
                                        ;     Child Loop BB252_8 Depth 2
                                        ;     Child Loop BB252_15 Depth 2
	s_mul_u64 s[24:25], s[18:19], s[30:31]
	s_and_not1_b32 vcc_lo, exec_lo, s29
	s_lshl_b64 s[24:25], s[24:25], 4
	s_delay_alu instid0(SALU_CYCLE_1)
	s_add_nc_u64 s[34:35], s[12:13], s[24:25]
	s_cbranch_vccnz .LBB252_10
; %bb.5:                                ;   in Loop: Header=BB252_4 Depth=1
	s_and_not1_b32 vcc_lo, exec_lo, s33
	s_cbranch_vccnz .LBB252_11
; %bb.6:                                ;   in Loop: Header=BB252_4 Depth=1
	v_add_nc_u64_e32 v[0:1], s[34:35], v[4:5]
	s_mov_b32 s24, 0
	s_branch .LBB252_8
.LBB252_7:                              ;   in Loop: Header=BB252_8 Depth=2
	s_wait_xcnt 0x0
	s_or_b32 exec_lo, exec_lo, s1
	s_add_co_i32 s24, s24, s3
	s_delay_alu instid0(SALU_CYCLE_1) | instskip(NEXT) | instid1(SALU_CYCLE_1)
	s_ashr_i32 s25, s24, 31
	v_cmp_le_i64_e64 s1, s[4:5], s[24:25]
	s_and_b32 vcc_lo, exec_lo, s1
	s_cbranch_vccnz .LBB252_11
.LBB252_8:                              ;   Parent Loop BB252_4 Depth=1
                                        ; =>  This Inner Loop Header: Depth=2
	v_add_nc_u32_e32 v2, s24, v16
	s_delay_alu instid0(VALU_DEP_1) | instskip(SKIP_1) | instid1(VALU_DEP_2)
	v_ashrrev_i32_e32 v3, 31, v2
	v_cmp_lt_i32_e64 s1, v6, v2
	v_cmp_gt_i64_e32 vcc_lo, s[4:5], v[2:3]
	s_and_b32 s1, s1, vcc_lo
	s_delay_alu instid0(SALU_CYCLE_1) | instskip(NEXT) | instid1(SALU_CYCLE_1)
	s_and_b32 s25, s0, s1
	s_and_saveexec_b32 s1, s25
	s_cbranch_execz .LBB252_7
; %bb.9:                                ;   in Loop: Header=BB252_8 Depth=2
	v_mul_u64_e32 v[12:13], s[16:17], v[2:3]
	s_load_b32 s25, s[14:15], 0xc
	s_wait_kmcnt 0x0
	s_and_b32 s25, s25, 0xffff
	s_delay_alu instid0(SALU_CYCLE_1) | instskip(NEXT) | instid1(VALU_DEP_2)
	v_mul_lo_u32 v2, v2, s25
	v_lshl_add_u64 v[12:13], v[12:13], 4, v[0:1]
	s_delay_alu instid0(VALU_DEP_2)
	v_lshl_add_u32 v2, v2, 4, v18
	global_load_b128 v[12:15], v[12:13], off
	s_wait_loadcnt 0x0
	ds_store_2addr_b64 v2, v[12:13], v[14:15] offset1:1
	s_branch .LBB252_7
.LBB252_10:                             ;   in Loop: Header=BB252_4 Depth=1
	s_mov_b64 s[24:25], s[16:17]
	s_and_saveexec_b32 s1, s37
	s_cbranch_execz .LBB252_3
	s_branch .LBB252_12
.LBB252_11:                             ;   in Loop: Header=BB252_4 Depth=1
	s_load_b32 s1, s[14:15], 0xc
	s_mov_b32 s25, s31
	s_mov_b64 s[34:35], s[22:23]
	s_wait_kmcnt 0x0
	s_and_b32 s24, s1, 0xffff
	s_and_saveexec_b32 s1, s37
	s_cbranch_execz .LBB252_3
.LBB252_12:                             ;   in Loop: Header=BB252_4 Depth=1
	s_mul_u64 s[38:39], s[26:27], s[30:31]
	s_and_not1_b32 vcc_lo, exec_lo, s36
	v_lshl_add_u64 v[12:13], s[38:39], 4, v[10:11]
	global_load_b128 v[20:23], v[12:13], off
	s_wait_loadcnt 0x0
	v_mul_f64_e32 v[0:1], s[10:11], v[22:23]
	v_mul_f64_e32 v[2:3], s[8:9], v[22:23]
	s_delay_alu instid0(VALU_DEP_2) | instskip(NEXT) | instid1(VALU_DEP_2)
	v_fma_f64 v[0:1], s[8:9], v[20:21], -v[0:1]
	v_fmac_f64_e32 v[2:3], s[10:11], v[20:21]
	s_cbranch_vccnz .LBB252_2
; %bb.13:                               ;   in Loop: Header=BB252_4 Depth=1
	v_add_nc_u64_e32 v[14:15], s[34:35], v[8:9]
	s_mul_i32 s34, s21, s24
	s_mul_i32 s35, s20, s25
	s_delay_alu instid0(VALU_DEP_1) | instskip(SKIP_1) | instid1(SALU_CYCLE_1)
	v_mad_nc_u64_u32 v[14:15], s20, s24, v[14:15]
	s_lshl_b64 s[24:25], s[24:25], 4
	s_sub_nc_u64 s[24:25], 0, s[24:25]
	s_delay_alu instid0(VALU_DEP_1)
	v_add3_u32 v15, s35, s34, v15
	s_mov_b64 s[34:35], s[6:7]
	s_branch .LBB252_15
.LBB252_14:                             ;   in Loop: Header=BB252_15 Depth=2
	s_wait_xcnt 0x0
	s_or_b32 exec_lo, exec_lo, s38
	s_add_nc_u64 s[38:39], s[34:35], 1
	v_add_nc_u64_e32 v[14:15], s[24:25], v[14:15]
	v_cmp_lt_u64_e64 s38, s[38:39], 3
	s_add_nc_u64 s[34:35], s[34:35], -1
	s_and_b32 vcc_lo, exec_lo, s38
	s_cbranch_vccnz .LBB252_2
.LBB252_15:                             ;   Parent Loop BB252_4 Depth=1
                                        ; =>  This Inner Loop Header: Depth=2
	s_mov_b32 s38, exec_lo
	s_wait_dscnt 0x0
	s_barrier_signal -1
	s_barrier_wait -1
	s_wait_xcnt 0x0
	v_cmpx_eq_u64_e64 s[34:35], v[6:7]
; %bb.16:                               ;   in Loop: Header=BB252_15 Depth=2
	ds_store_2addr_b64 v17, v[0:1], v[2:3] offset1:1
; %bb.17:                               ;   in Loop: Header=BB252_15 Depth=2
	s_or_b32 exec_lo, exec_lo, s38
	s_delay_alu instid0(SALU_CYCLE_1)
	s_mov_b32 s38, exec_lo
	s_wait_dscnt 0x0
	s_barrier_signal -1
	s_barrier_wait -1
	v_cmpx_gt_i64_e64 s[34:35], v[6:7]
	s_cbranch_execz .LBB252_14
; %bb.18:                               ;   in Loop: Header=BB252_15 Depth=2
	flat_load_b128 v[20:23], v[14:15] offset:-8
	ds_load_2addr_b64 v[24:27], v17 offset1:1
	s_wait_loadcnt_dscnt 0x1
	v_xor_b32_e32 v19, 0x80000000, v23
	s_delay_alu instid0(VALU_DEP_1) | instskip(SKIP_1) | instid1(VALU_DEP_1)
	v_cndmask_b32_e64 v23, v23, v19, s2
	s_wait_dscnt 0x0
	v_mul_f64_e32 v[28:29], v[22:23], v[26:27]
	v_mul_f64_e32 v[26:27], v[20:21], v[26:27]
	s_delay_alu instid0(VALU_DEP_2) | instskip(NEXT) | instid1(VALU_DEP_2)
	v_fma_f64 v[20:21], v[20:21], v[24:25], -v[28:29]
	v_fmac_f64_e32 v[26:27], v[22:23], v[24:25]
	s_delay_alu instid0(VALU_DEP_2) | instskip(NEXT) | instid1(VALU_DEP_2)
	v_add_f64_e64 v[0:1], v[0:1], -v[20:21]
	v_add_f64_e64 v[2:3], v[2:3], -v[26:27]
	s_branch .LBB252_14
.LBB252_19:
	s_endpgm
	.section	.rodata,"a",@progbits
	.p2align	6, 0x0
	.amdhsa_kernel _ZL40rocblas_trsm_block_backward_substitutionI19rocblas_complex_numIdES1_PKS1_PS1_Lb1ELb1ELb1EEv18rocblas_operation_llT0_T1_lllT2_lllib
		.amdhsa_group_segment_fixed_size 0
		.amdhsa_private_segment_fixed_size 0
		.amdhsa_kernarg_size 368
		.amdhsa_user_sgpr_count 2
		.amdhsa_user_sgpr_dispatch_ptr 0
		.amdhsa_user_sgpr_queue_ptr 0
		.amdhsa_user_sgpr_kernarg_segment_ptr 1
		.amdhsa_user_sgpr_dispatch_id 0
		.amdhsa_user_sgpr_kernarg_preload_length 0
		.amdhsa_user_sgpr_kernarg_preload_offset 0
		.amdhsa_user_sgpr_private_segment_size 0
		.amdhsa_wavefront_size32 1
		.amdhsa_uses_dynamic_stack 0
		.amdhsa_enable_private_segment 0
		.amdhsa_system_sgpr_workgroup_id_x 1
		.amdhsa_system_sgpr_workgroup_id_y 1
		.amdhsa_system_sgpr_workgroup_id_z 1
		.amdhsa_system_sgpr_workgroup_info 0
		.amdhsa_system_vgpr_workitem_id 1
		.amdhsa_next_free_vgpr 30
		.amdhsa_next_free_sgpr 40
		.amdhsa_named_barrier_count 0
		.amdhsa_reserve_vcc 1
		.amdhsa_float_round_mode_32 0
		.amdhsa_float_round_mode_16_64 0
		.amdhsa_float_denorm_mode_32 3
		.amdhsa_float_denorm_mode_16_64 3
		.amdhsa_fp16_overflow 0
		.amdhsa_memory_ordered 1
		.amdhsa_forward_progress 1
		.amdhsa_inst_pref_size 8
		.amdhsa_round_robin_scheduling 0
		.amdhsa_exception_fp_ieee_invalid_op 0
		.amdhsa_exception_fp_denorm_src 0
		.amdhsa_exception_fp_ieee_div_zero 0
		.amdhsa_exception_fp_ieee_overflow 0
		.amdhsa_exception_fp_ieee_underflow 0
		.amdhsa_exception_fp_ieee_inexact 0
		.amdhsa_exception_int_div_zero 0
	.end_amdhsa_kernel
	.section	.text._ZL40rocblas_trsm_block_backward_substitutionI19rocblas_complex_numIdES1_PKS1_PS1_Lb1ELb1ELb1EEv18rocblas_operation_llT0_T1_lllT2_lllib,"axG",@progbits,_ZL40rocblas_trsm_block_backward_substitutionI19rocblas_complex_numIdES1_PKS1_PS1_Lb1ELb1ELb1EEv18rocblas_operation_llT0_T1_lllT2_lllib,comdat
.Lfunc_end252:
	.size	_ZL40rocblas_trsm_block_backward_substitutionI19rocblas_complex_numIdES1_PKS1_PS1_Lb1ELb1ELb1EEv18rocblas_operation_llT0_T1_lllT2_lllib, .Lfunc_end252-_ZL40rocblas_trsm_block_backward_substitutionI19rocblas_complex_numIdES1_PKS1_PS1_Lb1ELb1ELb1EEv18rocblas_operation_llT0_T1_lllT2_lllib
                                        ; -- End function
	.set _ZL40rocblas_trsm_block_backward_substitutionI19rocblas_complex_numIdES1_PKS1_PS1_Lb1ELb1ELb1EEv18rocblas_operation_llT0_T1_lllT2_lllib.num_vgpr, 30
	.set _ZL40rocblas_trsm_block_backward_substitutionI19rocblas_complex_numIdES1_PKS1_PS1_Lb1ELb1ELb1EEv18rocblas_operation_llT0_T1_lllT2_lllib.num_agpr, 0
	.set _ZL40rocblas_trsm_block_backward_substitutionI19rocblas_complex_numIdES1_PKS1_PS1_Lb1ELb1ELb1EEv18rocblas_operation_llT0_T1_lllT2_lllib.numbered_sgpr, 40
	.set _ZL40rocblas_trsm_block_backward_substitutionI19rocblas_complex_numIdES1_PKS1_PS1_Lb1ELb1ELb1EEv18rocblas_operation_llT0_T1_lllT2_lllib.num_named_barrier, 0
	.set _ZL40rocblas_trsm_block_backward_substitutionI19rocblas_complex_numIdES1_PKS1_PS1_Lb1ELb1ELb1EEv18rocblas_operation_llT0_T1_lllT2_lllib.private_seg_size, 0
	.set _ZL40rocblas_trsm_block_backward_substitutionI19rocblas_complex_numIdES1_PKS1_PS1_Lb1ELb1ELb1EEv18rocblas_operation_llT0_T1_lllT2_lllib.uses_vcc, 1
	.set _ZL40rocblas_trsm_block_backward_substitutionI19rocblas_complex_numIdES1_PKS1_PS1_Lb1ELb1ELb1EEv18rocblas_operation_llT0_T1_lllT2_lllib.uses_flat_scratch, 0
	.set _ZL40rocblas_trsm_block_backward_substitutionI19rocblas_complex_numIdES1_PKS1_PS1_Lb1ELb1ELb1EEv18rocblas_operation_llT0_T1_lllT2_lllib.has_dyn_sized_stack, 0
	.set _ZL40rocblas_trsm_block_backward_substitutionI19rocblas_complex_numIdES1_PKS1_PS1_Lb1ELb1ELb1EEv18rocblas_operation_llT0_T1_lllT2_lllib.has_recursion, 0
	.set _ZL40rocblas_trsm_block_backward_substitutionI19rocblas_complex_numIdES1_PKS1_PS1_Lb1ELb1ELb1EEv18rocblas_operation_llT0_T1_lllT2_lllib.has_indirect_call, 0
	.section	.AMDGPU.csdata,"",@progbits
; Kernel info:
; codeLenInByte = 972
; TotalNumSgprs: 42
; NumVgprs: 30
; ScratchSize: 0
; MemoryBound: 0
; FloatMode: 240
; IeeeMode: 1
; LDSByteSize: 0 bytes/workgroup (compile time only)
; SGPRBlocks: 0
; VGPRBlocks: 1
; NumSGPRsForWavesPerEU: 42
; NumVGPRsForWavesPerEU: 30
; NamedBarCnt: 0
; Occupancy: 16
; WaveLimiterHint : 0
; COMPUTE_PGM_RSRC2:SCRATCH_EN: 0
; COMPUTE_PGM_RSRC2:USER_SGPR: 2
; COMPUTE_PGM_RSRC2:TRAP_HANDLER: 0
; COMPUTE_PGM_RSRC2:TGID_X_EN: 1
; COMPUTE_PGM_RSRC2:TGID_Y_EN: 1
; COMPUTE_PGM_RSRC2:TGID_Z_EN: 1
; COMPUTE_PGM_RSRC2:TIDIG_COMP_CNT: 1
	.section	.text._ZL39rocblas_trsm_block_forward_substitutionI19rocblas_complex_numIdES1_PKS1_PS1_Lb1ELb0ELb0EEv18rocblas_operation_llT0_T1_lllT2_lllib,"axG",@progbits,_ZL39rocblas_trsm_block_forward_substitutionI19rocblas_complex_numIdES1_PKS1_PS1_Lb1ELb0ELb0EEv18rocblas_operation_llT0_T1_lllT2_lllib,comdat
	.globl	_ZL39rocblas_trsm_block_forward_substitutionI19rocblas_complex_numIdES1_PKS1_PS1_Lb1ELb0ELb0EEv18rocblas_operation_llT0_T1_lllT2_lllib ; -- Begin function _ZL39rocblas_trsm_block_forward_substitutionI19rocblas_complex_numIdES1_PKS1_PS1_Lb1ELb0ELb0EEv18rocblas_operation_llT0_T1_lllT2_lllib
	.p2align	8
	.type	_ZL39rocblas_trsm_block_forward_substitutionI19rocblas_complex_numIdES1_PKS1_PS1_Lb1ELb0ELb0EEv18rocblas_operation_llT0_T1_lllT2_lllib,@function
_ZL39rocblas_trsm_block_forward_substitutionI19rocblas_complex_numIdES1_PKS1_PS1_Lb1ELb0ELb0EEv18rocblas_operation_llT0_T1_lllT2_lllib: ; @_ZL39rocblas_trsm_block_forward_substitutionI19rocblas_complex_numIdES1_PKS1_PS1_Lb1ELb0ELb0EEv18rocblas_operation_llT0_T1_lllT2_lllib
; %bb.0:
	s_load_b64 s[28:29], s[0:1], 0x68
	s_bfe_u32 s2, ttmp6, 0x40014
	s_lshr_b32 s4, ttmp7, 16
	s_add_co_i32 s2, s2, 1
	s_bfe_u32 s5, ttmp6, 0x40008
	s_mul_i32 s2, s4, s2
	s_getreg_b32 s3, hwreg(HW_REG_IB_STS2, 6, 4)
	s_add_co_i32 s5, s5, s2
	s_cmp_eq_u32 s3, 0
	s_mov_b32 s31, 0
	s_cselect_b32 s30, s4, s5
	s_wait_kmcnt 0x0
	s_cmp_ge_u32 s30, s28
	s_cbranch_scc1 .LBB253_41
; %bb.1:
	s_clause 0x2
	s_load_b32 s2, s[0:1], 0x0
	s_load_b512 s[4:19], s[0:1], 0x8
	s_load_b256 s[20:27], s[0:1], 0x48
	s_bitcmp1_b32 s29, 0
	s_load_u16 s29, s[0:1], 0x7e
	s_cselect_b32 s33, -1, 0
	s_mov_b64 s[34:35], src_shared_base
	v_cndmask_b32_e64 v20, 0, 1, s33
	s_xor_b32 s33, s33, -1
	v_bfe_u32 v21, v0, 10, 10
	v_mov_b32_e32 v3, 0
	v_and_b32_e32 v8, 0x3ff, v0
	s_delay_alu instid0(VALU_DEP_3) | instskip(NEXT) | instid1(VALU_DEP_3)
	v_lshl_add_u32 v22, v21, 4, 0
	v_mov_b32_e32 v9, v3
	s_delay_alu instid0(VALU_DEP_1)
	v_lshlrev_b64_e32 v[10:11], 4, v[8:9]
	s_wait_kmcnt 0x0
	s_cmp_eq_u32 s2, 0x71
	v_cmp_le_i64_e32 vcc_lo, s[4:5], v[8:9]
	s_cselect_b32 s2, -1, 0
	s_lshl_b64 s[36:37], s[14:15], 4
	s_bfe_u32 s14, ttmp6, 0x40010
	s_and_b32 s15, ttmp7, 0xffff
	s_add_co_i32 s14, s14, 1
	s_bfe_u32 s34, ttmp6, 0x40004
	s_mul_i32 s14, s15, s14
	s_lshl_b64 s[40:41], s[22:23], 4
	s_add_co_i32 s34, s34, s14
	s_cmp_eq_u32 s3, 0
	s_add_nc_u64 s[20:21], s[20:21], s[40:41]
	s_cselect_b32 s3, s15, s34
	s_add_nc_u64 s[14:15], s[0:1], 0x70
	v_mad_u32 v2, s3, s29, v21
	v_cmp_gt_i64_e64 s1, s[4:5], v[8:9]
	s_lshl_b32 s0, s29, 4
	v_cmp_gt_i64_e64 s38, s[4:5], 1
	s_add_co_i32 s22, s0, 0
	v_cmp_gt_i64_e64 s39, s[4:5], 0
	v_lshl_add_u32 v23, v8, 4, s22
	s_mov_b32 s23, s35
	s_add_nc_u64 s[12:13], s[12:13], s[36:37]
	v_mul_u64_e32 v[4:5], s[24:25], v[2:3]
	s_add_nc_u64 s[24:25], s[4:5], -1
	v_cmp_gt_i64_e64 s3, s[6:7], v[2:3]
	v_cmp_eq_u64_e64 s0, s[24:25], v[8:9]
	s_mov_b64 s[6:7], 1
	s_and_b32 s1, s3, s1
	s_xor_b32 s3, vcc_lo, -1
	v_lshl_add_u64 v[0:1], v[4:5], 4, s[20:21]
	s_delay_alu instid0(VALU_DEP_1)
	v_add_nc_u64_e32 v[12:13], v[0:1], v[10:11]
	s_branch .LBB253_6
.LBB253_2:                              ;   in Loop: Header=BB253_6 Depth=1
	s_or_b32 exec_lo, exec_lo, s20
.LBB253_3:                              ;   in Loop: Header=BB253_6 Depth=1
	s_wait_loadcnt_dscnt 0x0
	s_delay_alu instid0(VALU_DEP_1) | instskip(NEXT) | instid1(VALU_DEP_3)
	v_mul_f64_e32 v[16:17], v[2:3], v[6:7]
	v_mul_f64_e32 v[2:3], v[2:3], v[4:5]
	s_wait_xcnt 0x0
	s_delay_alu instid0(VALU_DEP_2) | instskip(NEXT) | instid1(VALU_DEP_2)
	v_fma_f64 v[4:5], v[0:1], v[4:5], -v[16:17]
	v_fmac_f64_e32 v[2:3], v[0:1], v[6:7]
	s_delay_alu instid0(VALU_DEP_2)
	v_mov_b64_e32 v[0:1], v[4:5]
.LBB253_4:                              ;   in Loop: Header=BB253_6 Depth=1
	s_or_b32 exec_lo, exec_lo, s34
	global_store_b128 v[14:15], v[0:3], off
.LBB253_5:                              ;   in Loop: Header=BB253_6 Depth=1
	s_wait_xcnt 0x0
	s_or_b32 exec_lo, exec_lo, s40
	s_add_co_i32 s30, s30, 0x10000
	s_delay_alu instid0(SALU_CYCLE_1)
	s_cmp_lt_u32 s30, s28
	s_cbranch_scc0 .LBB253_41
.LBB253_6:                              ; =>This Loop Header: Depth=1
                                        ;     Child Loop BB253_13 Depth 2
                                        ;     Child Loop BB253_25 Depth 2
	v_cmp_ne_u32_e32 vcc_lo, 1, v20
	s_mul_u64 s[20:21], s[18:19], s[30:31]
	s_delay_alu instid0(SALU_CYCLE_1) | instskip(NEXT) | instid1(SALU_CYCLE_1)
	s_lshl_b64 s[20:21], s[20:21], 4
	s_add_nc_u64 s[20:21], s[12:13], s[20:21]
	s_cbranch_vccz .LBB253_8
; %bb.7:                                ;   in Loop: Header=BB253_6 Depth=1
	s_and_saveexec_b32 s40, s1
	s_cbranch_execz .LBB253_5
	s_branch .LBB253_22
.LBB253_8:                              ;   in Loop: Header=BB253_6 Depth=1
	s_and_not1_b32 vcc_lo, exec_lo, s39
	s_cbranch_vccnz .LBB253_21
; %bb.9:                                ;   in Loop: Header=BB253_6 Depth=1
	v_mul_u64_e32 v[0:1], s[16:17], v[8:9]
	v_mul_hi_u32_u24_e32 v3, s6, v8
	v_mul_u32_u24_e32 v2, s6, v8
	v_mov_b32_e32 v14, v21
	s_mov_b32 s16, s29
	s_delay_alu instid0(VALU_DEP_4) | instskip(NEXT) | instid1(VALU_DEP_1)
	v_lshl_add_u64 v[4:5], v[0:1], 4, s[20:21]
	v_lshl_add_u64 v[6:7], v[2:3], 4, v[4:5]
	s_branch .LBB253_13
.LBB253_10:                             ;   in Loop: Header=BB253_13 Depth=2
	s_or_b32 exec_lo, exec_lo, s21
	s_load_b32 s21, s[14:15], 0xc
	s_wait_kmcnt 0x0
	s_and_b32 s21, s21, 0xffff
	s_delay_alu instid0(SALU_CYCLE_1) | instskip(NEXT) | instid1(VALU_DEP_1)
	v_mul_u32_u24_e32 v0, s21, v8
	v_lshl_add_u32 v0, v0, 4, v23
	ds_store_2addr_b64 v0, v[16:17], v[18:19] offset1:1
.LBB253_11:                             ;   in Loop: Header=BB253_13 Depth=2
	s_or_b32 exec_lo, exec_lo, s20
.LBB253_12:                             ;   in Loop: Header=BB253_13 Depth=2
	s_delay_alu instid0(SALU_CYCLE_1)
	s_or_b32 exec_lo, exec_lo, s17
	s_ashr_i32 s17, s16, 31
	v_add_nc_u32_e32 v14, s29, v14
	v_cmp_le_i64_e64 s17, s[4:5], s[16:17]
	s_add_co_i32 s16, s16, s29
	s_and_b32 vcc_lo, exec_lo, s17
	s_cbranch_vccnz .LBB253_21
.LBB253_13:                             ;   Parent Loop BB253_6 Depth=1
                                        ; =>  This Inner Loop Header: Depth=2
	v_cmp_gt_i32_e32 vcc_lo, v8, v14
	s_and_b32 s17, s3, vcc_lo
	s_delay_alu instid0(SALU_CYCLE_1) | instskip(NEXT) | instid1(SALU_CYCLE_1)
	s_and_saveexec_b32 s20, s17
	s_xor_b32 s17, exec_lo, s20
	s_cbranch_execz .LBB253_15
; %bb.14:                               ;   in Loop: Header=BB253_13 Depth=2
	v_ashrrev_i32_e32 v15, 31, v14
	s_load_b32 s20, s[14:15], 0xc
	s_delay_alu instid0(VALU_DEP_1) | instskip(SKIP_2) | instid1(SALU_CYCLE_1)
	v_mul_u64_e32 v[0:1], s[6:7], v[14:15]
	s_wait_kmcnt 0x0
	s_and_b32 s20, s20, 0xffff
	v_mul_lo_u32 v11, v14, s20
	s_delay_alu instid0(VALU_DEP_1) | instskip(NEXT) | instid1(VALU_DEP_3)
	v_lshl_add_u32 v11, v11, 4, v23
	v_lshl_add_u64 v[0:1], v[0:1], 4, v[4:5]
	global_load_b128 v[0:3], v[0:1], off
	s_wait_loadcnt 0x0
	ds_store_2addr_b64 v11, v[0:1], v[2:3] offset1:1
.LBB253_15:                             ;   in Loop: Header=BB253_13 Depth=2
	s_wait_xcnt 0x0
	s_and_not1_saveexec_b32 s17, s17
	s_cbranch_execz .LBB253_12
; %bb.16:                               ;   in Loop: Header=BB253_13 Depth=2
	v_cmp_eq_u32_e32 vcc_lo, v8, v14
	s_and_b32 s21, s3, vcc_lo
	s_delay_alu instid0(SALU_CYCLE_1)
	s_and_saveexec_b32 s20, s21
	s_cbranch_execz .LBB253_11
; %bb.17:                               ;   in Loop: Header=BB253_13 Depth=2
	global_load_b128 v[0:3], v[6:7], off
                                        ; implicit-def: $vgpr16_vgpr17
	s_wait_loadcnt 0x0
	v_cmp_ngt_f64_e64 s21, |v[0:1]|, |v[2:3]|
	s_wait_xcnt 0x0
	s_and_saveexec_b32 s34, s21
	s_delay_alu instid0(SALU_CYCLE_1)
	s_xor_b32 s21, exec_lo, s34
                                        ; implicit-def: $vgpr18_vgpr19
	s_cbranch_execz .LBB253_19
; %bb.18:                               ;   in Loop: Header=BB253_13 Depth=2
	v_div_scale_f64 v[16:17], null, v[2:3], v[2:3], v[0:1]
	v_div_scale_f64 v[26:27], vcc_lo, v[0:1], v[2:3], v[0:1]
	s_delay_alu instid0(VALU_DEP_2) | instskip(SKIP_1) | instid1(TRANS32_DEP_1)
	v_rcp_f64_e32 v[18:19], v[16:17]
	v_nop
	v_fma_f64 v[24:25], -v[16:17], v[18:19], 1.0
	s_delay_alu instid0(VALU_DEP_1) | instskip(NEXT) | instid1(VALU_DEP_1)
	v_fmac_f64_e32 v[18:19], v[18:19], v[24:25]
	v_fma_f64 v[24:25], -v[16:17], v[18:19], 1.0
	s_delay_alu instid0(VALU_DEP_1) | instskip(NEXT) | instid1(VALU_DEP_1)
	v_fmac_f64_e32 v[18:19], v[18:19], v[24:25]
	v_mul_f64_e32 v[24:25], v[26:27], v[18:19]
	s_delay_alu instid0(VALU_DEP_1) | instskip(NEXT) | instid1(VALU_DEP_1)
	v_fma_f64 v[16:17], -v[16:17], v[24:25], v[26:27]
	v_div_fmas_f64 v[16:17], v[16:17], v[18:19], v[24:25]
	s_delay_alu instid0(VALU_DEP_1) | instskip(NEXT) | instid1(VALU_DEP_1)
	v_div_fixup_f64 v[16:17], v[16:17], v[2:3], v[0:1]
	v_fmac_f64_e32 v[2:3], v[0:1], v[16:17]
	s_delay_alu instid0(VALU_DEP_1) | instskip(NEXT) | instid1(VALU_DEP_1)
	v_div_scale_f64 v[0:1], null, v[2:3], v[2:3], 1.0
	v_rcp_f64_e32 v[18:19], v[0:1]
	v_nop
	s_delay_alu instid0(TRANS32_DEP_1) | instskip(NEXT) | instid1(VALU_DEP_1)
	v_fma_f64 v[24:25], -v[0:1], v[18:19], 1.0
	v_fmac_f64_e32 v[18:19], v[18:19], v[24:25]
	s_delay_alu instid0(VALU_DEP_1) | instskip(NEXT) | instid1(VALU_DEP_1)
	v_fma_f64 v[24:25], -v[0:1], v[18:19], 1.0
	v_fmac_f64_e32 v[18:19], v[18:19], v[24:25]
	v_div_scale_f64 v[24:25], vcc_lo, 1.0, v[2:3], 1.0
	s_delay_alu instid0(VALU_DEP_1) | instskip(NEXT) | instid1(VALU_DEP_1)
	v_mul_f64_e32 v[26:27], v[24:25], v[18:19]
	v_fma_f64 v[0:1], -v[0:1], v[26:27], v[24:25]
	s_delay_alu instid0(VALU_DEP_1) | instskip(NEXT) | instid1(VALU_DEP_1)
	v_div_fmas_f64 v[0:1], v[0:1], v[18:19], v[26:27]
	v_div_fixup_f64 v[18:19], v[0:1], v[2:3], 1.0
                                        ; implicit-def: $vgpr0_vgpr1
	s_delay_alu instid0(VALU_DEP_1)
	v_mul_f64_e32 v[16:17], v[16:17], v[18:19]
	v_xor_b32_e32 v19, 0x80000000, v19
.LBB253_19:                             ;   in Loop: Header=BB253_13 Depth=2
	s_and_not1_saveexec_b32 s21, s21
	s_cbranch_execz .LBB253_10
; %bb.20:                               ;   in Loop: Header=BB253_13 Depth=2
	v_div_scale_f64 v[16:17], null, v[0:1], v[0:1], v[2:3]
	v_div_scale_f64 v[26:27], vcc_lo, v[2:3], v[0:1], v[2:3]
	s_delay_alu instid0(VALU_DEP_2) | instskip(SKIP_1) | instid1(TRANS32_DEP_1)
	v_rcp_f64_e32 v[18:19], v[16:17]
	v_nop
	v_fma_f64 v[24:25], -v[16:17], v[18:19], 1.0
	s_delay_alu instid0(VALU_DEP_1) | instskip(NEXT) | instid1(VALU_DEP_1)
	v_fmac_f64_e32 v[18:19], v[18:19], v[24:25]
	v_fma_f64 v[24:25], -v[16:17], v[18:19], 1.0
	s_delay_alu instid0(VALU_DEP_1) | instskip(NEXT) | instid1(VALU_DEP_1)
	v_fmac_f64_e32 v[18:19], v[18:19], v[24:25]
	v_mul_f64_e32 v[24:25], v[26:27], v[18:19]
	s_delay_alu instid0(VALU_DEP_1) | instskip(NEXT) | instid1(VALU_DEP_1)
	v_fma_f64 v[16:17], -v[16:17], v[24:25], v[26:27]
	v_div_fmas_f64 v[16:17], v[16:17], v[18:19], v[24:25]
	s_delay_alu instid0(VALU_DEP_1) | instskip(NEXT) | instid1(VALU_DEP_1)
	v_div_fixup_f64 v[18:19], v[16:17], v[0:1], v[2:3]
	v_fmac_f64_e32 v[0:1], v[2:3], v[18:19]
	s_delay_alu instid0(VALU_DEP_1) | instskip(NEXT) | instid1(VALU_DEP_1)
	v_div_scale_f64 v[2:3], null, v[0:1], v[0:1], 1.0
	v_rcp_f64_e32 v[16:17], v[2:3]
	v_nop
	s_delay_alu instid0(TRANS32_DEP_1) | instskip(NEXT) | instid1(VALU_DEP_1)
	v_fma_f64 v[24:25], -v[2:3], v[16:17], 1.0
	v_fmac_f64_e32 v[16:17], v[16:17], v[24:25]
	s_delay_alu instid0(VALU_DEP_1) | instskip(NEXT) | instid1(VALU_DEP_1)
	v_fma_f64 v[24:25], -v[2:3], v[16:17], 1.0
	v_fmac_f64_e32 v[16:17], v[16:17], v[24:25]
	v_div_scale_f64 v[24:25], vcc_lo, 1.0, v[0:1], 1.0
	s_delay_alu instid0(VALU_DEP_1) | instskip(NEXT) | instid1(VALU_DEP_1)
	v_mul_f64_e32 v[26:27], v[24:25], v[16:17]
	v_fma_f64 v[2:3], -v[2:3], v[26:27], v[24:25]
	s_delay_alu instid0(VALU_DEP_1) | instskip(NEXT) | instid1(VALU_DEP_1)
	v_div_fmas_f64 v[2:3], v[2:3], v[16:17], v[26:27]
	v_div_fixup_f64 v[16:17], v[2:3], v[0:1], 1.0
	s_delay_alu instid0(VALU_DEP_1)
	v_mul_f64_e64 v[18:19], v[18:19], -v[16:17]
	s_branch .LBB253_10
.LBB253_21:                             ;   in Loop: Header=BB253_6 Depth=1
	s_load_b32 s6, s[14:15], 0xc
	s_mov_b32 s7, s31
	s_mov_b64 s[16:17], 1
	s_mov_b64 s[20:21], s[22:23]
	s_wait_kmcnt 0x0
	s_and_b32 s6, s6, 0xffff
	s_and_saveexec_b32 s40, s1
	s_cbranch_execz .LBB253_5
.LBB253_22:                             ;   in Loop: Header=BB253_6 Depth=1
	s_mul_u64 s[34:35], s[26:27], s[30:31]
	s_and_not1_b32 vcc_lo, exec_lo, s38
	v_lshl_add_u64 v[14:15], s[34:35], 4, v[12:13]
	global_load_b128 v[4:7], v[14:15], off
	s_wait_loadcnt 0x0
	v_mul_f64_e32 v[0:1], s[10:11], v[6:7]
	v_mul_f64_e32 v[2:3], s[8:9], v[6:7]
	s_delay_alu instid0(VALU_DEP_2) | instskip(NEXT) | instid1(VALU_DEP_2)
	v_fma_f64 v[0:1], s[8:9], v[4:5], -v[0:1]
	v_fmac_f64_e32 v[2:3], s[10:11], v[4:5]
	s_cbranch_vccnz .LBB253_35
; %bb.23:                               ;   in Loop: Header=BB253_6 Depth=1
	s_add_nc_u64 s[34:35], s[6:7], s[16:17]
	v_mad_nc_u64_u32 v[6:7], v10, s16, s[20:21]
	v_mul_u64_e32 v[4:5], s[34:35], v[8:9]
	s_lshl_b64 s[34:35], s[6:7], 4
	s_mov_b64 s[36:37], 0
	s_delay_alu instid0(VALU_DEP_2) | instskip(NEXT) | instid1(VALU_DEP_1)
	v_mad_u32 v7, v10, s17, v7
	v_add_nc_u64_e32 v[16:17], 8, v[6:7]
	s_delay_alu instid0(VALU_DEP_3)
	v_lshl_add_u64 v[18:19], v[4:5], 4, s[20:21]
	s_branch .LBB253_25
.LBB253_24:                             ;   in Loop: Header=BB253_25 Depth=2
	s_wait_xcnt 0x0
	s_or_b32 exec_lo, exec_lo, s41
	v_add_nc_u64_e32 v[16:17], s[34:35], v[16:17]
	s_add_nc_u64 s[36:37], s[36:37], 1
	s_delay_alu instid0(SALU_CYCLE_1)
	s_cmp_eq_u64 s[24:25], s[36:37]
	s_cbranch_scc1 .LBB253_35
.LBB253_25:                             ;   Parent Loop BB253_6 Depth=1
                                        ; =>  This Inner Loop Header: Depth=2
	s_mov_b32 s41, exec_lo
	s_wait_dscnt 0x0
	s_barrier_signal -1
	s_barrier_wait -1
	s_wait_xcnt 0x0
	v_cmpx_eq_u64_e64 s[36:37], v[8:9]
	s_cbranch_execz .LBB253_33
; %bb.26:                               ;   in Loop: Header=BB253_25 Depth=2
	flat_load_b128 v[4:7], v[18:19]
	s_and_not1_b32 vcc_lo, exec_lo, s33
	s_cbranch_vccnz .LBB253_32
; %bb.27:                               ;   in Loop: Header=BB253_25 Depth=2
	s_wait_loadcnt_dscnt 0x0
	v_cmp_ngt_f64_e64 s42, |v[4:5]|, |v[6:7]|
	s_wait_xcnt 0x0
	s_and_saveexec_b32 s43, s42
	s_delay_alu instid0(SALU_CYCLE_1)
	s_xor_b32 s42, exec_lo, s43
	s_cbranch_execz .LBB253_29
; %bb.28:                               ;   in Loop: Header=BB253_25 Depth=2
	v_div_scale_f64 v[24:25], null, v[6:7], v[6:7], v[4:5]
	v_div_scale_f64 v[30:31], vcc_lo, v[4:5], v[6:7], v[4:5]
	s_delay_alu instid0(VALU_DEP_2) | instskip(SKIP_1) | instid1(TRANS32_DEP_1)
	v_rcp_f64_e32 v[26:27], v[24:25]
	v_nop
	v_fma_f64 v[28:29], -v[24:25], v[26:27], 1.0
	s_delay_alu instid0(VALU_DEP_1) | instskip(NEXT) | instid1(VALU_DEP_1)
	v_fmac_f64_e32 v[26:27], v[26:27], v[28:29]
	v_fma_f64 v[28:29], -v[24:25], v[26:27], 1.0
	s_delay_alu instid0(VALU_DEP_1) | instskip(NEXT) | instid1(VALU_DEP_1)
	v_fmac_f64_e32 v[26:27], v[26:27], v[28:29]
	v_mul_f64_e32 v[28:29], v[30:31], v[26:27]
	s_delay_alu instid0(VALU_DEP_1) | instskip(NEXT) | instid1(VALU_DEP_1)
	v_fma_f64 v[24:25], -v[24:25], v[28:29], v[30:31]
	v_div_fmas_f64 v[24:25], v[24:25], v[26:27], v[28:29]
	s_delay_alu instid0(VALU_DEP_1) | instskip(NEXT) | instid1(VALU_DEP_1)
	v_div_fixup_f64 v[24:25], v[24:25], v[6:7], v[4:5]
	v_fmac_f64_e32 v[6:7], v[4:5], v[24:25]
	s_delay_alu instid0(VALU_DEP_1) | instskip(NEXT) | instid1(VALU_DEP_1)
	v_div_scale_f64 v[4:5], null, v[6:7], v[6:7], 1.0
	v_rcp_f64_e32 v[26:27], v[4:5]
	v_nop
	s_delay_alu instid0(TRANS32_DEP_1) | instskip(NEXT) | instid1(VALU_DEP_1)
	v_fma_f64 v[28:29], -v[4:5], v[26:27], 1.0
	v_fmac_f64_e32 v[26:27], v[26:27], v[28:29]
	s_delay_alu instid0(VALU_DEP_1) | instskip(NEXT) | instid1(VALU_DEP_1)
	v_fma_f64 v[28:29], -v[4:5], v[26:27], 1.0
	v_fmac_f64_e32 v[26:27], v[26:27], v[28:29]
	v_div_scale_f64 v[28:29], vcc_lo, 1.0, v[6:7], 1.0
	s_delay_alu instid0(VALU_DEP_1) | instskip(NEXT) | instid1(VALU_DEP_1)
	v_mul_f64_e32 v[30:31], v[28:29], v[26:27]
	v_fma_f64 v[4:5], -v[4:5], v[30:31], v[28:29]
	s_delay_alu instid0(VALU_DEP_1) | instskip(NEXT) | instid1(VALU_DEP_1)
	v_div_fmas_f64 v[4:5], v[4:5], v[26:27], v[30:31]
	v_div_fixup_f64 v[6:7], v[4:5], v[6:7], 1.0
	s_delay_alu instid0(VALU_DEP_1)
	v_mul_f64_e32 v[4:5], v[24:25], v[6:7]
	v_xor_b32_e32 v7, 0x80000000, v7
.LBB253_29:                             ;   in Loop: Header=BB253_25 Depth=2
	s_and_not1_saveexec_b32 s42, s42
	s_cbranch_execz .LBB253_31
; %bb.30:                               ;   in Loop: Header=BB253_25 Depth=2
	s_delay_alu instid0(VALU_DEP_1) | instskip(SKIP_1) | instid1(VALU_DEP_2)
	v_div_scale_f64 v[24:25], null, v[4:5], v[4:5], v[6:7]
	v_div_scale_f64 v[30:31], vcc_lo, v[6:7], v[4:5], v[6:7]
	v_rcp_f64_e32 v[26:27], v[24:25]
	v_nop
	s_delay_alu instid0(TRANS32_DEP_1) | instskip(NEXT) | instid1(VALU_DEP_1)
	v_fma_f64 v[28:29], -v[24:25], v[26:27], 1.0
	v_fmac_f64_e32 v[26:27], v[26:27], v[28:29]
	s_delay_alu instid0(VALU_DEP_1) | instskip(NEXT) | instid1(VALU_DEP_1)
	v_fma_f64 v[28:29], -v[24:25], v[26:27], 1.0
	v_fmac_f64_e32 v[26:27], v[26:27], v[28:29]
	s_delay_alu instid0(VALU_DEP_1) | instskip(NEXT) | instid1(VALU_DEP_1)
	v_mul_f64_e32 v[28:29], v[30:31], v[26:27]
	v_fma_f64 v[24:25], -v[24:25], v[28:29], v[30:31]
	s_delay_alu instid0(VALU_DEP_1) | instskip(NEXT) | instid1(VALU_DEP_1)
	v_div_fmas_f64 v[24:25], v[24:25], v[26:27], v[28:29]
	v_div_fixup_f64 v[24:25], v[24:25], v[4:5], v[6:7]
	s_delay_alu instid0(VALU_DEP_1) | instskip(NEXT) | instid1(VALU_DEP_1)
	v_fmac_f64_e32 v[4:5], v[6:7], v[24:25]
	v_div_scale_f64 v[6:7], null, v[4:5], v[4:5], 1.0
	s_delay_alu instid0(VALU_DEP_1) | instskip(SKIP_1) | instid1(TRANS32_DEP_1)
	v_rcp_f64_e32 v[26:27], v[6:7]
	v_nop
	v_fma_f64 v[28:29], -v[6:7], v[26:27], 1.0
	s_delay_alu instid0(VALU_DEP_1) | instskip(NEXT) | instid1(VALU_DEP_1)
	v_fmac_f64_e32 v[26:27], v[26:27], v[28:29]
	v_fma_f64 v[28:29], -v[6:7], v[26:27], 1.0
	s_delay_alu instid0(VALU_DEP_1) | instskip(SKIP_1) | instid1(VALU_DEP_1)
	v_fmac_f64_e32 v[26:27], v[26:27], v[28:29]
	v_div_scale_f64 v[28:29], vcc_lo, 1.0, v[4:5], 1.0
	v_mul_f64_e32 v[30:31], v[28:29], v[26:27]
	s_delay_alu instid0(VALU_DEP_1) | instskip(NEXT) | instid1(VALU_DEP_1)
	v_fma_f64 v[6:7], -v[6:7], v[30:31], v[28:29]
	v_div_fmas_f64 v[6:7], v[6:7], v[26:27], v[30:31]
	s_delay_alu instid0(VALU_DEP_1) | instskip(NEXT) | instid1(VALU_DEP_1)
	v_div_fixup_f64 v[4:5], v[6:7], v[4:5], 1.0
	v_mul_f64_e64 v[6:7], v[24:25], -v[4:5]
.LBB253_31:                             ;   in Loop: Header=BB253_25 Depth=2
	s_or_b32 exec_lo, exec_lo, s42
.LBB253_32:                             ;   in Loop: Header=BB253_25 Depth=2
	s_wait_loadcnt_dscnt 0x0
	s_delay_alu instid0(VALU_DEP_1) | instskip(SKIP_1) | instid1(VALU_DEP_2)
	v_mul_f64_e32 v[24:25], v[0:1], v[6:7]
	v_mul_f64_e32 v[6:7], v[2:3], v[6:7]
	v_fmac_f64_e32 v[24:25], v[2:3], v[4:5]
	s_delay_alu instid0(VALU_DEP_2) | instskip(NEXT) | instid1(VALU_DEP_2)
	v_fma_f64 v[4:5], v[0:1], v[4:5], -v[6:7]
	v_mov_b64_e32 v[2:3], v[24:25]
	s_delay_alu instid0(VALU_DEP_2)
	v_mov_b64_e32 v[0:1], v[4:5]
	ds_store_2addr_b64 v22, v[4:5], v[24:25] offset1:1
.LBB253_33:                             ;   in Loop: Header=BB253_25 Depth=2
	s_wait_xcnt 0x0
	s_or_b32 exec_lo, exec_lo, s41
	s_delay_alu instid0(SALU_CYCLE_1)
	s_mov_b32 s41, exec_lo
	s_wait_dscnt 0x0
	s_barrier_signal -1
	s_barrier_wait -1
	v_cmpx_lt_u64_e64 s[36:37], v[8:9]
	s_cbranch_execz .LBB253_24
; %bb.34:                               ;   in Loop: Header=BB253_25 Depth=2
	flat_load_b128 v[4:7], v[16:17] offset:-8
	ds_load_2addr_b64 v[24:27], v22 offset1:1
	s_wait_loadcnt_dscnt 0x1
	v_xor_b32_e32 v11, 0x80000000, v7
	s_delay_alu instid0(VALU_DEP_1) | instskip(SKIP_1) | instid1(VALU_DEP_1)
	v_cndmask_b32_e64 v7, v7, v11, s2
	s_wait_dscnt 0x0
	v_mul_f64_e32 v[28:29], v[6:7], v[26:27]
	v_mul_f64_e32 v[26:27], v[4:5], v[26:27]
	s_delay_alu instid0(VALU_DEP_2) | instskip(NEXT) | instid1(VALU_DEP_2)
	v_fma_f64 v[4:5], v[4:5], v[24:25], -v[28:29]
	v_fmac_f64_e32 v[26:27], v[6:7], v[24:25]
	s_delay_alu instid0(VALU_DEP_2) | instskip(NEXT) | instid1(VALU_DEP_2)
	v_add_f64_e64 v[0:1], v[0:1], -v[4:5]
	v_add_f64_e64 v[2:3], v[2:3], -v[26:27]
	s_branch .LBB253_24
.LBB253_35:                             ;   in Loop: Header=BB253_6 Depth=1
	s_wait_xcnt 0x0
	s_and_saveexec_b32 s34, s0
	s_cbranch_execz .LBB253_4
; %bb.36:                               ;   in Loop: Header=BB253_6 Depth=1
	s_add_nc_u64 s[36:37], s[6:7], s[16:17]
	s_and_not1_b32 vcc_lo, exec_lo, s33
	v_mul_u64_e32 v[4:5], s[36:37], v[8:9]
	s_delay_alu instid0(VALU_DEP_1)
	v_lshl_add_u64 v[4:5], v[4:5], 4, s[20:21]
	flat_load_b128 v[4:7], v[4:5]
	s_cbranch_vccnz .LBB253_3
; %bb.37:                               ;   in Loop: Header=BB253_6 Depth=1
	s_wait_loadcnt_dscnt 0x0
	v_cmp_ngt_f64_e64 s20, |v[4:5]|, |v[6:7]|
	s_wait_xcnt 0x0
	s_and_saveexec_b32 s21, s20
	s_delay_alu instid0(SALU_CYCLE_1)
	s_xor_b32 s20, exec_lo, s21
	s_cbranch_execz .LBB253_39
; %bb.38:                               ;   in Loop: Header=BB253_6 Depth=1
	v_div_scale_f64 v[16:17], null, v[6:7], v[6:7], v[4:5]
	v_div_scale_f64 v[26:27], vcc_lo, v[4:5], v[6:7], v[4:5]
	s_delay_alu instid0(VALU_DEP_2) | instskip(SKIP_1) | instid1(TRANS32_DEP_1)
	v_rcp_f64_e32 v[18:19], v[16:17]
	v_nop
	v_fma_f64 v[24:25], -v[16:17], v[18:19], 1.0
	s_delay_alu instid0(VALU_DEP_1) | instskip(NEXT) | instid1(VALU_DEP_1)
	v_fmac_f64_e32 v[18:19], v[18:19], v[24:25]
	v_fma_f64 v[24:25], -v[16:17], v[18:19], 1.0
	s_delay_alu instid0(VALU_DEP_1) | instskip(NEXT) | instid1(VALU_DEP_1)
	v_fmac_f64_e32 v[18:19], v[18:19], v[24:25]
	v_mul_f64_e32 v[24:25], v[26:27], v[18:19]
	s_delay_alu instid0(VALU_DEP_1) | instskip(NEXT) | instid1(VALU_DEP_1)
	v_fma_f64 v[16:17], -v[16:17], v[24:25], v[26:27]
	v_div_fmas_f64 v[16:17], v[16:17], v[18:19], v[24:25]
	s_delay_alu instid0(VALU_DEP_1) | instskip(NEXT) | instid1(VALU_DEP_1)
	v_div_fixup_f64 v[16:17], v[16:17], v[6:7], v[4:5]
	v_fmac_f64_e32 v[6:7], v[4:5], v[16:17]
	s_delay_alu instid0(VALU_DEP_1) | instskip(NEXT) | instid1(VALU_DEP_1)
	v_div_scale_f64 v[4:5], null, v[6:7], v[6:7], 1.0
	v_rcp_f64_e32 v[18:19], v[4:5]
	v_nop
	s_delay_alu instid0(TRANS32_DEP_1) | instskip(NEXT) | instid1(VALU_DEP_1)
	v_fma_f64 v[24:25], -v[4:5], v[18:19], 1.0
	v_fmac_f64_e32 v[18:19], v[18:19], v[24:25]
	s_delay_alu instid0(VALU_DEP_1) | instskip(NEXT) | instid1(VALU_DEP_1)
	v_fma_f64 v[24:25], -v[4:5], v[18:19], 1.0
	v_fmac_f64_e32 v[18:19], v[18:19], v[24:25]
	v_div_scale_f64 v[24:25], vcc_lo, 1.0, v[6:7], 1.0
	s_delay_alu instid0(VALU_DEP_1) | instskip(NEXT) | instid1(VALU_DEP_1)
	v_mul_f64_e32 v[26:27], v[24:25], v[18:19]
	v_fma_f64 v[4:5], -v[4:5], v[26:27], v[24:25]
	s_delay_alu instid0(VALU_DEP_1) | instskip(NEXT) | instid1(VALU_DEP_1)
	v_div_fmas_f64 v[4:5], v[4:5], v[18:19], v[26:27]
	v_div_fixup_f64 v[6:7], v[4:5], v[6:7], 1.0
	s_delay_alu instid0(VALU_DEP_1)
	v_mul_f64_e32 v[4:5], v[16:17], v[6:7]
	v_xor_b32_e32 v7, 0x80000000, v7
.LBB253_39:                             ;   in Loop: Header=BB253_6 Depth=1
	s_and_not1_saveexec_b32 s20, s20
	s_cbranch_execz .LBB253_2
; %bb.40:                               ;   in Loop: Header=BB253_6 Depth=1
	s_delay_alu instid0(VALU_DEP_1) | instskip(SKIP_1) | instid1(VALU_DEP_2)
	v_div_scale_f64 v[16:17], null, v[4:5], v[4:5], v[6:7]
	v_div_scale_f64 v[26:27], vcc_lo, v[6:7], v[4:5], v[6:7]
	v_rcp_f64_e32 v[18:19], v[16:17]
	v_nop
	s_delay_alu instid0(TRANS32_DEP_1) | instskip(NEXT) | instid1(VALU_DEP_1)
	v_fma_f64 v[24:25], -v[16:17], v[18:19], 1.0
	v_fmac_f64_e32 v[18:19], v[18:19], v[24:25]
	s_delay_alu instid0(VALU_DEP_1) | instskip(NEXT) | instid1(VALU_DEP_1)
	v_fma_f64 v[24:25], -v[16:17], v[18:19], 1.0
	v_fmac_f64_e32 v[18:19], v[18:19], v[24:25]
	s_delay_alu instid0(VALU_DEP_1) | instskip(NEXT) | instid1(VALU_DEP_1)
	v_mul_f64_e32 v[24:25], v[26:27], v[18:19]
	v_fma_f64 v[16:17], -v[16:17], v[24:25], v[26:27]
	s_delay_alu instid0(VALU_DEP_1) | instskip(NEXT) | instid1(VALU_DEP_1)
	v_div_fmas_f64 v[16:17], v[16:17], v[18:19], v[24:25]
	v_div_fixup_f64 v[16:17], v[16:17], v[4:5], v[6:7]
	s_delay_alu instid0(VALU_DEP_1) | instskip(NEXT) | instid1(VALU_DEP_1)
	v_fmac_f64_e32 v[4:5], v[6:7], v[16:17]
	v_div_scale_f64 v[6:7], null, v[4:5], v[4:5], 1.0
	s_delay_alu instid0(VALU_DEP_1) | instskip(SKIP_1) | instid1(TRANS32_DEP_1)
	v_rcp_f64_e32 v[18:19], v[6:7]
	v_nop
	v_fma_f64 v[24:25], -v[6:7], v[18:19], 1.0
	s_delay_alu instid0(VALU_DEP_1) | instskip(NEXT) | instid1(VALU_DEP_1)
	v_fmac_f64_e32 v[18:19], v[18:19], v[24:25]
	v_fma_f64 v[24:25], -v[6:7], v[18:19], 1.0
	s_delay_alu instid0(VALU_DEP_1) | instskip(SKIP_1) | instid1(VALU_DEP_1)
	v_fmac_f64_e32 v[18:19], v[18:19], v[24:25]
	v_div_scale_f64 v[24:25], vcc_lo, 1.0, v[4:5], 1.0
	v_mul_f64_e32 v[26:27], v[24:25], v[18:19]
	s_delay_alu instid0(VALU_DEP_1) | instskip(NEXT) | instid1(VALU_DEP_1)
	v_fma_f64 v[6:7], -v[6:7], v[26:27], v[24:25]
	v_div_fmas_f64 v[6:7], v[6:7], v[18:19], v[26:27]
	s_delay_alu instid0(VALU_DEP_1) | instskip(NEXT) | instid1(VALU_DEP_1)
	v_div_fixup_f64 v[4:5], v[6:7], v[4:5], 1.0
	v_mul_f64_e64 v[6:7], v[16:17], -v[4:5]
	s_branch .LBB253_2
.LBB253_41:
	s_endpgm
	.section	.rodata,"a",@progbits
	.p2align	6, 0x0
	.amdhsa_kernel _ZL39rocblas_trsm_block_forward_substitutionI19rocblas_complex_numIdES1_PKS1_PS1_Lb1ELb0ELb0EEv18rocblas_operation_llT0_T1_lllT2_lllib
		.amdhsa_group_segment_fixed_size 0
		.amdhsa_private_segment_fixed_size 0
		.amdhsa_kernarg_size 368
		.amdhsa_user_sgpr_count 2
		.amdhsa_user_sgpr_dispatch_ptr 0
		.amdhsa_user_sgpr_queue_ptr 0
		.amdhsa_user_sgpr_kernarg_segment_ptr 1
		.amdhsa_user_sgpr_dispatch_id 0
		.amdhsa_user_sgpr_kernarg_preload_length 0
		.amdhsa_user_sgpr_kernarg_preload_offset 0
		.amdhsa_user_sgpr_private_segment_size 0
		.amdhsa_wavefront_size32 1
		.amdhsa_uses_dynamic_stack 0
		.amdhsa_enable_private_segment 0
		.amdhsa_system_sgpr_workgroup_id_x 1
		.amdhsa_system_sgpr_workgroup_id_y 1
		.amdhsa_system_sgpr_workgroup_id_z 1
		.amdhsa_system_sgpr_workgroup_info 0
		.amdhsa_system_vgpr_workitem_id 1
		.amdhsa_next_free_vgpr 32
		.amdhsa_next_free_sgpr 44
		.amdhsa_named_barrier_count 0
		.amdhsa_reserve_vcc 1
		.amdhsa_float_round_mode_32 0
		.amdhsa_float_round_mode_16_64 0
		.amdhsa_float_denorm_mode_32 3
		.amdhsa_float_denorm_mode_16_64 3
		.amdhsa_fp16_overflow 0
		.amdhsa_memory_ordered 1
		.amdhsa_forward_progress 1
		.amdhsa_inst_pref_size 21
		.amdhsa_round_robin_scheduling 0
		.amdhsa_exception_fp_ieee_invalid_op 0
		.amdhsa_exception_fp_denorm_src 0
		.amdhsa_exception_fp_ieee_div_zero 0
		.amdhsa_exception_fp_ieee_overflow 0
		.amdhsa_exception_fp_ieee_underflow 0
		.amdhsa_exception_fp_ieee_inexact 0
		.amdhsa_exception_int_div_zero 0
	.end_amdhsa_kernel
	.section	.text._ZL39rocblas_trsm_block_forward_substitutionI19rocblas_complex_numIdES1_PKS1_PS1_Lb1ELb0ELb0EEv18rocblas_operation_llT0_T1_lllT2_lllib,"axG",@progbits,_ZL39rocblas_trsm_block_forward_substitutionI19rocblas_complex_numIdES1_PKS1_PS1_Lb1ELb0ELb0EEv18rocblas_operation_llT0_T1_lllT2_lllib,comdat
.Lfunc_end253:
	.size	_ZL39rocblas_trsm_block_forward_substitutionI19rocblas_complex_numIdES1_PKS1_PS1_Lb1ELb0ELb0EEv18rocblas_operation_llT0_T1_lllT2_lllib, .Lfunc_end253-_ZL39rocblas_trsm_block_forward_substitutionI19rocblas_complex_numIdES1_PKS1_PS1_Lb1ELb0ELb0EEv18rocblas_operation_llT0_T1_lllT2_lllib
                                        ; -- End function
	.set _ZL39rocblas_trsm_block_forward_substitutionI19rocblas_complex_numIdES1_PKS1_PS1_Lb1ELb0ELb0EEv18rocblas_operation_llT0_T1_lllT2_lllib.num_vgpr, 32
	.set _ZL39rocblas_trsm_block_forward_substitutionI19rocblas_complex_numIdES1_PKS1_PS1_Lb1ELb0ELb0EEv18rocblas_operation_llT0_T1_lllT2_lllib.num_agpr, 0
	.set _ZL39rocblas_trsm_block_forward_substitutionI19rocblas_complex_numIdES1_PKS1_PS1_Lb1ELb0ELb0EEv18rocblas_operation_llT0_T1_lllT2_lllib.numbered_sgpr, 44
	.set _ZL39rocblas_trsm_block_forward_substitutionI19rocblas_complex_numIdES1_PKS1_PS1_Lb1ELb0ELb0EEv18rocblas_operation_llT0_T1_lllT2_lllib.num_named_barrier, 0
	.set _ZL39rocblas_trsm_block_forward_substitutionI19rocblas_complex_numIdES1_PKS1_PS1_Lb1ELb0ELb0EEv18rocblas_operation_llT0_T1_lllT2_lllib.private_seg_size, 0
	.set _ZL39rocblas_trsm_block_forward_substitutionI19rocblas_complex_numIdES1_PKS1_PS1_Lb1ELb0ELb0EEv18rocblas_operation_llT0_T1_lllT2_lllib.uses_vcc, 1
	.set _ZL39rocblas_trsm_block_forward_substitutionI19rocblas_complex_numIdES1_PKS1_PS1_Lb1ELb0ELb0EEv18rocblas_operation_llT0_T1_lllT2_lllib.uses_flat_scratch, 0
	.set _ZL39rocblas_trsm_block_forward_substitutionI19rocblas_complex_numIdES1_PKS1_PS1_Lb1ELb0ELb0EEv18rocblas_operation_llT0_T1_lllT2_lllib.has_dyn_sized_stack, 0
	.set _ZL39rocblas_trsm_block_forward_substitutionI19rocblas_complex_numIdES1_PKS1_PS1_Lb1ELb0ELb0EEv18rocblas_operation_llT0_T1_lllT2_lllib.has_recursion, 0
	.set _ZL39rocblas_trsm_block_forward_substitutionI19rocblas_complex_numIdES1_PKS1_PS1_Lb1ELb0ELb0EEv18rocblas_operation_llT0_T1_lllT2_lllib.has_indirect_call, 0
	.section	.AMDGPU.csdata,"",@progbits
; Kernel info:
; codeLenInByte = 2660
; TotalNumSgprs: 46
; NumVgprs: 32
; ScratchSize: 0
; MemoryBound: 1
; FloatMode: 240
; IeeeMode: 1
; LDSByteSize: 0 bytes/workgroup (compile time only)
; SGPRBlocks: 0
; VGPRBlocks: 1
; NumSGPRsForWavesPerEU: 46
; NumVGPRsForWavesPerEU: 32
; NamedBarCnt: 0
; Occupancy: 16
; WaveLimiterHint : 0
; COMPUTE_PGM_RSRC2:SCRATCH_EN: 0
; COMPUTE_PGM_RSRC2:USER_SGPR: 2
; COMPUTE_PGM_RSRC2:TRAP_HANDLER: 0
; COMPUTE_PGM_RSRC2:TGID_X_EN: 1
; COMPUTE_PGM_RSRC2:TGID_Y_EN: 1
; COMPUTE_PGM_RSRC2:TGID_Z_EN: 1
; COMPUTE_PGM_RSRC2:TIDIG_COMP_CNT: 1
	.section	.text._ZL40rocblas_trsm_block_backward_substitutionI19rocblas_complex_numIdES1_PKS1_PS1_Lb1ELb0ELb0EEv18rocblas_operation_llT0_T1_lllT2_lllib,"axG",@progbits,_ZL40rocblas_trsm_block_backward_substitutionI19rocblas_complex_numIdES1_PKS1_PS1_Lb1ELb0ELb0EEv18rocblas_operation_llT0_T1_lllT2_lllib,comdat
	.globl	_ZL40rocblas_trsm_block_backward_substitutionI19rocblas_complex_numIdES1_PKS1_PS1_Lb1ELb0ELb0EEv18rocblas_operation_llT0_T1_lllT2_lllib ; -- Begin function _ZL40rocblas_trsm_block_backward_substitutionI19rocblas_complex_numIdES1_PKS1_PS1_Lb1ELb0ELb0EEv18rocblas_operation_llT0_T1_lllT2_lllib
	.p2align	8
	.type	_ZL40rocblas_trsm_block_backward_substitutionI19rocblas_complex_numIdES1_PKS1_PS1_Lb1ELb0ELb0EEv18rocblas_operation_llT0_T1_lllT2_lllib,@function
_ZL40rocblas_trsm_block_backward_substitutionI19rocblas_complex_numIdES1_PKS1_PS1_Lb1ELb0ELb0EEv18rocblas_operation_llT0_T1_lllT2_lllib: ; @_ZL40rocblas_trsm_block_backward_substitutionI19rocblas_complex_numIdES1_PKS1_PS1_Lb1ELb0ELb0EEv18rocblas_operation_llT0_T1_lllT2_lllib
; %bb.0:
	s_load_b64 s[28:29], s[0:1], 0x68
	s_bfe_u32 s2, ttmp6, 0x40014
	s_lshr_b32 s3, ttmp7, 16
	s_add_co_i32 s2, s2, 1
	s_bfe_u32 s5, ttmp6, 0x40008
	s_mul_i32 s4, s3, s2
	s_getreg_b32 s2, hwreg(HW_REG_IB_STS2, 6, 4)
	s_add_co_i32 s5, s5, s4
	s_cmp_eq_u32 s2, 0
	s_mov_b32 s31, 0
	s_cselect_b32 s30, s3, s5
	s_wait_kmcnt 0x0
	s_cmp_ge_u32 s30, s28
	s_cbranch_scc1 .LBB254_42
; %bb.1:
	s_clause 0x2
	s_load_b256 s[20:27], s[0:1], 0x48
	s_load_b32 s3, s[0:1], 0x0
	s_load_b512 s[4:19], s[0:1], 0x8
	v_and_b32_e32 v10, 0x3ff, v0
	v_mov_b32_e32 v9, 0
	v_bfe_u32 v24, v0, 10, 10
	s_bitcmp1_b32 s29, 0
	s_load_u16 s29, s[0:1], 0x7e
	s_delay_alu instid0(VALU_DEP_2)
	v_dual_mov_b32 v11, v9 :: v_dual_lshlrev_b32 v2, 4, v10
	v_mov_b32_e32 v15, v9
	v_lshl_add_u32 v26, v24, 4, 0
	s_mov_b64 s[34:35], src_shared_base
	s_wait_kmcnt 0x0
	v_mul_u64_e32 v[0:1], s[24:25], v[10:11]
	s_add_nc_u64 s[24:25], s[0:1], 0x70
	s_cselect_b32 s0, -1, 0
	v_mul_u64_e32 v[12:13], s[16:17], v[10:11]
	s_xor_b32 s33, s0, -1
	s_cmp_eq_u32 s3, 0x71
	v_cndmask_b32_e64 v25, 0, 1, s0
	s_cselect_b32 s0, -1, 0
	s_bfe_u32 s1, ttmp6, 0x40010
	s_and_b32 s3, ttmp7, 0xffff
	s_add_co_i32 s1, s1, 1
	s_lshl_b64 s[36:37], s[14:15], 4
	s_bfe_u32 s14, ttmp6, 0x40004
	s_mul_i32 s1, s3, s1
	s_lshl_b64 s[38:39], s[22:23], 4
	s_add_co_i32 s14, s14, s1
	s_cmp_eq_u32 s2, 0
	s_add_nc_u64 s[20:21], s[20:21], s[38:39]
	s_cselect_b32 s1, s3, s14
	v_cmp_le_i64_e64 s40, s[4:5], v[10:11]
	v_mad_u32 v8, s1, s29, v24
	v_cmp_gt_i64_e64 s2, s[4:5], v[10:11]
	s_lshl_b32 s3, s29, 4
	v_cmp_gt_i64_e64 s41, s[4:5], 1
	v_cmp_gt_i64_e64 s42, s[4:5], 0
	s_add_co_i32 s14, s3, 0
	v_cmp_eq_u32_e64 s1, 0, v10
	v_dual_add_nc_u32 v27, s14, v2 :: v_dual_bitop2_b32 v14, 8, v2 bitop3:0x54
	s_add_nc_u64 s[22:23], s[4:5], -1
	s_mov_b32 s15, s35
	v_cmp_gt_i64_e32 vcc_lo, s[6:7], v[8:9]
	v_lshl_add_u64 v[0:1], v[0:1], 4, s[20:21]
	s_add_nc_u64 s[6:7], s[12:13], s[36:37]
	s_lshl_b64 s[12:13], s[22:23], 4
	s_xor_b32 s44, s40, -1
	s_delay_alu instid0(VALU_DEP_1)
	v_lshl_add_u64 v[16:17], v[8:9], 4, v[0:1]
	v_lshlrev_b32_e32 v8, 4, v10
	s_and_b32 s43, vcc_lo, s2
	s_branch .LBB254_6
.LBB254_2:                              ;   in Loop: Header=BB254_6 Depth=1
	s_or_b32 exec_lo, exec_lo, s20
.LBB254_3:                              ;   in Loop: Header=BB254_6 Depth=1
	s_wait_loadcnt_dscnt 0x0
	s_delay_alu instid0(VALU_DEP_1) | instskip(NEXT) | instid1(VALU_DEP_3)
	v_mul_f64_e32 v[20:21], v[2:3], v[6:7]
	v_mul_f64_e32 v[2:3], v[2:3], v[4:5]
	s_wait_xcnt 0x0
	s_delay_alu instid0(VALU_DEP_2) | instskip(NEXT) | instid1(VALU_DEP_2)
	v_fma_f64 v[4:5], v[0:1], v[4:5], -v[20:21]
	v_fmac_f64_e32 v[2:3], v[0:1], v[6:7]
	s_delay_alu instid0(VALU_DEP_2)
	v_mov_b64_e32 v[0:1], v[4:5]
.LBB254_4:                              ;   in Loop: Header=BB254_6 Depth=1
	s_or_b32 exec_lo, exec_lo, s36
	global_store_b128 v[18:19], v[0:3], off
.LBB254_5:                              ;   in Loop: Header=BB254_6 Depth=1
	s_wait_xcnt 0x0
	s_or_b32 exec_lo, exec_lo, s3
	s_add_co_i32 s30, s30, 0x10000
	s_delay_alu instid0(SALU_CYCLE_1)
	s_cmp_lt_u32 s30, s28
	s_cbranch_scc0 .LBB254_42
.LBB254_6:                              ; =>This Loop Header: Depth=1
                                        ;     Child Loop BB254_11 Depth 2
                                        ;     Child Loop BB254_26 Depth 2
	v_cmp_ne_u32_e32 vcc_lo, 1, v25
	s_mul_u64 s[20:21], s[18:19], s[30:31]
	s_delay_alu instid0(SALU_CYCLE_1) | instskip(NEXT) | instid1(SALU_CYCLE_1)
	s_lshl_b64 s[20:21], s[20:21], 4
	s_add_nc_u64 s[20:21], s[6:7], s[20:21]
	s_cbranch_vccnz .LBB254_21
; %bb.7:                                ;   in Loop: Header=BB254_6 Depth=1
	s_and_not1_b32 vcc_lo, exec_lo, s42
	s_cbranch_vccnz .LBB254_22
; %bb.8:                                ;   in Loop: Header=BB254_6 Depth=1
	v_add_nc_u64_e32 v[4:5], s[20:21], v[8:9]
	v_mov_b32_e32 v18, v24
	s_mov_b32 s20, s29
	s_delay_alu instid0(VALU_DEP_2)
	v_lshl_add_u64 v[6:7], v[12:13], 4, v[4:5]
	s_branch .LBB254_11
.LBB254_9:                              ;   in Loop: Header=BB254_11 Depth=2
	s_or_b32 exec_lo, exec_lo, s21
	s_load_b32 s21, s[24:25], 0xc
	s_wait_kmcnt 0x0
	s_and_b32 s21, s21, 0xffff
	s_delay_alu instid0(SALU_CYCLE_1) | instskip(NEXT) | instid1(VALU_DEP_1)
	v_mul_u32_u24_e32 v0, s21, v10
	v_lshl_add_u32 v0, v0, 4, v27
	ds_store_2addr_b64 v0, v[20:21], v[22:23] offset1:1
.LBB254_10:                             ;   in Loop: Header=BB254_11 Depth=2
	s_or_b32 exec_lo, exec_lo, s3
	s_ashr_i32 s21, s20, 31
	v_add_nc_u32_e32 v18, s29, v18
	v_cmp_le_i64_e64 s3, s[4:5], s[20:21]
	s_add_co_i32 s20, s20, s29
	s_and_b32 vcc_lo, exec_lo, s3
	s_cbranch_vccnz .LBB254_22
.LBB254_11:                             ;   Parent Loop BB254_6 Depth=1
                                        ; =>  This Inner Loop Header: Depth=2
	s_mov_b32 s34, s40
	s_and_saveexec_b32 s21, s2
	s_cbranch_execz .LBB254_15
; %bb.12:                               ;   in Loop: Header=BB254_11 Depth=2
	v_ashrrev_i32_e32 v19, 31, v18
	v_cmp_lt_i32_e64 s3, v10, v18
	s_mov_b32 s34, -1
	v_cmp_gt_i64_e32 vcc_lo, s[4:5], v[18:19]
	s_and_b32 s35, s3, vcc_lo
	s_delay_alu instid0(SALU_CYCLE_1)
	s_and_saveexec_b32 s3, s35
	s_cbranch_execz .LBB254_14
; %bb.13:                               ;   in Loop: Header=BB254_11 Depth=2
	v_mul_u64_e32 v[0:1], s[16:17], v[18:19]
	s_load_b32 s34, s[24:25], 0xc
	s_wait_kmcnt 0x0
	s_and_b32 s34, s34, 0xffff
	s_delay_alu instid0(SALU_CYCLE_1) | instskip(SKIP_1) | instid1(VALU_DEP_2)
	v_mul_lo_u32 v19, v18, s34
	s_xor_b32 s34, exec_lo, -1
	v_lshl_add_u64 v[0:1], v[0:1], 4, v[4:5]
	s_delay_alu instid0(VALU_DEP_2)
	v_lshl_add_u32 v19, v19, 4, v27
	global_load_b128 v[0:3], v[0:1], off
	s_wait_loadcnt 0x0
	ds_store_2addr_b64 v19, v[0:1], v[2:3] offset1:1
.LBB254_14:                             ;   in Loop: Header=BB254_11 Depth=2
	s_wait_xcnt 0x0
	s_or_b32 exec_lo, exec_lo, s3
	s_delay_alu instid0(SALU_CYCLE_1) | instskip(SKIP_1) | instid1(SALU_CYCLE_1)
	s_and_not1_b32 s3, s40, exec_lo
	s_and_b32 s34, s34, exec_lo
	s_or_b32 s34, s3, s34
.LBB254_15:                             ;   in Loop: Header=BB254_11 Depth=2
	s_or_b32 exec_lo, exec_lo, s21
	s_and_saveexec_b32 s3, s34
	s_cbranch_execz .LBB254_10
; %bb.16:                               ;   in Loop: Header=BB254_11 Depth=2
	v_cmp_eq_u32_e32 vcc_lo, v10, v18
	s_and_b32 s21, s44, vcc_lo
	s_delay_alu instid0(SALU_CYCLE_1)
	s_and_b32 exec_lo, exec_lo, s21
	s_cbranch_execz .LBB254_10
; %bb.17:                               ;   in Loop: Header=BB254_11 Depth=2
	global_load_b128 v[0:3], v[6:7], off
                                        ; implicit-def: $vgpr20_vgpr21
	s_wait_loadcnt 0x0
	v_cmp_ngt_f64_e64 s21, |v[0:1]|, |v[2:3]|
	s_wait_xcnt 0x0
	s_and_saveexec_b32 s34, s21
	s_delay_alu instid0(SALU_CYCLE_1)
	s_xor_b32 s21, exec_lo, s34
                                        ; implicit-def: $vgpr22_vgpr23
	s_cbranch_execz .LBB254_19
; %bb.18:                               ;   in Loop: Header=BB254_11 Depth=2
	v_div_scale_f64 v[20:21], null, v[2:3], v[2:3], v[0:1]
	v_div_scale_f64 v[30:31], vcc_lo, v[0:1], v[2:3], v[0:1]
	s_delay_alu instid0(VALU_DEP_2) | instskip(SKIP_1) | instid1(TRANS32_DEP_1)
	v_rcp_f64_e32 v[22:23], v[20:21]
	v_nop
	v_fma_f64 v[28:29], -v[20:21], v[22:23], 1.0
	s_delay_alu instid0(VALU_DEP_1) | instskip(NEXT) | instid1(VALU_DEP_1)
	v_fmac_f64_e32 v[22:23], v[22:23], v[28:29]
	v_fma_f64 v[28:29], -v[20:21], v[22:23], 1.0
	s_delay_alu instid0(VALU_DEP_1) | instskip(NEXT) | instid1(VALU_DEP_1)
	v_fmac_f64_e32 v[22:23], v[22:23], v[28:29]
	v_mul_f64_e32 v[28:29], v[30:31], v[22:23]
	s_delay_alu instid0(VALU_DEP_1) | instskip(NEXT) | instid1(VALU_DEP_1)
	v_fma_f64 v[20:21], -v[20:21], v[28:29], v[30:31]
	v_div_fmas_f64 v[20:21], v[20:21], v[22:23], v[28:29]
	s_delay_alu instid0(VALU_DEP_1) | instskip(NEXT) | instid1(VALU_DEP_1)
	v_div_fixup_f64 v[20:21], v[20:21], v[2:3], v[0:1]
	v_fmac_f64_e32 v[2:3], v[0:1], v[20:21]
	s_delay_alu instid0(VALU_DEP_1) | instskip(NEXT) | instid1(VALU_DEP_1)
	v_div_scale_f64 v[0:1], null, v[2:3], v[2:3], 1.0
	v_rcp_f64_e32 v[22:23], v[0:1]
	v_nop
	s_delay_alu instid0(TRANS32_DEP_1) | instskip(NEXT) | instid1(VALU_DEP_1)
	v_fma_f64 v[28:29], -v[0:1], v[22:23], 1.0
	v_fmac_f64_e32 v[22:23], v[22:23], v[28:29]
	s_delay_alu instid0(VALU_DEP_1) | instskip(NEXT) | instid1(VALU_DEP_1)
	v_fma_f64 v[28:29], -v[0:1], v[22:23], 1.0
	v_fmac_f64_e32 v[22:23], v[22:23], v[28:29]
	v_div_scale_f64 v[28:29], vcc_lo, 1.0, v[2:3], 1.0
	s_delay_alu instid0(VALU_DEP_1) | instskip(NEXT) | instid1(VALU_DEP_1)
	v_mul_f64_e32 v[30:31], v[28:29], v[22:23]
	v_fma_f64 v[0:1], -v[0:1], v[30:31], v[28:29]
	s_delay_alu instid0(VALU_DEP_1) | instskip(NEXT) | instid1(VALU_DEP_1)
	v_div_fmas_f64 v[0:1], v[0:1], v[22:23], v[30:31]
	v_div_fixup_f64 v[22:23], v[0:1], v[2:3], 1.0
                                        ; implicit-def: $vgpr0_vgpr1
	s_delay_alu instid0(VALU_DEP_1)
	v_mul_f64_e32 v[20:21], v[20:21], v[22:23]
	v_xor_b32_e32 v23, 0x80000000, v23
.LBB254_19:                             ;   in Loop: Header=BB254_11 Depth=2
	s_and_not1_saveexec_b32 s21, s21
	s_cbranch_execz .LBB254_9
; %bb.20:                               ;   in Loop: Header=BB254_11 Depth=2
	v_div_scale_f64 v[20:21], null, v[0:1], v[0:1], v[2:3]
	v_div_scale_f64 v[30:31], vcc_lo, v[2:3], v[0:1], v[2:3]
	s_delay_alu instid0(VALU_DEP_2) | instskip(SKIP_1) | instid1(TRANS32_DEP_1)
	v_rcp_f64_e32 v[22:23], v[20:21]
	v_nop
	v_fma_f64 v[28:29], -v[20:21], v[22:23], 1.0
	s_delay_alu instid0(VALU_DEP_1) | instskip(NEXT) | instid1(VALU_DEP_1)
	v_fmac_f64_e32 v[22:23], v[22:23], v[28:29]
	v_fma_f64 v[28:29], -v[20:21], v[22:23], 1.0
	s_delay_alu instid0(VALU_DEP_1) | instskip(NEXT) | instid1(VALU_DEP_1)
	v_fmac_f64_e32 v[22:23], v[22:23], v[28:29]
	v_mul_f64_e32 v[28:29], v[30:31], v[22:23]
	s_delay_alu instid0(VALU_DEP_1) | instskip(NEXT) | instid1(VALU_DEP_1)
	v_fma_f64 v[20:21], -v[20:21], v[28:29], v[30:31]
	v_div_fmas_f64 v[20:21], v[20:21], v[22:23], v[28:29]
	s_delay_alu instid0(VALU_DEP_1) | instskip(NEXT) | instid1(VALU_DEP_1)
	v_div_fixup_f64 v[22:23], v[20:21], v[0:1], v[2:3]
	v_fmac_f64_e32 v[0:1], v[2:3], v[22:23]
	s_delay_alu instid0(VALU_DEP_1) | instskip(NEXT) | instid1(VALU_DEP_1)
	v_div_scale_f64 v[2:3], null, v[0:1], v[0:1], 1.0
	v_rcp_f64_e32 v[20:21], v[2:3]
	v_nop
	s_delay_alu instid0(TRANS32_DEP_1) | instskip(NEXT) | instid1(VALU_DEP_1)
	v_fma_f64 v[28:29], -v[2:3], v[20:21], 1.0
	v_fmac_f64_e32 v[20:21], v[20:21], v[28:29]
	s_delay_alu instid0(VALU_DEP_1) | instskip(NEXT) | instid1(VALU_DEP_1)
	v_fma_f64 v[28:29], -v[2:3], v[20:21], 1.0
	v_fmac_f64_e32 v[20:21], v[20:21], v[28:29]
	v_div_scale_f64 v[28:29], vcc_lo, 1.0, v[0:1], 1.0
	s_delay_alu instid0(VALU_DEP_1) | instskip(NEXT) | instid1(VALU_DEP_1)
	v_mul_f64_e32 v[30:31], v[28:29], v[20:21]
	v_fma_f64 v[2:3], -v[2:3], v[30:31], v[28:29]
	s_delay_alu instid0(VALU_DEP_1) | instskip(NEXT) | instid1(VALU_DEP_1)
	v_div_fmas_f64 v[2:3], v[2:3], v[20:21], v[30:31]
	v_div_fixup_f64 v[20:21], v[2:3], v[0:1], 1.0
	s_delay_alu instid0(VALU_DEP_1)
	v_mul_f64_e64 v[22:23], v[22:23], -v[20:21]
	s_branch .LBB254_9
.LBB254_21:                             ;   in Loop: Header=BB254_6 Depth=1
	s_mov_b64 s[34:35], s[16:17]
	s_and_saveexec_b32 s3, s43
	s_cbranch_execz .LBB254_5
	s_branch .LBB254_23
.LBB254_22:                             ;   in Loop: Header=BB254_6 Depth=1
	s_load_b32 s3, s[24:25], 0xc
	s_mov_b32 s35, s31
	s_mov_b64 s[20:21], s[14:15]
	s_wait_kmcnt 0x0
	s_and_b32 s34, s3, 0xffff
	s_and_saveexec_b32 s3, s43
	s_cbranch_execz .LBB254_5
.LBB254_23:                             ;   in Loop: Header=BB254_6 Depth=1
	s_mul_u64 s[36:37], s[26:27], s[30:31]
	s_and_not1_b32 vcc_lo, exec_lo, s41
	v_lshl_add_u64 v[18:19], s[36:37], 4, v[16:17]
	global_load_b128 v[4:7], v[18:19], off
	s_wait_loadcnt 0x0
	v_mul_f64_e32 v[0:1], s[10:11], v[6:7]
	v_mul_f64_e32 v[2:3], s[8:9], v[6:7]
	s_delay_alu instid0(VALU_DEP_2) | instskip(NEXT) | instid1(VALU_DEP_2)
	v_fma_f64 v[0:1], s[8:9], v[4:5], -v[0:1]
	v_fmac_f64_e32 v[2:3], s[10:11], v[4:5]
	s_cbranch_vccnz .LBB254_36
; %bb.24:                               ;   in Loop: Header=BB254_6 Depth=1
	v_mad_nc_u64_u32 v[4:5], v10, s34, v[10:11]
	v_add_nc_u64_e32 v[6:7], s[20:21], v[14:15]
	s_mul_i32 s36, s13, s34
	s_mul_i32 s37, s12, s35
	s_mov_b64 s[38:39], s[22:23]
	s_delay_alu instid0(VALU_DEP_1) | instskip(NEXT) | instid1(VALU_DEP_3)
	v_mad_nc_u64_u32 v[20:21], s12, s34, v[6:7]
	v_mad_u32 v5, v10, s35, v5
	s_delay_alu instid0(VALU_DEP_2) | instskip(SKIP_1) | instid1(SALU_CYCLE_1)
	v_add3_u32 v21, s37, s36, v21
	s_lshl_b64 s[36:37], s[34:35], 4
	s_sub_nc_u64 s[36:37], 0, s[36:37]
	s_delay_alu instid0(VALU_DEP_2)
	v_lshl_add_u64 v[22:23], v[4:5], 4, s[20:21]
	s_branch .LBB254_26
.LBB254_25:                             ;   in Loop: Header=BB254_26 Depth=2
	s_wait_xcnt 0x0
	s_or_b32 exec_lo, exec_lo, s45
	s_add_nc_u64 s[46:47], s[38:39], 1
	v_add_nc_u64_e32 v[20:21], s[36:37], v[20:21]
	v_cmp_lt_u64_e64 s45, s[46:47], 3
	s_add_nc_u64 s[38:39], s[38:39], -1
	s_and_b32 vcc_lo, exec_lo, s45
	s_cbranch_vccnz .LBB254_36
.LBB254_26:                             ;   Parent Loop BB254_6 Depth=1
                                        ; =>  This Inner Loop Header: Depth=2
	s_mov_b32 s45, exec_lo
	s_wait_dscnt 0x0
	s_barrier_signal -1
	s_barrier_wait -1
	s_wait_xcnt 0x0
	v_cmpx_eq_u64_e64 s[38:39], v[10:11]
	s_cbranch_execz .LBB254_34
; %bb.27:                               ;   in Loop: Header=BB254_26 Depth=2
	flat_load_b128 v[4:7], v[22:23]
	s_and_not1_b32 vcc_lo, exec_lo, s33
	s_cbranch_vccnz .LBB254_33
; %bb.28:                               ;   in Loop: Header=BB254_26 Depth=2
	s_wait_loadcnt_dscnt 0x0
	v_cmp_ngt_f64_e64 s46, |v[4:5]|, |v[6:7]|
	s_wait_xcnt 0x0
	s_and_saveexec_b32 s47, s46
	s_delay_alu instid0(SALU_CYCLE_1)
	s_xor_b32 s46, exec_lo, s47
	s_cbranch_execz .LBB254_30
; %bb.29:                               ;   in Loop: Header=BB254_26 Depth=2
	v_div_scale_f64 v[28:29], null, v[6:7], v[6:7], v[4:5]
	v_div_scale_f64 v[34:35], vcc_lo, v[4:5], v[6:7], v[4:5]
	s_delay_alu instid0(VALU_DEP_2) | instskip(SKIP_1) | instid1(TRANS32_DEP_1)
	v_rcp_f64_e32 v[30:31], v[28:29]
	v_nop
	v_fma_f64 v[32:33], -v[28:29], v[30:31], 1.0
	s_delay_alu instid0(VALU_DEP_1) | instskip(NEXT) | instid1(VALU_DEP_1)
	v_fmac_f64_e32 v[30:31], v[30:31], v[32:33]
	v_fma_f64 v[32:33], -v[28:29], v[30:31], 1.0
	s_delay_alu instid0(VALU_DEP_1) | instskip(NEXT) | instid1(VALU_DEP_1)
	v_fmac_f64_e32 v[30:31], v[30:31], v[32:33]
	v_mul_f64_e32 v[32:33], v[34:35], v[30:31]
	s_delay_alu instid0(VALU_DEP_1) | instskip(NEXT) | instid1(VALU_DEP_1)
	v_fma_f64 v[28:29], -v[28:29], v[32:33], v[34:35]
	v_div_fmas_f64 v[28:29], v[28:29], v[30:31], v[32:33]
	s_delay_alu instid0(VALU_DEP_1) | instskip(NEXT) | instid1(VALU_DEP_1)
	v_div_fixup_f64 v[28:29], v[28:29], v[6:7], v[4:5]
	v_fmac_f64_e32 v[6:7], v[4:5], v[28:29]
	s_delay_alu instid0(VALU_DEP_1) | instskip(NEXT) | instid1(VALU_DEP_1)
	v_div_scale_f64 v[4:5], null, v[6:7], v[6:7], 1.0
	v_rcp_f64_e32 v[30:31], v[4:5]
	v_nop
	s_delay_alu instid0(TRANS32_DEP_1) | instskip(NEXT) | instid1(VALU_DEP_1)
	v_fma_f64 v[32:33], -v[4:5], v[30:31], 1.0
	v_fmac_f64_e32 v[30:31], v[30:31], v[32:33]
	s_delay_alu instid0(VALU_DEP_1) | instskip(NEXT) | instid1(VALU_DEP_1)
	v_fma_f64 v[32:33], -v[4:5], v[30:31], 1.0
	v_fmac_f64_e32 v[30:31], v[30:31], v[32:33]
	v_div_scale_f64 v[32:33], vcc_lo, 1.0, v[6:7], 1.0
	s_delay_alu instid0(VALU_DEP_1) | instskip(NEXT) | instid1(VALU_DEP_1)
	v_mul_f64_e32 v[34:35], v[32:33], v[30:31]
	v_fma_f64 v[4:5], -v[4:5], v[34:35], v[32:33]
	s_delay_alu instid0(VALU_DEP_1) | instskip(NEXT) | instid1(VALU_DEP_1)
	v_div_fmas_f64 v[4:5], v[4:5], v[30:31], v[34:35]
	v_div_fixup_f64 v[6:7], v[4:5], v[6:7], 1.0
	s_delay_alu instid0(VALU_DEP_1)
	v_mul_f64_e32 v[4:5], v[28:29], v[6:7]
	v_xor_b32_e32 v7, 0x80000000, v7
.LBB254_30:                             ;   in Loop: Header=BB254_26 Depth=2
	s_and_not1_saveexec_b32 s46, s46
	s_cbranch_execz .LBB254_32
; %bb.31:                               ;   in Loop: Header=BB254_26 Depth=2
	s_delay_alu instid0(VALU_DEP_1) | instskip(SKIP_1) | instid1(VALU_DEP_2)
	v_div_scale_f64 v[28:29], null, v[4:5], v[4:5], v[6:7]
	v_div_scale_f64 v[34:35], vcc_lo, v[6:7], v[4:5], v[6:7]
	v_rcp_f64_e32 v[30:31], v[28:29]
	v_nop
	s_delay_alu instid0(TRANS32_DEP_1) | instskip(NEXT) | instid1(VALU_DEP_1)
	v_fma_f64 v[32:33], -v[28:29], v[30:31], 1.0
	v_fmac_f64_e32 v[30:31], v[30:31], v[32:33]
	s_delay_alu instid0(VALU_DEP_1) | instskip(NEXT) | instid1(VALU_DEP_1)
	v_fma_f64 v[32:33], -v[28:29], v[30:31], 1.0
	v_fmac_f64_e32 v[30:31], v[30:31], v[32:33]
	s_delay_alu instid0(VALU_DEP_1) | instskip(NEXT) | instid1(VALU_DEP_1)
	v_mul_f64_e32 v[32:33], v[34:35], v[30:31]
	v_fma_f64 v[28:29], -v[28:29], v[32:33], v[34:35]
	s_delay_alu instid0(VALU_DEP_1) | instskip(NEXT) | instid1(VALU_DEP_1)
	v_div_fmas_f64 v[28:29], v[28:29], v[30:31], v[32:33]
	v_div_fixup_f64 v[28:29], v[28:29], v[4:5], v[6:7]
	s_delay_alu instid0(VALU_DEP_1) | instskip(NEXT) | instid1(VALU_DEP_1)
	v_fmac_f64_e32 v[4:5], v[6:7], v[28:29]
	v_div_scale_f64 v[6:7], null, v[4:5], v[4:5], 1.0
	s_delay_alu instid0(VALU_DEP_1) | instskip(SKIP_1) | instid1(TRANS32_DEP_1)
	v_rcp_f64_e32 v[30:31], v[6:7]
	v_nop
	v_fma_f64 v[32:33], -v[6:7], v[30:31], 1.0
	s_delay_alu instid0(VALU_DEP_1) | instskip(NEXT) | instid1(VALU_DEP_1)
	v_fmac_f64_e32 v[30:31], v[30:31], v[32:33]
	v_fma_f64 v[32:33], -v[6:7], v[30:31], 1.0
	s_delay_alu instid0(VALU_DEP_1) | instskip(SKIP_1) | instid1(VALU_DEP_1)
	v_fmac_f64_e32 v[30:31], v[30:31], v[32:33]
	v_div_scale_f64 v[32:33], vcc_lo, 1.0, v[4:5], 1.0
	v_mul_f64_e32 v[34:35], v[32:33], v[30:31]
	s_delay_alu instid0(VALU_DEP_1) | instskip(NEXT) | instid1(VALU_DEP_1)
	v_fma_f64 v[6:7], -v[6:7], v[34:35], v[32:33]
	v_div_fmas_f64 v[6:7], v[6:7], v[30:31], v[34:35]
	s_delay_alu instid0(VALU_DEP_1) | instskip(NEXT) | instid1(VALU_DEP_1)
	v_div_fixup_f64 v[4:5], v[6:7], v[4:5], 1.0
	v_mul_f64_e64 v[6:7], v[28:29], -v[4:5]
.LBB254_32:                             ;   in Loop: Header=BB254_26 Depth=2
	s_or_b32 exec_lo, exec_lo, s46
.LBB254_33:                             ;   in Loop: Header=BB254_26 Depth=2
	s_wait_loadcnt_dscnt 0x0
	s_delay_alu instid0(VALU_DEP_1) | instskip(SKIP_1) | instid1(VALU_DEP_2)
	v_mul_f64_e32 v[28:29], v[0:1], v[6:7]
	v_mul_f64_e32 v[6:7], v[2:3], v[6:7]
	v_fmac_f64_e32 v[28:29], v[2:3], v[4:5]
	s_delay_alu instid0(VALU_DEP_2) | instskip(NEXT) | instid1(VALU_DEP_2)
	v_fma_f64 v[4:5], v[0:1], v[4:5], -v[6:7]
	v_mov_b64_e32 v[2:3], v[28:29]
	s_delay_alu instid0(VALU_DEP_2)
	v_mov_b64_e32 v[0:1], v[4:5]
	ds_store_2addr_b64 v26, v[4:5], v[28:29] offset1:1
.LBB254_34:                             ;   in Loop: Header=BB254_26 Depth=2
	s_wait_xcnt 0x0
	s_or_b32 exec_lo, exec_lo, s45
	s_delay_alu instid0(SALU_CYCLE_1)
	s_mov_b32 s45, exec_lo
	s_wait_dscnt 0x0
	s_barrier_signal -1
	s_barrier_wait -1
	v_cmpx_gt_i64_e64 s[38:39], v[10:11]
	s_cbranch_execz .LBB254_25
; %bb.35:                               ;   in Loop: Header=BB254_26 Depth=2
	flat_load_b128 v[4:7], v[20:21] offset:-8
	ds_load_2addr_b64 v[28:31], v26 offset1:1
	s_wait_loadcnt_dscnt 0x1
	v_xor_b32_e32 v32, 0x80000000, v7
	s_delay_alu instid0(VALU_DEP_1) | instskip(SKIP_1) | instid1(VALU_DEP_1)
	v_cndmask_b32_e64 v7, v7, v32, s0
	s_wait_dscnt 0x0
	v_mul_f64_e32 v[32:33], v[6:7], v[30:31]
	v_mul_f64_e32 v[30:31], v[4:5], v[30:31]
	s_delay_alu instid0(VALU_DEP_2) | instskip(NEXT) | instid1(VALU_DEP_2)
	v_fma_f64 v[4:5], v[4:5], v[28:29], -v[32:33]
	v_fmac_f64_e32 v[30:31], v[6:7], v[28:29]
	s_delay_alu instid0(VALU_DEP_2) | instskip(NEXT) | instid1(VALU_DEP_2)
	v_add_f64_e64 v[0:1], v[0:1], -v[4:5]
	v_add_f64_e64 v[2:3], v[2:3], -v[30:31]
	s_branch .LBB254_25
.LBB254_36:                             ;   in Loop: Header=BB254_6 Depth=1
	s_wait_xcnt 0x0
	s_and_saveexec_b32 s36, s1
	s_cbranch_execz .LBB254_4
; %bb.37:                               ;   in Loop: Header=BB254_6 Depth=1
	v_mad_nc_u64_u32 v[4:5], v10, s34, v[10:11]
	s_and_not1_b32 vcc_lo, exec_lo, s33
	s_delay_alu instid0(VALU_DEP_1) | instskip(NEXT) | instid1(VALU_DEP_1)
	v_mad_u32 v5, v10, s35, v5
	v_lshl_add_u64 v[4:5], v[4:5], 4, s[20:21]
	flat_load_b128 v[4:7], v[4:5]
	s_cbranch_vccnz .LBB254_3
; %bb.38:                               ;   in Loop: Header=BB254_6 Depth=1
	s_wait_loadcnt_dscnt 0x0
	v_cmp_ngt_f64_e64 s20, |v[4:5]|, |v[6:7]|
	s_wait_xcnt 0x0
	s_and_saveexec_b32 s21, s20
	s_delay_alu instid0(SALU_CYCLE_1)
	s_xor_b32 s20, exec_lo, s21
	s_cbranch_execz .LBB254_40
; %bb.39:                               ;   in Loop: Header=BB254_6 Depth=1
	v_div_scale_f64 v[20:21], null, v[6:7], v[6:7], v[4:5]
	v_div_scale_f64 v[30:31], vcc_lo, v[4:5], v[6:7], v[4:5]
	s_delay_alu instid0(VALU_DEP_2) | instskip(SKIP_1) | instid1(TRANS32_DEP_1)
	v_rcp_f64_e32 v[22:23], v[20:21]
	v_nop
	v_fma_f64 v[28:29], -v[20:21], v[22:23], 1.0
	s_delay_alu instid0(VALU_DEP_1) | instskip(NEXT) | instid1(VALU_DEP_1)
	v_fmac_f64_e32 v[22:23], v[22:23], v[28:29]
	v_fma_f64 v[28:29], -v[20:21], v[22:23], 1.0
	s_delay_alu instid0(VALU_DEP_1) | instskip(NEXT) | instid1(VALU_DEP_1)
	v_fmac_f64_e32 v[22:23], v[22:23], v[28:29]
	v_mul_f64_e32 v[28:29], v[30:31], v[22:23]
	s_delay_alu instid0(VALU_DEP_1) | instskip(NEXT) | instid1(VALU_DEP_1)
	v_fma_f64 v[20:21], -v[20:21], v[28:29], v[30:31]
	v_div_fmas_f64 v[20:21], v[20:21], v[22:23], v[28:29]
	s_delay_alu instid0(VALU_DEP_1) | instskip(NEXT) | instid1(VALU_DEP_1)
	v_div_fixup_f64 v[20:21], v[20:21], v[6:7], v[4:5]
	v_fmac_f64_e32 v[6:7], v[4:5], v[20:21]
	s_delay_alu instid0(VALU_DEP_1) | instskip(NEXT) | instid1(VALU_DEP_1)
	v_div_scale_f64 v[4:5], null, v[6:7], v[6:7], 1.0
	v_rcp_f64_e32 v[22:23], v[4:5]
	v_nop
	s_delay_alu instid0(TRANS32_DEP_1) | instskip(NEXT) | instid1(VALU_DEP_1)
	v_fma_f64 v[28:29], -v[4:5], v[22:23], 1.0
	v_fmac_f64_e32 v[22:23], v[22:23], v[28:29]
	s_delay_alu instid0(VALU_DEP_1) | instskip(NEXT) | instid1(VALU_DEP_1)
	v_fma_f64 v[28:29], -v[4:5], v[22:23], 1.0
	v_fmac_f64_e32 v[22:23], v[22:23], v[28:29]
	v_div_scale_f64 v[28:29], vcc_lo, 1.0, v[6:7], 1.0
	s_delay_alu instid0(VALU_DEP_1) | instskip(NEXT) | instid1(VALU_DEP_1)
	v_mul_f64_e32 v[30:31], v[28:29], v[22:23]
	v_fma_f64 v[4:5], -v[4:5], v[30:31], v[28:29]
	s_delay_alu instid0(VALU_DEP_1) | instskip(NEXT) | instid1(VALU_DEP_1)
	v_div_fmas_f64 v[4:5], v[4:5], v[22:23], v[30:31]
	v_div_fixup_f64 v[6:7], v[4:5], v[6:7], 1.0
	s_delay_alu instid0(VALU_DEP_1)
	v_mul_f64_e32 v[4:5], v[20:21], v[6:7]
	v_xor_b32_e32 v7, 0x80000000, v7
.LBB254_40:                             ;   in Loop: Header=BB254_6 Depth=1
	s_and_not1_saveexec_b32 s20, s20
	s_cbranch_execz .LBB254_2
; %bb.41:                               ;   in Loop: Header=BB254_6 Depth=1
	s_delay_alu instid0(VALU_DEP_1) | instskip(SKIP_1) | instid1(VALU_DEP_2)
	v_div_scale_f64 v[20:21], null, v[4:5], v[4:5], v[6:7]
	v_div_scale_f64 v[30:31], vcc_lo, v[6:7], v[4:5], v[6:7]
	v_rcp_f64_e32 v[22:23], v[20:21]
	v_nop
	s_delay_alu instid0(TRANS32_DEP_1) | instskip(NEXT) | instid1(VALU_DEP_1)
	v_fma_f64 v[28:29], -v[20:21], v[22:23], 1.0
	v_fmac_f64_e32 v[22:23], v[22:23], v[28:29]
	s_delay_alu instid0(VALU_DEP_1) | instskip(NEXT) | instid1(VALU_DEP_1)
	v_fma_f64 v[28:29], -v[20:21], v[22:23], 1.0
	v_fmac_f64_e32 v[22:23], v[22:23], v[28:29]
	s_delay_alu instid0(VALU_DEP_1) | instskip(NEXT) | instid1(VALU_DEP_1)
	v_mul_f64_e32 v[28:29], v[30:31], v[22:23]
	v_fma_f64 v[20:21], -v[20:21], v[28:29], v[30:31]
	s_delay_alu instid0(VALU_DEP_1) | instskip(NEXT) | instid1(VALU_DEP_1)
	v_div_fmas_f64 v[20:21], v[20:21], v[22:23], v[28:29]
	v_div_fixup_f64 v[20:21], v[20:21], v[4:5], v[6:7]
	s_delay_alu instid0(VALU_DEP_1) | instskip(NEXT) | instid1(VALU_DEP_1)
	v_fmac_f64_e32 v[4:5], v[6:7], v[20:21]
	v_div_scale_f64 v[6:7], null, v[4:5], v[4:5], 1.0
	s_delay_alu instid0(VALU_DEP_1) | instskip(SKIP_1) | instid1(TRANS32_DEP_1)
	v_rcp_f64_e32 v[22:23], v[6:7]
	v_nop
	v_fma_f64 v[28:29], -v[6:7], v[22:23], 1.0
	s_delay_alu instid0(VALU_DEP_1) | instskip(NEXT) | instid1(VALU_DEP_1)
	v_fmac_f64_e32 v[22:23], v[22:23], v[28:29]
	v_fma_f64 v[28:29], -v[6:7], v[22:23], 1.0
	s_delay_alu instid0(VALU_DEP_1) | instskip(SKIP_1) | instid1(VALU_DEP_1)
	v_fmac_f64_e32 v[22:23], v[22:23], v[28:29]
	v_div_scale_f64 v[28:29], vcc_lo, 1.0, v[4:5], 1.0
	v_mul_f64_e32 v[30:31], v[28:29], v[22:23]
	s_delay_alu instid0(VALU_DEP_1) | instskip(NEXT) | instid1(VALU_DEP_1)
	v_fma_f64 v[6:7], -v[6:7], v[30:31], v[28:29]
	v_div_fmas_f64 v[6:7], v[6:7], v[22:23], v[30:31]
	s_delay_alu instid0(VALU_DEP_1) | instskip(NEXT) | instid1(VALU_DEP_1)
	v_div_fixup_f64 v[4:5], v[6:7], v[4:5], 1.0
	v_mul_f64_e64 v[6:7], v[20:21], -v[4:5]
	s_branch .LBB254_2
.LBB254_42:
	s_endpgm
	.section	.rodata,"a",@progbits
	.p2align	6, 0x0
	.amdhsa_kernel _ZL40rocblas_trsm_block_backward_substitutionI19rocblas_complex_numIdES1_PKS1_PS1_Lb1ELb0ELb0EEv18rocblas_operation_llT0_T1_lllT2_lllib
		.amdhsa_group_segment_fixed_size 0
		.amdhsa_private_segment_fixed_size 0
		.amdhsa_kernarg_size 368
		.amdhsa_user_sgpr_count 2
		.amdhsa_user_sgpr_dispatch_ptr 0
		.amdhsa_user_sgpr_queue_ptr 0
		.amdhsa_user_sgpr_kernarg_segment_ptr 1
		.amdhsa_user_sgpr_dispatch_id 0
		.amdhsa_user_sgpr_kernarg_preload_length 0
		.amdhsa_user_sgpr_kernarg_preload_offset 0
		.amdhsa_user_sgpr_private_segment_size 0
		.amdhsa_wavefront_size32 1
		.amdhsa_uses_dynamic_stack 0
		.amdhsa_enable_private_segment 0
		.amdhsa_system_sgpr_workgroup_id_x 1
		.amdhsa_system_sgpr_workgroup_id_y 1
		.amdhsa_system_sgpr_workgroup_id_z 1
		.amdhsa_system_sgpr_workgroup_info 0
		.amdhsa_system_vgpr_workitem_id 1
		.amdhsa_next_free_vgpr 36
		.amdhsa_next_free_sgpr 48
		.amdhsa_named_barrier_count 0
		.amdhsa_reserve_vcc 1
		.amdhsa_float_round_mode_32 0
		.amdhsa_float_round_mode_16_64 0
		.amdhsa_float_denorm_mode_32 3
		.amdhsa_float_denorm_mode_16_64 3
		.amdhsa_fp16_overflow 0
		.amdhsa_memory_ordered 1
		.amdhsa_forward_progress 1
		.amdhsa_inst_pref_size 22
		.amdhsa_round_robin_scheduling 0
		.amdhsa_exception_fp_ieee_invalid_op 0
		.amdhsa_exception_fp_denorm_src 0
		.amdhsa_exception_fp_ieee_div_zero 0
		.amdhsa_exception_fp_ieee_overflow 0
		.amdhsa_exception_fp_ieee_underflow 0
		.amdhsa_exception_fp_ieee_inexact 0
		.amdhsa_exception_int_div_zero 0
	.end_amdhsa_kernel
	.section	.text._ZL40rocblas_trsm_block_backward_substitutionI19rocblas_complex_numIdES1_PKS1_PS1_Lb1ELb0ELb0EEv18rocblas_operation_llT0_T1_lllT2_lllib,"axG",@progbits,_ZL40rocblas_trsm_block_backward_substitutionI19rocblas_complex_numIdES1_PKS1_PS1_Lb1ELb0ELb0EEv18rocblas_operation_llT0_T1_lllT2_lllib,comdat
.Lfunc_end254:
	.size	_ZL40rocblas_trsm_block_backward_substitutionI19rocblas_complex_numIdES1_PKS1_PS1_Lb1ELb0ELb0EEv18rocblas_operation_llT0_T1_lllT2_lllib, .Lfunc_end254-_ZL40rocblas_trsm_block_backward_substitutionI19rocblas_complex_numIdES1_PKS1_PS1_Lb1ELb0ELb0EEv18rocblas_operation_llT0_T1_lllT2_lllib
                                        ; -- End function
	.set _ZL40rocblas_trsm_block_backward_substitutionI19rocblas_complex_numIdES1_PKS1_PS1_Lb1ELb0ELb0EEv18rocblas_operation_llT0_T1_lllT2_lllib.num_vgpr, 36
	.set _ZL40rocblas_trsm_block_backward_substitutionI19rocblas_complex_numIdES1_PKS1_PS1_Lb1ELb0ELb0EEv18rocblas_operation_llT0_T1_lllT2_lllib.num_agpr, 0
	.set _ZL40rocblas_trsm_block_backward_substitutionI19rocblas_complex_numIdES1_PKS1_PS1_Lb1ELb0ELb0EEv18rocblas_operation_llT0_T1_lllT2_lllib.numbered_sgpr, 48
	.set _ZL40rocblas_trsm_block_backward_substitutionI19rocblas_complex_numIdES1_PKS1_PS1_Lb1ELb0ELb0EEv18rocblas_operation_llT0_T1_lllT2_lllib.num_named_barrier, 0
	.set _ZL40rocblas_trsm_block_backward_substitutionI19rocblas_complex_numIdES1_PKS1_PS1_Lb1ELb0ELb0EEv18rocblas_operation_llT0_T1_lllT2_lllib.private_seg_size, 0
	.set _ZL40rocblas_trsm_block_backward_substitutionI19rocblas_complex_numIdES1_PKS1_PS1_Lb1ELb0ELb0EEv18rocblas_operation_llT0_T1_lllT2_lllib.uses_vcc, 1
	.set _ZL40rocblas_trsm_block_backward_substitutionI19rocblas_complex_numIdES1_PKS1_PS1_Lb1ELb0ELb0EEv18rocblas_operation_llT0_T1_lllT2_lllib.uses_flat_scratch, 0
	.set _ZL40rocblas_trsm_block_backward_substitutionI19rocblas_complex_numIdES1_PKS1_PS1_Lb1ELb0ELb0EEv18rocblas_operation_llT0_T1_lllT2_lllib.has_dyn_sized_stack, 0
	.set _ZL40rocblas_trsm_block_backward_substitutionI19rocblas_complex_numIdES1_PKS1_PS1_Lb1ELb0ELb0EEv18rocblas_operation_llT0_T1_lllT2_lllib.has_recursion, 0
	.set _ZL40rocblas_trsm_block_backward_substitutionI19rocblas_complex_numIdES1_PKS1_PS1_Lb1ELb0ELb0EEv18rocblas_operation_llT0_T1_lllT2_lllib.has_indirect_call, 0
	.section	.AMDGPU.csdata,"",@progbits
; Kernel info:
; codeLenInByte = 2740
; TotalNumSgprs: 50
; NumVgprs: 36
; ScratchSize: 0
; MemoryBound: 1
; FloatMode: 240
; IeeeMode: 1
; LDSByteSize: 0 bytes/workgroup (compile time only)
; SGPRBlocks: 0
; VGPRBlocks: 2
; NumSGPRsForWavesPerEU: 50
; NumVGPRsForWavesPerEU: 36
; NamedBarCnt: 0
; Occupancy: 16
; WaveLimiterHint : 0
; COMPUTE_PGM_RSRC2:SCRATCH_EN: 0
; COMPUTE_PGM_RSRC2:USER_SGPR: 2
; COMPUTE_PGM_RSRC2:TRAP_HANDLER: 0
; COMPUTE_PGM_RSRC2:TGID_X_EN: 1
; COMPUTE_PGM_RSRC2:TGID_Y_EN: 1
; COMPUTE_PGM_RSRC2:TGID_Z_EN: 1
; COMPUTE_PGM_RSRC2:TIDIG_COMP_CNT: 1
	.section	.text._ZL39rocblas_trsm_block_forward_substitutionI19rocblas_complex_numIdES1_PKS1_PS1_Lb1ELb0ELb1EEv18rocblas_operation_llT0_T1_lllT2_lllib,"axG",@progbits,_ZL39rocblas_trsm_block_forward_substitutionI19rocblas_complex_numIdES1_PKS1_PS1_Lb1ELb0ELb1EEv18rocblas_operation_llT0_T1_lllT2_lllib,comdat
	.globl	_ZL39rocblas_trsm_block_forward_substitutionI19rocblas_complex_numIdES1_PKS1_PS1_Lb1ELb0ELb1EEv18rocblas_operation_llT0_T1_lllT2_lllib ; -- Begin function _ZL39rocblas_trsm_block_forward_substitutionI19rocblas_complex_numIdES1_PKS1_PS1_Lb1ELb0ELb1EEv18rocblas_operation_llT0_T1_lllT2_lllib
	.p2align	8
	.type	_ZL39rocblas_trsm_block_forward_substitutionI19rocblas_complex_numIdES1_PKS1_PS1_Lb1ELb0ELb1EEv18rocblas_operation_llT0_T1_lllT2_lllib,@function
_ZL39rocblas_trsm_block_forward_substitutionI19rocblas_complex_numIdES1_PKS1_PS1_Lb1ELb0ELb1EEv18rocblas_operation_llT0_T1_lllT2_lllib: ; @_ZL39rocblas_trsm_block_forward_substitutionI19rocblas_complex_numIdES1_PKS1_PS1_Lb1ELb0ELb1EEv18rocblas_operation_llT0_T1_lllT2_lllib
; %bb.0:
	s_load_b64 s[28:29], s[0:1], 0x68
	s_bfe_u32 s2, ttmp6, 0x40014
	s_lshr_b32 s3, ttmp7, 16
	s_add_co_i32 s2, s2, 1
	s_bfe_u32 s4, ttmp6, 0x40008
	s_mul_i32 s2, s3, s2
	s_getreg_b32 s33, hwreg(HW_REG_IB_STS2, 6, 4)
	s_add_co_i32 s4, s4, s2
	s_cmp_eq_u32 s33, 0
	s_mov_b32 s31, 0
	s_cselect_b32 s30, s3, s4
	s_wait_kmcnt 0x0
	s_cmp_ge_u32 s30, s28
	s_cbranch_scc1 .LBB255_19
; %bb.1:
	s_clause 0x3
	s_load_b32 s2, s[0:1], 0x0
	s_load_b512 s[4:19], s[0:1], 0x8
	s_load_b256 s[20:27], s[0:1], 0x48
	s_load_u16 s3, s[0:1], 0x7e
	s_bitcmp1_b32 s29, 0
	s_mov_b64 s[34:35], src_shared_base
	s_cselect_b32 s29, -1, 0
	v_bfe_u32 v14, v0, 10, 10
	v_mov_b32_e32 v3, 0
	v_and_b32_e32 v4, 0x3ff, v0
	s_delay_alu instid0(VALU_DEP_3) | instskip(NEXT) | instid1(VALU_DEP_3)
	v_lshl_add_u32 v15, v14, 4, 0
	v_mov_b32_e32 v5, v3
	s_delay_alu instid0(VALU_DEP_1)
	v_lshlrev_b64_e32 v[6:7], 4, v[4:5]
	s_wait_kmcnt 0x0
	s_cmp_eq_u32 s2, 0x71
	s_cselect_b32 s2, -1, 0
	s_lshl_b64 s[36:37], s[14:15], 4
	s_bfe_u32 s14, ttmp6, 0x40010
	s_and_b32 s15, ttmp7, 0xffff
	s_add_co_i32 s14, s14, 1
	s_bfe_u32 s34, ttmp6, 0x40004
	s_mul_i32 s14, s15, s14
	s_lshl_b64 s[38:39], s[22:23], 4
	s_add_co_i32 s34, s34, s14
	s_cmp_eq_u32 s33, 0
	s_add_nc_u64 s[20:21], s[20:21], s[38:39]
	s_cselect_b32 s14, s15, s34
	v_cmp_gt_i64_e64 s33, s[4:5], 1
	v_mad_u32 v2, s14, s3, v14
	s_add_nc_u64 s[14:15], s[0:1], 0x70
	v_cmp_gt_i64_e64 s0, s[4:5], v[4:5]
	s_lshl_b32 s1, s3, 4
	s_mov_b32 s23, s35
	s_add_co_i32 s22, s1, 0
	v_cmp_gt_i64_e64 s1, s[4:5], 0
	v_lshl_add_u32 v16, v4, 4, s22
	s_add_nc_u64 s[12:13], s[12:13], s[36:37]
	v_mul_u64_e32 v[8:9], s[24:25], v[2:3]
	v_cmp_gt_i64_e32 vcc_lo, s[6:7], v[2:3]
	s_add_nc_u64 s[6:7], s[4:5], -1
	s_and_b32 s36, vcc_lo, s0
	s_delay_alu instid0(VALU_DEP_2) | instskip(SKIP_1) | instid1(VALU_DEP_1)
	v_lshl_add_u64 v[0:1], v[8:9], 4, s[20:21]
	s_mov_b64 s[20:21], 1
	v_add_nc_u64_e32 v[8:9], v[0:1], v[6:7]
	s_branch .LBB255_4
.LBB255_2:                              ;   in Loop: Header=BB255_4 Depth=1
	global_store_b128 v[10:11], v[0:3], off
.LBB255_3:                              ;   in Loop: Header=BB255_4 Depth=1
	s_wait_xcnt 0x0
	s_or_b32 exec_lo, exec_lo, s37
	s_add_co_i32 s30, s30, 0x10000
	s_delay_alu instid0(SALU_CYCLE_1)
	s_cmp_lt_u32 s30, s28
	s_cbranch_scc0 .LBB255_19
.LBB255_4:                              ; =>This Loop Header: Depth=1
                                        ;     Child Loop BB255_9 Depth 2
                                        ;     Child Loop BB255_15 Depth 2
	s_mul_u64 s[24:25], s[18:19], s[30:31]
	s_and_not1_b32 vcc_lo, exec_lo, s29
	s_lshl_b64 s[24:25], s[24:25], 4
	s_delay_alu instid0(SALU_CYCLE_1)
	s_add_nc_u64 s[24:25], s[12:13], s[24:25]
	s_cbranch_vccz .LBB255_6
; %bb.5:                                ;   in Loop: Header=BB255_4 Depth=1
	s_and_saveexec_b32 s37, s36
	s_cbranch_execz .LBB255_3
	s_branch .LBB255_12
.LBB255_6:                              ;   in Loop: Header=BB255_4 Depth=1
	s_and_not1_b32 vcc_lo, exec_lo, s1
	s_cbranch_vccnz .LBB255_11
; %bb.7:                                ;   in Loop: Header=BB255_4 Depth=1
	v_mul_u64_e32 v[0:1], s[16:17], v[4:5]
	s_mov_b32 s16, 0
	s_delay_alu instid0(VALU_DEP_1)
	v_lshl_add_u64 v[0:1], v[0:1], 4, s[24:25]
	s_branch .LBB255_9
.LBB255_8:                              ;   in Loop: Header=BB255_9 Depth=2
	s_wait_xcnt 0x0
	s_or_b32 exec_lo, exec_lo, s17
	s_add_co_i32 s16, s16, s3
	s_delay_alu instid0(SALU_CYCLE_1) | instskip(NEXT) | instid1(SALU_CYCLE_1)
	s_ashr_i32 s17, s16, 31
	v_cmp_le_i64_e64 s17, s[4:5], s[16:17]
	s_and_b32 vcc_lo, exec_lo, s17
	s_cbranch_vccnz .LBB255_11
.LBB255_9:                              ;   Parent Loop BB255_4 Depth=1
                                        ; =>  This Inner Loop Header: Depth=2
	v_add_nc_u32_e32 v2, s16, v14
	s_delay_alu instid0(VALU_DEP_1) | instskip(SKIP_1) | instid1(SALU_CYCLE_1)
	v_cmp_gt_i32_e32 vcc_lo, v4, v2
	s_and_b32 s24, s0, vcc_lo
	s_and_saveexec_b32 s17, s24
	s_cbranch_execz .LBB255_8
; %bb.10:                               ;   in Loop: Header=BB255_9 Depth=2
	v_ashrrev_i32_e32 v3, 31, v2
	s_load_b32 s24, s[14:15], 0xc
	s_delay_alu instid0(VALU_DEP_1) | instskip(SKIP_2) | instid1(SALU_CYCLE_1)
	v_mul_u64_e32 v[10:11], s[20:21], v[2:3]
	s_wait_kmcnt 0x0
	s_and_b32 s24, s24, 0xffff
	v_mul_lo_u32 v2, v2, s24
	s_delay_alu instid0(VALU_DEP_1) | instskip(NEXT) | instid1(VALU_DEP_3)
	v_lshl_add_u32 v2, v2, 4, v16
	v_lshl_add_u64 v[10:11], v[10:11], 4, v[0:1]
	global_load_b128 v[10:13], v[10:11], off
	s_wait_loadcnt 0x0
	ds_store_2addr_b64 v2, v[10:11], v[12:13] offset1:1
	s_branch .LBB255_8
.LBB255_11:                             ;   in Loop: Header=BB255_4 Depth=1
	s_load_b32 s20, s[14:15], 0xc
	s_mov_b32 s21, s31
	s_mov_b64 s[16:17], 1
	s_mov_b64 s[24:25], s[22:23]
	s_wait_kmcnt 0x0
	s_and_b32 s20, s20, 0xffff
	s_and_saveexec_b32 s37, s36
	s_cbranch_execz .LBB255_3
.LBB255_12:                             ;   in Loop: Header=BB255_4 Depth=1
	s_mul_u64 s[34:35], s[26:27], s[30:31]
	s_and_not1_b32 vcc_lo, exec_lo, s33
	v_lshl_add_u64 v[10:11], s[34:35], 4, v[8:9]
	global_load_b128 v[18:21], v[10:11], off
	s_wait_loadcnt 0x0
	v_mul_f64_e32 v[0:1], s[10:11], v[20:21]
	v_mul_f64_e32 v[2:3], s[8:9], v[20:21]
	s_delay_alu instid0(VALU_DEP_2) | instskip(NEXT) | instid1(VALU_DEP_2)
	v_fma_f64 v[0:1], s[8:9], v[18:19], -v[0:1]
	v_fmac_f64_e32 v[2:3], s[10:11], v[18:19]
	s_cbranch_vccnz .LBB255_2
; %bb.13:                               ;   in Loop: Header=BB255_4 Depth=1
	v_mad_nc_u64_u32 v[12:13], v6, s16, s[24:25]
	s_lshl_b64 s[24:25], s[20:21], 4
	s_mov_b64 s[34:35], 0
	s_delay_alu instid0(VALU_DEP_1) | instskip(NEXT) | instid1(VALU_DEP_1)
	v_mad_u32 v13, v6, s17, v13
	v_add_nc_u64_e32 v[12:13], 8, v[12:13]
	s_branch .LBB255_15
.LBB255_14:                             ;   in Loop: Header=BB255_15 Depth=2
	s_wait_xcnt 0x0
	s_or_b32 exec_lo, exec_lo, s38
	v_add_nc_u64_e32 v[12:13], s[24:25], v[12:13]
	s_add_nc_u64 s[34:35], s[34:35], 1
	s_delay_alu instid0(SALU_CYCLE_1)
	s_cmp_eq_u64 s[6:7], s[34:35]
	s_cbranch_scc1 .LBB255_2
.LBB255_15:                             ;   Parent Loop BB255_4 Depth=1
                                        ; =>  This Inner Loop Header: Depth=2
	s_mov_b32 s38, exec_lo
	s_wait_dscnt 0x0
	s_barrier_signal -1
	s_barrier_wait -1
	s_wait_xcnt 0x0
	v_cmpx_eq_u64_e64 s[34:35], v[4:5]
; %bb.16:                               ;   in Loop: Header=BB255_15 Depth=2
	ds_store_2addr_b64 v15, v[0:1], v[2:3] offset1:1
; %bb.17:                               ;   in Loop: Header=BB255_15 Depth=2
	s_or_b32 exec_lo, exec_lo, s38
	s_delay_alu instid0(SALU_CYCLE_1)
	s_mov_b32 s38, exec_lo
	s_wait_dscnt 0x0
	s_barrier_signal -1
	s_barrier_wait -1
	v_cmpx_lt_u64_e64 s[34:35], v[4:5]
	s_cbranch_execz .LBB255_14
; %bb.18:                               ;   in Loop: Header=BB255_15 Depth=2
	flat_load_b128 v[18:21], v[12:13] offset:-8
	ds_load_2addr_b64 v[22:25], v15 offset1:1
	s_wait_loadcnt_dscnt 0x1
	v_xor_b32_e32 v7, 0x80000000, v21
	s_delay_alu instid0(VALU_DEP_1) | instskip(SKIP_1) | instid1(VALU_DEP_1)
	v_cndmask_b32_e64 v21, v21, v7, s2
	s_wait_dscnt 0x0
	v_mul_f64_e32 v[26:27], v[20:21], v[24:25]
	v_mul_f64_e32 v[24:25], v[18:19], v[24:25]
	s_delay_alu instid0(VALU_DEP_2) | instskip(NEXT) | instid1(VALU_DEP_2)
	v_fma_f64 v[18:19], v[18:19], v[22:23], -v[26:27]
	v_fmac_f64_e32 v[24:25], v[20:21], v[22:23]
	s_delay_alu instid0(VALU_DEP_2) | instskip(NEXT) | instid1(VALU_DEP_2)
	v_add_f64_e64 v[0:1], v[0:1], -v[18:19]
	v_add_f64_e64 v[2:3], v[2:3], -v[24:25]
	s_branch .LBB255_14
.LBB255_19:
	s_endpgm
	.section	.rodata,"a",@progbits
	.p2align	6, 0x0
	.amdhsa_kernel _ZL39rocblas_trsm_block_forward_substitutionI19rocblas_complex_numIdES1_PKS1_PS1_Lb1ELb0ELb1EEv18rocblas_operation_llT0_T1_lllT2_lllib
		.amdhsa_group_segment_fixed_size 0
		.amdhsa_private_segment_fixed_size 0
		.amdhsa_kernarg_size 368
		.amdhsa_user_sgpr_count 2
		.amdhsa_user_sgpr_dispatch_ptr 0
		.amdhsa_user_sgpr_queue_ptr 0
		.amdhsa_user_sgpr_kernarg_segment_ptr 1
		.amdhsa_user_sgpr_dispatch_id 0
		.amdhsa_user_sgpr_kernarg_preload_length 0
		.amdhsa_user_sgpr_kernarg_preload_offset 0
		.amdhsa_user_sgpr_private_segment_size 0
		.amdhsa_wavefront_size32 1
		.amdhsa_uses_dynamic_stack 0
		.amdhsa_enable_private_segment 0
		.amdhsa_system_sgpr_workgroup_id_x 1
		.amdhsa_system_sgpr_workgroup_id_y 1
		.amdhsa_system_sgpr_workgroup_id_z 1
		.amdhsa_system_sgpr_workgroup_info 0
		.amdhsa_system_vgpr_workitem_id 1
		.amdhsa_next_free_vgpr 28
		.amdhsa_next_free_sgpr 40
		.amdhsa_named_barrier_count 0
		.amdhsa_reserve_vcc 1
		.amdhsa_float_round_mode_32 0
		.amdhsa_float_round_mode_16_64 0
		.amdhsa_float_denorm_mode_32 3
		.amdhsa_float_denorm_mode_16_64 3
		.amdhsa_fp16_overflow 0
		.amdhsa_memory_ordered 1
		.amdhsa_forward_progress 1
		.amdhsa_inst_pref_size 8
		.amdhsa_round_robin_scheduling 0
		.amdhsa_exception_fp_ieee_invalid_op 0
		.amdhsa_exception_fp_denorm_src 0
		.amdhsa_exception_fp_ieee_div_zero 0
		.amdhsa_exception_fp_ieee_overflow 0
		.amdhsa_exception_fp_ieee_underflow 0
		.amdhsa_exception_fp_ieee_inexact 0
		.amdhsa_exception_int_div_zero 0
	.end_amdhsa_kernel
	.section	.text._ZL39rocblas_trsm_block_forward_substitutionI19rocblas_complex_numIdES1_PKS1_PS1_Lb1ELb0ELb1EEv18rocblas_operation_llT0_T1_lllT2_lllib,"axG",@progbits,_ZL39rocblas_trsm_block_forward_substitutionI19rocblas_complex_numIdES1_PKS1_PS1_Lb1ELb0ELb1EEv18rocblas_operation_llT0_T1_lllT2_lllib,comdat
.Lfunc_end255:
	.size	_ZL39rocblas_trsm_block_forward_substitutionI19rocblas_complex_numIdES1_PKS1_PS1_Lb1ELb0ELb1EEv18rocblas_operation_llT0_T1_lllT2_lllib, .Lfunc_end255-_ZL39rocblas_trsm_block_forward_substitutionI19rocblas_complex_numIdES1_PKS1_PS1_Lb1ELb0ELb1EEv18rocblas_operation_llT0_T1_lllT2_lllib
                                        ; -- End function
	.set _ZL39rocblas_trsm_block_forward_substitutionI19rocblas_complex_numIdES1_PKS1_PS1_Lb1ELb0ELb1EEv18rocblas_operation_llT0_T1_lllT2_lllib.num_vgpr, 28
	.set _ZL39rocblas_trsm_block_forward_substitutionI19rocblas_complex_numIdES1_PKS1_PS1_Lb1ELb0ELb1EEv18rocblas_operation_llT0_T1_lllT2_lllib.num_agpr, 0
	.set _ZL39rocblas_trsm_block_forward_substitutionI19rocblas_complex_numIdES1_PKS1_PS1_Lb1ELb0ELb1EEv18rocblas_operation_llT0_T1_lllT2_lllib.numbered_sgpr, 40
	.set _ZL39rocblas_trsm_block_forward_substitutionI19rocblas_complex_numIdES1_PKS1_PS1_Lb1ELb0ELb1EEv18rocblas_operation_llT0_T1_lllT2_lllib.num_named_barrier, 0
	.set _ZL39rocblas_trsm_block_forward_substitutionI19rocblas_complex_numIdES1_PKS1_PS1_Lb1ELb0ELb1EEv18rocblas_operation_llT0_T1_lllT2_lllib.private_seg_size, 0
	.set _ZL39rocblas_trsm_block_forward_substitutionI19rocblas_complex_numIdES1_PKS1_PS1_Lb1ELb0ELb1EEv18rocblas_operation_llT0_T1_lllT2_lllib.uses_vcc, 1
	.set _ZL39rocblas_trsm_block_forward_substitutionI19rocblas_complex_numIdES1_PKS1_PS1_Lb1ELb0ELb1EEv18rocblas_operation_llT0_T1_lllT2_lllib.uses_flat_scratch, 0
	.set _ZL39rocblas_trsm_block_forward_substitutionI19rocblas_complex_numIdES1_PKS1_PS1_Lb1ELb0ELb1EEv18rocblas_operation_llT0_T1_lllT2_lllib.has_dyn_sized_stack, 0
	.set _ZL39rocblas_trsm_block_forward_substitutionI19rocblas_complex_numIdES1_PKS1_PS1_Lb1ELb0ELb1EEv18rocblas_operation_llT0_T1_lllT2_lllib.has_recursion, 0
	.set _ZL39rocblas_trsm_block_forward_substitutionI19rocblas_complex_numIdES1_PKS1_PS1_Lb1ELb0ELb1EEv18rocblas_operation_llT0_T1_lllT2_lllib.has_indirect_call, 0
	.section	.AMDGPU.csdata,"",@progbits
; Kernel info:
; codeLenInByte = 928
; TotalNumSgprs: 42
; NumVgprs: 28
; ScratchSize: 0
; MemoryBound: 0
; FloatMode: 240
; IeeeMode: 1
; LDSByteSize: 0 bytes/workgroup (compile time only)
; SGPRBlocks: 0
; VGPRBlocks: 1
; NumSGPRsForWavesPerEU: 42
; NumVGPRsForWavesPerEU: 28
; NamedBarCnt: 0
; Occupancy: 16
; WaveLimiterHint : 0
; COMPUTE_PGM_RSRC2:SCRATCH_EN: 0
; COMPUTE_PGM_RSRC2:USER_SGPR: 2
; COMPUTE_PGM_RSRC2:TRAP_HANDLER: 0
; COMPUTE_PGM_RSRC2:TGID_X_EN: 1
; COMPUTE_PGM_RSRC2:TGID_Y_EN: 1
; COMPUTE_PGM_RSRC2:TGID_Z_EN: 1
; COMPUTE_PGM_RSRC2:TIDIG_COMP_CNT: 1
	.section	.text._ZL40rocblas_trsm_block_backward_substitutionI19rocblas_complex_numIdES1_PKS1_PS1_Lb1ELb0ELb1EEv18rocblas_operation_llT0_T1_lllT2_lllib,"axG",@progbits,_ZL40rocblas_trsm_block_backward_substitutionI19rocblas_complex_numIdES1_PKS1_PS1_Lb1ELb0ELb1EEv18rocblas_operation_llT0_T1_lllT2_lllib,comdat
	.globl	_ZL40rocblas_trsm_block_backward_substitutionI19rocblas_complex_numIdES1_PKS1_PS1_Lb1ELb0ELb1EEv18rocblas_operation_llT0_T1_lllT2_lllib ; -- Begin function _ZL40rocblas_trsm_block_backward_substitutionI19rocblas_complex_numIdES1_PKS1_PS1_Lb1ELb0ELb1EEv18rocblas_operation_llT0_T1_lllT2_lllib
	.p2align	8
	.type	_ZL40rocblas_trsm_block_backward_substitutionI19rocblas_complex_numIdES1_PKS1_PS1_Lb1ELb0ELb1EEv18rocblas_operation_llT0_T1_lllT2_lllib,@function
_ZL40rocblas_trsm_block_backward_substitutionI19rocblas_complex_numIdES1_PKS1_PS1_Lb1ELb0ELb1EEv18rocblas_operation_llT0_T1_lllT2_lllib: ; @_ZL40rocblas_trsm_block_backward_substitutionI19rocblas_complex_numIdES1_PKS1_PS1_Lb1ELb0ELb1EEv18rocblas_operation_llT0_T1_lllT2_lllib
; %bb.0:
	s_load_b64 s[28:29], s[0:1], 0x68
	s_bfe_u32 s2, ttmp6, 0x40014
	s_lshr_b32 s3, ttmp7, 16
	s_add_co_i32 s2, s2, 1
	s_bfe_u32 s5, ttmp6, 0x40008
	s_mul_i32 s4, s3, s2
	s_getreg_b32 s2, hwreg(HW_REG_IB_STS2, 6, 4)
	s_add_co_i32 s5, s5, s4
	s_cmp_eq_u32 s2, 0
	s_mov_b32 s31, 0
	s_cselect_b32 s30, s3, s5
	s_wait_kmcnt 0x0
	s_cmp_ge_u32 s30, s28
	s_cbranch_scc1 .LBB256_19
; %bb.1:
	s_clause 0x1
	s_load_b256 s[20:27], s[0:1], 0x48
	s_load_b32 s3, s[0:1], 0x0
	v_and_b32_e32 v6, 0x3ff, v0
	v_mov_b32_e32 v5, 0
	s_load_b512 s[4:19], s[0:1], 0x8
	s_bitcmp1_b32 s29, 0
	s_load_u16 s29, s[0:1], 0x7e
	s_delay_alu instid0(VALU_DEP_1) | instskip(SKIP_4) | instid1(VALU_DEP_1)
	v_dual_mov_b32 v7, v5 :: v_dual_lshlrev_b32 v10, 4, v6
	v_mov_b32_e32 v9, v5
	s_cselect_b32 s33, -1, 0
	s_mov_b64 s[34:35], src_shared_base
	v_bfe_u32 v16, v0, 10, 10
	v_lshl_add_u32 v17, v16, 4, 0
	s_wait_kmcnt 0x0
	v_mul_u64_e32 v[2:3], s[24:25], v[6:7]
	s_cmp_eq_u32 s3, 0x71
	s_add_nc_u64 s[24:25], s[0:1], 0x70
	s_cselect_b32 s0, -1, 0
	s_bfe_u32 s1, ttmp6, 0x40010
	s_and_b32 s3, ttmp7, 0xffff
	s_add_co_i32 s1, s1, 1
	s_bfe_u32 s34, ttmp6, 0x40004
	s_mul_i32 s1, s3, s1
	s_lshl_b64 s[14:15], s[14:15], 4
	s_lshl_b64 s[36:37], s[22:23], 4
	s_add_co_i32 s34, s34, s1
	s_cmp_eq_u32 s2, 0
	v_cmp_gt_i64_e64 s22, s[4:5], 0
	s_cselect_b32 s1, s3, s34
	s_add_nc_u64 s[2:3], s[20:21], s[36:37]
	v_mad_u32 v4, s1, s29, v16
	v_cmp_gt_i64_e64 s1, s[4:5], v[6:7]
	s_lshl_b32 s20, s29, 4
	v_cmp_gt_i64_e64 s23, s[4:5], 1
	s_add_co_i32 s34, s20, 0
	s_delay_alu instid0(SALU_CYCLE_1) | instskip(SKIP_3) | instid1(SALU_CYCLE_1)
	v_dual_add_nc_u32 v18, s34, v10 :: v_dual_bitop2_b32 v8, 8, v10 bitop3:0x54
	v_cmp_gt_i64_e32 vcc_lo, s[6:7], v[4:5]
	s_add_nc_u64 s[6:7], s[12:13], s[14:15]
	s_add_nc_u64 s[12:13], s[4:5], -1
	s_lshl_b64 s[14:15], s[12:13], 4
	v_lshl_add_u64 v[0:1], v[2:3], 4, s[2:3]
	s_and_b32 s36, vcc_lo, s1
	s_delay_alu instid0(VALU_DEP_1)
	v_lshl_add_u64 v[10:11], v[4:5], 4, v[0:1]
	v_lshlrev_b32_e32 v4, 4, v6
	s_branch .LBB256_4
.LBB256_2:                              ;   in Loop: Header=BB256_4 Depth=1
	global_store_b128 v[12:13], v[0:3], off
.LBB256_3:                              ;   in Loop: Header=BB256_4 Depth=1
	s_wait_xcnt 0x0
	s_or_b32 exec_lo, exec_lo, s37
	s_add_co_i32 s30, s30, 0x10000
	s_delay_alu instid0(SALU_CYCLE_1)
	s_cmp_lt_u32 s30, s28
	s_cbranch_scc0 .LBB256_19
.LBB256_4:                              ; =>This Loop Header: Depth=1
                                        ;     Child Loop BB256_8 Depth 2
                                        ;     Child Loop BB256_15 Depth 2
	s_mul_u64 s[2:3], s[18:19], s[30:31]
	s_and_not1_b32 vcc_lo, exec_lo, s33
	s_lshl_b64 s[2:3], s[2:3], 4
	s_delay_alu instid0(SALU_CYCLE_1)
	s_add_nc_u64 s[20:21], s[6:7], s[2:3]
	s_cbranch_vccnz .LBB256_10
; %bb.5:                                ;   in Loop: Header=BB256_4 Depth=1
	s_and_not1_b32 vcc_lo, exec_lo, s22
	s_cbranch_vccnz .LBB256_11
; %bb.6:                                ;   in Loop: Header=BB256_4 Depth=1
	v_add_nc_u64_e32 v[0:1], s[20:21], v[4:5]
	s_mov_b32 s20, 0
	s_branch .LBB256_8
.LBB256_7:                              ;   in Loop: Header=BB256_8 Depth=2
	s_wait_xcnt 0x0
	s_or_b32 exec_lo, exec_lo, s2
	s_add_co_i32 s20, s20, s29
	s_delay_alu instid0(SALU_CYCLE_1) | instskip(NEXT) | instid1(SALU_CYCLE_1)
	s_ashr_i32 s21, s20, 31
	v_cmp_le_i64_e64 s2, s[4:5], s[20:21]
	s_and_b32 vcc_lo, exec_lo, s2
	s_cbranch_vccnz .LBB256_11
.LBB256_8:                              ;   Parent Loop BB256_4 Depth=1
                                        ; =>  This Inner Loop Header: Depth=2
	v_add_nc_u32_e32 v2, s20, v16
	s_delay_alu instid0(VALU_DEP_1) | instskip(SKIP_1) | instid1(VALU_DEP_2)
	v_ashrrev_i32_e32 v3, 31, v2
	v_cmp_lt_i32_e64 s2, v6, v2
	v_cmp_gt_i64_e32 vcc_lo, s[4:5], v[2:3]
	s_and_b32 s2, s2, vcc_lo
	s_delay_alu instid0(SALU_CYCLE_1) | instskip(NEXT) | instid1(SALU_CYCLE_1)
	s_and_b32 s3, s1, s2
	s_and_saveexec_b32 s2, s3
	s_cbranch_execz .LBB256_7
; %bb.9:                                ;   in Loop: Header=BB256_8 Depth=2
	v_mul_u64_e32 v[12:13], s[16:17], v[2:3]
	s_load_b32 s3, s[24:25], 0xc
	s_wait_kmcnt 0x0
	s_and_b32 s3, s3, 0xffff
	s_delay_alu instid0(SALU_CYCLE_1) | instskip(NEXT) | instid1(VALU_DEP_2)
	v_mul_lo_u32 v2, v2, s3
	v_lshl_add_u64 v[12:13], v[12:13], 4, v[0:1]
	s_delay_alu instid0(VALU_DEP_2)
	v_lshl_add_u32 v2, v2, 4, v18
	global_load_b128 v[12:15], v[12:13], off
	s_wait_loadcnt 0x0
	ds_store_2addr_b64 v2, v[12:13], v[14:15] offset1:1
	s_branch .LBB256_7
.LBB256_10:                             ;   in Loop: Header=BB256_4 Depth=1
	s_mov_b64 s[2:3], s[16:17]
	s_and_saveexec_b32 s37, s36
	s_cbranch_execz .LBB256_3
	s_branch .LBB256_12
.LBB256_11:                             ;   in Loop: Header=BB256_4 Depth=1
	s_load_b32 s2, s[24:25], 0xc
	s_mov_b32 s3, s31
	s_mov_b64 s[20:21], s[34:35]
	s_wait_kmcnt 0x0
	s_and_b32 s2, s2, 0xffff
	s_and_saveexec_b32 s37, s36
	s_cbranch_execz .LBB256_3
.LBB256_12:                             ;   in Loop: Header=BB256_4 Depth=1
	s_mul_u64 s[38:39], s[26:27], s[30:31]
	s_and_not1_b32 vcc_lo, exec_lo, s23
	v_lshl_add_u64 v[12:13], s[38:39], 4, v[10:11]
	global_load_b128 v[20:23], v[12:13], off
	s_wait_loadcnt 0x0
	v_mul_f64_e32 v[0:1], s[10:11], v[22:23]
	v_mul_f64_e32 v[2:3], s[8:9], v[22:23]
	s_delay_alu instid0(VALU_DEP_2) | instskip(NEXT) | instid1(VALU_DEP_2)
	v_fma_f64 v[0:1], s[8:9], v[20:21], -v[0:1]
	v_fmac_f64_e32 v[2:3], s[10:11], v[20:21]
	s_cbranch_vccnz .LBB256_2
; %bb.13:                               ;   in Loop: Header=BB256_4 Depth=1
	v_add_nc_u64_e32 v[14:15], s[20:21], v[8:9]
	s_mul_i32 s20, s15, s2
	s_mul_i32 s21, s14, s3
	s_delay_alu instid0(VALU_DEP_1) | instskip(SKIP_1) | instid1(SALU_CYCLE_1)
	v_mad_nc_u64_u32 v[14:15], s14, s2, v[14:15]
	s_lshl_b64 s[2:3], s[2:3], 4
	s_sub_nc_u64 s[2:3], 0, s[2:3]
	s_delay_alu instid0(VALU_DEP_1)
	v_add3_u32 v15, s21, s20, v15
	s_mov_b64 s[20:21], s[12:13]
	s_branch .LBB256_15
.LBB256_14:                             ;   in Loop: Header=BB256_15 Depth=2
	s_wait_xcnt 0x0
	s_or_b32 exec_lo, exec_lo, s38
	s_add_nc_u64 s[38:39], s[20:21], 1
	v_add_nc_u64_e32 v[14:15], s[2:3], v[14:15]
	v_cmp_lt_u64_e64 s38, s[38:39], 3
	s_add_nc_u64 s[20:21], s[20:21], -1
	s_and_b32 vcc_lo, exec_lo, s38
	s_cbranch_vccnz .LBB256_2
.LBB256_15:                             ;   Parent Loop BB256_4 Depth=1
                                        ; =>  This Inner Loop Header: Depth=2
	s_mov_b32 s38, exec_lo
	s_wait_dscnt 0x0
	s_barrier_signal -1
	s_barrier_wait -1
	s_wait_xcnt 0x0
	v_cmpx_eq_u64_e64 s[20:21], v[6:7]
; %bb.16:                               ;   in Loop: Header=BB256_15 Depth=2
	ds_store_2addr_b64 v17, v[0:1], v[2:3] offset1:1
; %bb.17:                               ;   in Loop: Header=BB256_15 Depth=2
	s_or_b32 exec_lo, exec_lo, s38
	s_delay_alu instid0(SALU_CYCLE_1)
	s_mov_b32 s38, exec_lo
	s_wait_dscnt 0x0
	s_barrier_signal -1
	s_barrier_wait -1
	v_cmpx_gt_i64_e64 s[20:21], v[6:7]
	s_cbranch_execz .LBB256_14
; %bb.18:                               ;   in Loop: Header=BB256_15 Depth=2
	flat_load_b128 v[20:23], v[14:15] offset:-8
	ds_load_2addr_b64 v[24:27], v17 offset1:1
	s_wait_loadcnt_dscnt 0x1
	v_xor_b32_e32 v19, 0x80000000, v23
	s_delay_alu instid0(VALU_DEP_1) | instskip(SKIP_1) | instid1(VALU_DEP_1)
	v_cndmask_b32_e64 v23, v23, v19, s0
	s_wait_dscnt 0x0
	v_mul_f64_e32 v[28:29], v[22:23], v[26:27]
	v_mul_f64_e32 v[26:27], v[20:21], v[26:27]
	s_delay_alu instid0(VALU_DEP_2) | instskip(NEXT) | instid1(VALU_DEP_2)
	v_fma_f64 v[20:21], v[20:21], v[24:25], -v[28:29]
	v_fmac_f64_e32 v[26:27], v[22:23], v[24:25]
	s_delay_alu instid0(VALU_DEP_2) | instskip(NEXT) | instid1(VALU_DEP_2)
	v_add_f64_e64 v[0:1], v[0:1], -v[20:21]
	v_add_f64_e64 v[2:3], v[2:3], -v[26:27]
	s_branch .LBB256_14
.LBB256_19:
	s_endpgm
	.section	.rodata,"a",@progbits
	.p2align	6, 0x0
	.amdhsa_kernel _ZL40rocblas_trsm_block_backward_substitutionI19rocblas_complex_numIdES1_PKS1_PS1_Lb1ELb0ELb1EEv18rocblas_operation_llT0_T1_lllT2_lllib
		.amdhsa_group_segment_fixed_size 0
		.amdhsa_private_segment_fixed_size 0
		.amdhsa_kernarg_size 368
		.amdhsa_user_sgpr_count 2
		.amdhsa_user_sgpr_dispatch_ptr 0
		.amdhsa_user_sgpr_queue_ptr 0
		.amdhsa_user_sgpr_kernarg_segment_ptr 1
		.amdhsa_user_sgpr_dispatch_id 0
		.amdhsa_user_sgpr_kernarg_preload_length 0
		.amdhsa_user_sgpr_kernarg_preload_offset 0
		.amdhsa_user_sgpr_private_segment_size 0
		.amdhsa_wavefront_size32 1
		.amdhsa_uses_dynamic_stack 0
		.amdhsa_enable_private_segment 0
		.amdhsa_system_sgpr_workgroup_id_x 1
		.amdhsa_system_sgpr_workgroup_id_y 1
		.amdhsa_system_sgpr_workgroup_id_z 1
		.amdhsa_system_sgpr_workgroup_info 0
		.amdhsa_system_vgpr_workitem_id 1
		.amdhsa_next_free_vgpr 30
		.amdhsa_next_free_sgpr 40
		.amdhsa_named_barrier_count 0
		.amdhsa_reserve_vcc 1
		.amdhsa_float_round_mode_32 0
		.amdhsa_float_round_mode_16_64 0
		.amdhsa_float_denorm_mode_32 3
		.amdhsa_float_denorm_mode_16_64 3
		.amdhsa_fp16_overflow 0
		.amdhsa_memory_ordered 1
		.amdhsa_forward_progress 1
		.amdhsa_inst_pref_size 8
		.amdhsa_round_robin_scheduling 0
		.amdhsa_exception_fp_ieee_invalid_op 0
		.amdhsa_exception_fp_denorm_src 0
		.amdhsa_exception_fp_ieee_div_zero 0
		.amdhsa_exception_fp_ieee_overflow 0
		.amdhsa_exception_fp_ieee_underflow 0
		.amdhsa_exception_fp_ieee_inexact 0
		.amdhsa_exception_int_div_zero 0
	.end_amdhsa_kernel
	.section	.text._ZL40rocblas_trsm_block_backward_substitutionI19rocblas_complex_numIdES1_PKS1_PS1_Lb1ELb0ELb1EEv18rocblas_operation_llT0_T1_lllT2_lllib,"axG",@progbits,_ZL40rocblas_trsm_block_backward_substitutionI19rocblas_complex_numIdES1_PKS1_PS1_Lb1ELb0ELb1EEv18rocblas_operation_llT0_T1_lllT2_lllib,comdat
.Lfunc_end256:
	.size	_ZL40rocblas_trsm_block_backward_substitutionI19rocblas_complex_numIdES1_PKS1_PS1_Lb1ELb0ELb1EEv18rocblas_operation_llT0_T1_lllT2_lllib, .Lfunc_end256-_ZL40rocblas_trsm_block_backward_substitutionI19rocblas_complex_numIdES1_PKS1_PS1_Lb1ELb0ELb1EEv18rocblas_operation_llT0_T1_lllT2_lllib
                                        ; -- End function
	.set _ZL40rocblas_trsm_block_backward_substitutionI19rocblas_complex_numIdES1_PKS1_PS1_Lb1ELb0ELb1EEv18rocblas_operation_llT0_T1_lllT2_lllib.num_vgpr, 30
	.set _ZL40rocblas_trsm_block_backward_substitutionI19rocblas_complex_numIdES1_PKS1_PS1_Lb1ELb0ELb1EEv18rocblas_operation_llT0_T1_lllT2_lllib.num_agpr, 0
	.set _ZL40rocblas_trsm_block_backward_substitutionI19rocblas_complex_numIdES1_PKS1_PS1_Lb1ELb0ELb1EEv18rocblas_operation_llT0_T1_lllT2_lllib.numbered_sgpr, 40
	.set _ZL40rocblas_trsm_block_backward_substitutionI19rocblas_complex_numIdES1_PKS1_PS1_Lb1ELb0ELb1EEv18rocblas_operation_llT0_T1_lllT2_lllib.num_named_barrier, 0
	.set _ZL40rocblas_trsm_block_backward_substitutionI19rocblas_complex_numIdES1_PKS1_PS1_Lb1ELb0ELb1EEv18rocblas_operation_llT0_T1_lllT2_lllib.private_seg_size, 0
	.set _ZL40rocblas_trsm_block_backward_substitutionI19rocblas_complex_numIdES1_PKS1_PS1_Lb1ELb0ELb1EEv18rocblas_operation_llT0_T1_lllT2_lllib.uses_vcc, 1
	.set _ZL40rocblas_trsm_block_backward_substitutionI19rocblas_complex_numIdES1_PKS1_PS1_Lb1ELb0ELb1EEv18rocblas_operation_llT0_T1_lllT2_lllib.uses_flat_scratch, 0
	.set _ZL40rocblas_trsm_block_backward_substitutionI19rocblas_complex_numIdES1_PKS1_PS1_Lb1ELb0ELb1EEv18rocblas_operation_llT0_T1_lllT2_lllib.has_dyn_sized_stack, 0
	.set _ZL40rocblas_trsm_block_backward_substitutionI19rocblas_complex_numIdES1_PKS1_PS1_Lb1ELb0ELb1EEv18rocblas_operation_llT0_T1_lllT2_lllib.has_recursion, 0
	.set _ZL40rocblas_trsm_block_backward_substitutionI19rocblas_complex_numIdES1_PKS1_PS1_Lb1ELb0ELb1EEv18rocblas_operation_llT0_T1_lllT2_lllib.has_indirect_call, 0
	.section	.AMDGPU.csdata,"",@progbits
; Kernel info:
; codeLenInByte = 968
; TotalNumSgprs: 42
; NumVgprs: 30
; ScratchSize: 0
; MemoryBound: 0
; FloatMode: 240
; IeeeMode: 1
; LDSByteSize: 0 bytes/workgroup (compile time only)
; SGPRBlocks: 0
; VGPRBlocks: 1
; NumSGPRsForWavesPerEU: 42
; NumVGPRsForWavesPerEU: 30
; NamedBarCnt: 0
; Occupancy: 16
; WaveLimiterHint : 0
; COMPUTE_PGM_RSRC2:SCRATCH_EN: 0
; COMPUTE_PGM_RSRC2:USER_SGPR: 2
; COMPUTE_PGM_RSRC2:TRAP_HANDLER: 0
; COMPUTE_PGM_RSRC2:TGID_X_EN: 1
; COMPUTE_PGM_RSRC2:TGID_Y_EN: 1
; COMPUTE_PGM_RSRC2:TGID_Z_EN: 1
; COMPUTE_PGM_RSRC2:TIDIG_COMP_CNT: 1
	.section	.text._ZL26setup_batched_array_kernelILi128E19rocblas_complex_numIdEEvPT0_lPS3_,"axG",@progbits,_ZL26setup_batched_array_kernelILi128E19rocblas_complex_numIdEEvPT0_lPS3_,comdat
	.globl	_ZL26setup_batched_array_kernelILi128E19rocblas_complex_numIdEEvPT0_lPS3_ ; -- Begin function _ZL26setup_batched_array_kernelILi128E19rocblas_complex_numIdEEvPT0_lPS3_
	.p2align	8
	.type	_ZL26setup_batched_array_kernelILi128E19rocblas_complex_numIdEEvPT0_lPS3_,@function
_ZL26setup_batched_array_kernelILi128E19rocblas_complex_numIdEEvPT0_lPS3_: ; @_ZL26setup_batched_array_kernelILi128E19rocblas_complex_numIdEEvPT0_lPS3_
; %bb.0:
	s_load_b128 s[4:7], s[0:1], 0x0
	s_bfe_u32 s2, ttmp6, 0x4000c
	s_wait_xcnt 0x0
	s_load_b64 s[0:1], s[0:1], 0x10
	s_add_co_i32 s2, s2, 1
	s_and_b32 s3, ttmp6, 15
	s_mul_i32 s2, ttmp9, s2
	s_getreg_b32 s8, hwreg(HW_REG_IB_STS2, 6, 4)
	s_add_co_i32 s2, s3, s2
	s_cmp_eq_u32 s8, 0
	s_mov_b32 s3, 0
	s_cselect_b32 s2, ttmp9, s2
	s_delay_alu instid0(SALU_CYCLE_1) | instskip(SKIP_2) | instid1(SALU_CYCLE_1)
	v_mov_b32_e32 v2, s2
	s_wait_kmcnt 0x0
	s_mul_u64 s[6:7], s[6:7], s[2:3]
	s_lshl_b64 s[6:7], s[6:7], 4
	s_delay_alu instid0(SALU_CYCLE_1) | instskip(NEXT) | instid1(SALU_CYCLE_1)
	s_add_nc_u64 s[4:5], s[4:5], s[6:7]
	v_mov_b64_e32 v[0:1], s[4:5]
	global_store_b64 v2, v[0:1], s[0:1] scale_offset
	s_endpgm
	.section	.rodata,"a",@progbits
	.p2align	6, 0x0
	.amdhsa_kernel _ZL26setup_batched_array_kernelILi128E19rocblas_complex_numIdEEvPT0_lPS3_
		.amdhsa_group_segment_fixed_size 0
		.amdhsa_private_segment_fixed_size 0
		.amdhsa_kernarg_size 24
		.amdhsa_user_sgpr_count 2
		.amdhsa_user_sgpr_dispatch_ptr 0
		.amdhsa_user_sgpr_queue_ptr 0
		.amdhsa_user_sgpr_kernarg_segment_ptr 1
		.amdhsa_user_sgpr_dispatch_id 0
		.amdhsa_user_sgpr_kernarg_preload_length 0
		.amdhsa_user_sgpr_kernarg_preload_offset 0
		.amdhsa_user_sgpr_private_segment_size 0
		.amdhsa_wavefront_size32 1
		.amdhsa_uses_dynamic_stack 0
		.amdhsa_enable_private_segment 0
		.amdhsa_system_sgpr_workgroup_id_x 1
		.amdhsa_system_sgpr_workgroup_id_y 0
		.amdhsa_system_sgpr_workgroup_id_z 0
		.amdhsa_system_sgpr_workgroup_info 0
		.amdhsa_system_vgpr_workitem_id 0
		.amdhsa_next_free_vgpr 3
		.amdhsa_next_free_sgpr 9
		.amdhsa_named_barrier_count 0
		.amdhsa_reserve_vcc 0
		.amdhsa_float_round_mode_32 0
		.amdhsa_float_round_mode_16_64 0
		.amdhsa_float_denorm_mode_32 3
		.amdhsa_float_denorm_mode_16_64 3
		.amdhsa_fp16_overflow 0
		.amdhsa_memory_ordered 1
		.amdhsa_forward_progress 1
		.amdhsa_inst_pref_size 1
		.amdhsa_round_robin_scheduling 0
		.amdhsa_exception_fp_ieee_invalid_op 0
		.amdhsa_exception_fp_denorm_src 0
		.amdhsa_exception_fp_ieee_div_zero 0
		.amdhsa_exception_fp_ieee_overflow 0
		.amdhsa_exception_fp_ieee_underflow 0
		.amdhsa_exception_fp_ieee_inexact 0
		.amdhsa_exception_int_div_zero 0
	.end_amdhsa_kernel
	.section	.text._ZL26setup_batched_array_kernelILi128E19rocblas_complex_numIdEEvPT0_lPS3_,"axG",@progbits,_ZL26setup_batched_array_kernelILi128E19rocblas_complex_numIdEEvPT0_lPS3_,comdat
.Lfunc_end257:
	.size	_ZL26setup_batched_array_kernelILi128E19rocblas_complex_numIdEEvPT0_lPS3_, .Lfunc_end257-_ZL26setup_batched_array_kernelILi128E19rocblas_complex_numIdEEvPT0_lPS3_
                                        ; -- End function
	.set _ZL26setup_batched_array_kernelILi128E19rocblas_complex_numIdEEvPT0_lPS3_.num_vgpr, 3
	.set _ZL26setup_batched_array_kernelILi128E19rocblas_complex_numIdEEvPT0_lPS3_.num_agpr, 0
	.set _ZL26setup_batched_array_kernelILi128E19rocblas_complex_numIdEEvPT0_lPS3_.numbered_sgpr, 9
	.set _ZL26setup_batched_array_kernelILi128E19rocblas_complex_numIdEEvPT0_lPS3_.num_named_barrier, 0
	.set _ZL26setup_batched_array_kernelILi128E19rocblas_complex_numIdEEvPT0_lPS3_.private_seg_size, 0
	.set _ZL26setup_batched_array_kernelILi128E19rocblas_complex_numIdEEvPT0_lPS3_.uses_vcc, 0
	.set _ZL26setup_batched_array_kernelILi128E19rocblas_complex_numIdEEvPT0_lPS3_.uses_flat_scratch, 0
	.set _ZL26setup_batched_array_kernelILi128E19rocblas_complex_numIdEEvPT0_lPS3_.has_dyn_sized_stack, 0
	.set _ZL26setup_batched_array_kernelILi128E19rocblas_complex_numIdEEvPT0_lPS3_.has_recursion, 0
	.set _ZL26setup_batched_array_kernelILi128E19rocblas_complex_numIdEEvPT0_lPS3_.has_indirect_call, 0
	.section	.AMDGPU.csdata,"",@progbits
; Kernel info:
; codeLenInByte = 108
; TotalNumSgprs: 9
; NumVgprs: 3
; ScratchSize: 0
; MemoryBound: 0
; FloatMode: 240
; IeeeMode: 1
; LDSByteSize: 0 bytes/workgroup (compile time only)
; SGPRBlocks: 0
; VGPRBlocks: 0
; NumSGPRsForWavesPerEU: 9
; NumVGPRsForWavesPerEU: 3
; NamedBarCnt: 0
; Occupancy: 16
; WaveLimiterHint : 0
; COMPUTE_PGM_RSRC2:SCRATCH_EN: 0
; COMPUTE_PGM_RSRC2:USER_SGPR: 2
; COMPUTE_PGM_RSRC2:TRAP_HANDLER: 0
; COMPUTE_PGM_RSRC2:TGID_X_EN: 1
; COMPUTE_PGM_RSRC2:TGID_Y_EN: 0
; COMPUTE_PGM_RSRC2:TGID_Z_EN: 0
; COMPUTE_PGM_RSRC2:TIDIG_COMP_CNT: 0
	.section	.text._ZL25rocblas_trtri_trsm_kernelILi128ELi16ELi8E19rocblas_complex_numIdEPKS1_PS1_Ev13rocblas_fill_17rocblas_diagonal_T3_lilT4_lli,"axG",@progbits,_ZL25rocblas_trtri_trsm_kernelILi128ELi16ELi8E19rocblas_complex_numIdEPKS1_PS1_Ev13rocblas_fill_17rocblas_diagonal_T3_lilT4_lli,comdat
	.globl	_ZL25rocblas_trtri_trsm_kernelILi128ELi16ELi8E19rocblas_complex_numIdEPKS1_PS1_Ev13rocblas_fill_17rocblas_diagonal_T3_lilT4_lli ; -- Begin function _ZL25rocblas_trtri_trsm_kernelILi128ELi16ELi8E19rocblas_complex_numIdEPKS1_PS1_Ev13rocblas_fill_17rocblas_diagonal_T3_lilT4_lli
	.p2align	8
	.type	_ZL25rocblas_trtri_trsm_kernelILi128ELi16ELi8E19rocblas_complex_numIdEPKS1_PS1_Ev13rocblas_fill_17rocblas_diagonal_T3_lilT4_lli,@function
_ZL25rocblas_trtri_trsm_kernelILi128ELi16ELi8E19rocblas_complex_numIdEPKS1_PS1_Ev13rocblas_fill_17rocblas_diagonal_T3_lilT4_lli: ; @_ZL25rocblas_trtri_trsm_kernelILi128ELi16ELi8E19rocblas_complex_numIdEPKS1_PS1_Ev13rocblas_fill_17rocblas_diagonal_T3_lilT4_lli
; %bb.0:
	s_load_b32 s94, s[0:1], 0x40
	s_bfe_u32 s2, ttmp6, 0x40014
	s_lshr_b32 s3, ttmp7, 16
	s_add_co_i32 s2, s2, 1
	s_bfe_u32 s4, ttmp6, 0x40008
	s_mul_i32 s2, s3, s2
	s_getreg_b32 s8, hwreg(HW_REG_IB_STS2, 6, 4)
	s_add_co_i32 s4, s4, s2
	s_cmp_eq_u32 s8, 0
	s_mov_b32 s39, 0
	s_cselect_b32 s48, s3, s4
	s_wait_kmcnt 0x0
	s_cmp_ge_u32 s48, s94
	s_cbranch_scc1 .LBB258_139
; %bb.1:
	s_clause 0x3
	s_load_b32 s50, s[0:1], 0x18
	s_load_b128 s[4:7], s[0:1], 0x8
	s_load_b64 s[2:3], s[0:1], 0x0
	s_load_b256 s[40:47], s[0:1], 0x20
	s_wait_xcnt 0x0
	v_cmp_gt_u32_e64 s1, 32, v0
	v_cmp_gt_u32_e32 vcc_lo, 16, v0
	v_dual_lshrrev_b32 v6, 4, v0 :: v_dual_bitop2_b32 v3, 15, v0 bitop3:0x40
	s_bfe_u32 s10, ttmp6, 0x4000c
	v_cndmask_b32_e64 v1, 0, 0x3000, s1
	s_add_co_i32 s10, s10, 1
	s_and_b32 s9, ttmp6, 15
	s_mul_i32 s10, ttmp9, s10
	v_bitop3_b32 v5, v0, 15, v0 bitop3:0xc
	v_cndmask_b32_e64 v24, v1, 0x2000, vcc_lo
	v_cndmask_b32_e64 v1, 0xffffffe0, -16, s1
	s_add_co_i32 s9, s9, s10
	v_cndmask_b32_e64 v2, 0x810, 0, vcc_lo
	v_xor_b32_e32 v4, 0xf0, v0
	v_cmp_lt_u32_e64 s0, 31, v0
	v_cndmask_b32_e64 v1, v1, 0, vcc_lo
	v_lshlrev_b32_e32 v25, 4, v3
	s_wait_kmcnt 0x0
	s_ashr_i32 s51, s50, 31
	s_cmp_eq_u32 s8, 0
	v_lshl_or_b32 v64, v4, 4, 0x30f0
	v_add_nc_u32_e32 v14, v0, v1
	s_cselect_b32 s49, ttmp9, s9
	s_lshl_b64 s[52:53], s[50:51], 4
	s_lshl_b32 s38, s49, 1
	s_add_nc_u64 s[8:9], s[52:53], 16
	v_sub_nc_u32_e32 v7, 0xffffff10, v14
	v_sub_nc_u32_e32 v8, 0xffffff20, v14
	s_mul_u64 s[10:11], s[8:9], s[38:39]
	s_and_b32 s12, s38, 6
	s_bfe_u32 s38, s49, 0x1d0002
	v_lshl_add_u32 v43, v7, 4, v24
	v_sub_nc_u32_e32 v7, 0xffffff30, v14
	v_lshl_add_u32 v44, v8, 4, v24
	v_dual_mov_b32 v17, 0 :: v_dual_sub_nc_u32 v8, 0xffffff40, v14
	v_lshlrev_b32_e32 v27, 4, v14
	s_delay_alu instid0(VALU_DEP_4) | instskip(SKIP_1) | instid1(VALU_DEP_4)
	v_lshl_add_u32 v45, v7, 4, v24
	v_sub_nc_u32_e32 v7, 0xffffff50, v14
	v_lshl_add_u32 v46, v8, 4, v24
	v_sub_nc_u32_e32 v8, 0xffffff60, v14
	s_lshl_b64 s[6:7], s[6:7], 4
	s_lshl_b64 s[84:85], s[44:45], 4
	v_lshl_add_u32 v47, v7, 4, v24
	v_sub_nc_u32_e32 v7, 0xffffff70, v14
	v_lshl_add_u32 v48, v8, 4, v24
	v_sub_nc_u32_e32 v8, 0xffffff80, v14
	s_lshl_b64 s[10:11], s[10:11], 4
	s_lshl_b64 s[86:87], s[38:39], 18
	v_lshl_add_u32 v49, v7, 4, v24
	v_sub_nc_u32_e32 v7, 0xffffff90, v14
	v_lshl_add_u32 v50, v8, 4, v24
	v_sub_nc_u32_e32 v8, 0xffffffa0, v14
	s_cmp_lg_u32 s2, 0x7a
	s_mul_i32 s38, s12, 0x8100
	v_lshl_add_u32 v51, v7, 4, v24
	v_sub_nc_u32_e32 v7, 0xffffffb0, v14
	v_lshl_add_u32 v52, v8, 4, v24
	v_sub_nc_u32_e32 v8, 0xffffffc0, v14
	s_cselect_b32 s95, -1, 0
	s_lshl_b64 s[56:57], s[50:51], 8
	v_lshl_add_u32 v53, v7, 4, v24
	v_sub_nc_u32_e32 v7, 0xffffffd0, v14
	v_lshl_add_u32 v54, v8, 4, v24
	v_sub_nc_u32_e32 v8, 0xffffffe0, v14
	s_lshl_b64 s[72:73], s[50:51], 7
	s_lshl_b64 s[80:81], s[50:51], 6
	;; [unrolled: 1-line block ×3, first 2 shown]
	s_add_nc_u64 s[12:13], s[42:43], s[86:87]
	s_cmp_lg_u32 s3, 0x84
	v_lshl_add_u32 v55, v7, 4, v24
	v_lshl_add_u32 v56, v8, 4, v24
	v_dual_add_nc_u32 v59, v24, v27 :: v_dual_lshlrev_b32 v8, 8, v14
	v_mul_i32_i24_e32 v7, 0x110, v14
	v_mad_i32_i24 v60, 0x110, v14, v24
	s_add_nc_u64 s[4:5], s[4:5], s[10:11]
	s_add_nc_u64 s[10:11], s[12:13], s[38:39]
	s_cselect_b32 s96, -1, 0
	s_and_b32 s38, s49, 3
	v_dual_sub_nc_u32 v7, v7, v8 :: v_dual_sub_nc_u32 v61, v60, v8
	s_mul_u64 s[88:89], s[38:39], 0x10200
	v_dual_lshlrev_b32 v8, 4, v5 :: v_dual_lshlrev_b32 v16, 4, v2
	s_or_b64 s[86:87], s[86:87], s[88:89]
	v_dual_sub_nc_u32 v9, -16, v14 :: v_dual_sub_nc_u32 v58, v24, v27
	s_add_nc_u64 s[54:55], s[10:11], s[84:85]
	s_add_nc_u64 s[84:85], s[84:85], s[86:87]
	v_cmp_gt_u32_e64 s2, 48, v0
	v_add_nc_u64_e32 v[4:5], s[84:85], v[16:17]
	v_cmp_gt_u32_e64 s3, 0x100, v0
	v_and_b32_e32 v1, 0xf0, v0
	v_lshl_or_b32 v26, v0, 4, 0x1000
	v_lshl_or_b32 v0, v6, 7, v3
	v_dual_mov_b32 v15, v17 :: v_dual_add_nc_u32 v28, 0xf00, v27
	v_lshl_add_u32 v57, v9, 4, v24
	v_add3_u32 v62, v7, v24, 0x100
	v_dual_add_nc_u32 v63, 1, v6 :: v_dual_lshlrev_b32 v7, 8, v6
	v_dual_lshlrev_b32 v9, 8, v3 :: v_dual_add_nc_u32 v65, -1, v6
	v_lshlrev_b32_e32 v16, 4, v0
	s_add_nc_u64 s[44:45], s[4:5], s[6:7]
	s_delay_alu instid0(VALU_DEP_3) | instskip(NEXT) | instid1(VALU_DEP_3)
	v_or3_b32 v67, v7, v1, 0x2000
	v_sub_nc_u32_e32 v6, v8, v9
	v_lshl_add_u64 v[0:1], v[14:15], 4, v[4:5]
	v_dual_add_nc_u32 v68, -1, v3 :: v_dual_bitop2_b32 v66, v7, v25 bitop3:0x54
	v_cndmask_b32_e64 v13, s9, 0, vcc_lo
	v_cndmask_b32_e64 v12, s8, 0, vcc_lo
	s_delay_alu instid0(VALU_DEP_4)
	v_add_nc_u64_e32 v[18:19], s[42:43], v[0:1]
	v_add_nc_u32_e32 v29, 0xe00, v27
	v_add_nc_u32_e32 v30, 0xd00, v27
	;; [unrolled: 1-line block ×14, first 2 shown]
	v_cmp_gt_u32_e64 s4, 16, v14
	v_cmp_gt_u32_e64 s5, 15, v14
	;; [unrolled: 1-line block ×15, first 2 shown]
	v_cmp_eq_u32_e64 s19, 0, v14
	v_cmp_ne_u32_e64 s20, 0, v14
	v_cmp_lt_u32_e64 s21, 1, v14
	v_cmp_lt_u32_e64 s22, 2, v14
	;; [unrolled: 1-line block ×14, first 2 shown]
	v_cmp_gt_i32_e64 s36, 16, v14
	v_cmp_lt_i32_e64 s37, -1, v14
	v_or_b32_e32 v69, 0x1000, v66
	v_add_nc_u32_e32 v70, 0x2f00, v6
	v_dual_add_nc_u32 v71, 1, v3 :: v_dual_lshlrev_b32 v20, 4, v2
	v_or_b32_e32 v72, 0x1000, v7
	v_or_b32_e32 v73, 0x3000, v25
	v_add_nc_u32_e32 v74, 0xf0, v58
	v_add_nc_u32_e32 v75, 1, v14
	s_mul_u64 s[58:59], s[50:51], 0xf0
	s_mul_u64 s[60:61], s[50:51], 0xe0
	;; [unrolled: 1-line block ×11, first 2 shown]
	s_sub_nc_u64 s[84:85], 0, s[52:53]
	s_lshl_b64 s[86:87], s[46:47], 4
	s_branch .LBB258_3
.LBB258_2:                              ;   in Loop: Header=BB258_3 Depth=1
	s_or_b32 exec_lo, exec_lo, s49
	s_add_co_i32 s48, s48, 0x10000
	s_delay_alu instid0(SALU_CYCLE_1)
	s_cmp_lt_u32 s48, s94
	s_cbranch_scc0 .LBB258_139
.LBB258_3:                              ; =>This Loop Header: Depth=1
                                        ;     Child Loop BB258_91 Depth 2
                                        ;       Child Loop BB258_96 Depth 3
                                        ;     Child Loop BB258_103 Depth 2
                                        ;     Child Loop BB258_109 Depth 2
	;; [unrolled: 1-line block ×6, first 2 shown]
	s_mov_b32 s49, s39
	s_delay_alu instid0(SALU_CYCLE_1) | instskip(NEXT) | instid1(SALU_CYCLE_1)
	s_mul_u64 s[88:89], s[40:41], s[48:49]
	s_lshl_b64 s[88:89], s[88:89], 4
	s_delay_alu instid0(SALU_CYCLE_1) | instskip(SKIP_1) | instid1(SALU_CYCLE_1)
	s_add_nc_u64 s[88:89], s[44:45], s[88:89]
	s_and_saveexec_b32 s38, s0
	s_xor_b32 s38, exec_lo, s38
	s_cbranch_execz .LBB258_10
; %bb.4:                                ;   in Loop: Header=BB258_3 Depth=1
	s_and_saveexec_b32 s90, s2
	s_cbranch_execz .LBB258_9
; %bb.5:                                ;   in Loop: Header=BB258_3 Depth=1
	s_and_not1_b32 vcc_lo, exec_lo, s95
	s_mov_b32 s91, -1
	s_cbranch_vccnz .LBB258_7
; %bb.6:                                ;   in Loop: Header=BB258_3 Depth=1
	s_add_nc_u64 s[92:93], s[88:89], s[56:57]
	s_mov_b32 s91, 0
	v_lshl_add_u64 v[22:23], v[14:15], 4, s[92:93]
	s_delay_alu instid0(VALU_DEP_1) | instskip(NEXT) | instid1(VALU_DEP_1)
	v_add_nc_u64_e32 v[116:117], s[58:59], v[22:23]
	v_add_nc_u64_e32 v[0:1], s[84:85], v[116:117]
	s_delay_alu instid0(VALU_DEP_1)
	v_add_nc_u64_e32 v[8:9], s[84:85], v[0:1]
	s_clause 0x1
	global_load_b128 v[0:3], v[0:1], off
	global_load_b128 v[4:7], v[8:9], off
	s_wait_xcnt 0x0
	v_add_nc_u64_e32 v[8:9], s[84:85], v[8:9]
	s_delay_alu instid0(VALU_DEP_1) | instskip(NEXT) | instid1(VALU_DEP_1)
	v_add_nc_u64_e32 v[76:77], s[84:85], v[8:9]
	v_add_nc_u64_e32 v[80:81], s[84:85], v[76:77]
	s_delay_alu instid0(VALU_DEP_1) | instskip(NEXT) | instid1(VALU_DEP_1)
	v_add_nc_u64_e32 v[84:85], s[84:85], v[80:81]
	;; [unrolled: 3-line block ×3, first 2 shown]
	v_add_nc_u64_e32 v[96:97], s[84:85], v[92:93]
	s_clause 0x1
	global_load_b128 v[8:11], v[8:9], off
	global_load_b128 v[76:79], v[76:77], off
	;; [unrolled: 1-line block ×6, first 2 shown]
	v_add_nc_u64_e32 v[100:101], s[84:85], v[96:97]
	s_delay_alu instid0(VALU_DEP_1) | instskip(NEXT) | instid1(VALU_DEP_1)
	v_add_nc_u64_e32 v[104:105], s[84:85], v[100:101]
	v_add_nc_u64_e32 v[108:109], s[84:85], v[104:105]
	s_delay_alu instid0(VALU_DEP_1) | instskip(NEXT) | instid1(VALU_DEP_1)
	v_add_nc_u64_e32 v[112:113], s[84:85], v[108:109]
	v_add_nc_u64_e32 v[118:119], s[84:85], v[112:113]
	global_load_b128 v[96:99], v[96:97], off
	global_load_b128 v[100:103], v[100:101], off
	;; [unrolled: 1-line block ×5, first 2 shown]
	s_wait_loadcnt 0xc
	ds_store_2addr_b64 v29, v[0:1], v[2:3] offset1:1
	s_wait_loadcnt 0xb
	ds_store_2addr_b64 v30, v[4:5], v[6:7] offset1:1
	global_load_b128 v[0:3], v[118:119], off
	s_clause 0x1
	global_load_b128 v[4:7], v[116:117], off
	global_load_b128 v[116:119], v[22:23], off
	s_wait_loadcnt 0xd
	ds_store_2addr_b64 v31, v[8:9], v[10:11] offset1:1
	s_wait_loadcnt 0xc
	ds_store_2addr_b64 v32, v[76:77], v[78:79] offset1:1
	;; [unrolled: 2-line block ×14, first 2 shown]
.LBB258_7:                              ;   in Loop: Header=BB258_3 Depth=1
	s_and_not1_b32 vcc_lo, exec_lo, s91
	s_cbranch_vccnz .LBB258_9
; %bb.8:                                ;   in Loop: Header=BB258_3 Depth=1
	s_wait_xcnt 0x0
	v_lshl_add_u64 v[22:23], v[14:15], 4, s[88:89]
	s_delay_alu instid0(VALU_DEP_1) | instskip(NEXT) | instid1(VALU_DEP_1)
	v_lshl_add_u64 v[0:1], s[50:51], 4, v[22:23]
	v_add_nc_u64_e32 v[4:5], s[52:53], v[0:1]
	s_delay_alu instid0(VALU_DEP_1) | instskip(NEXT) | instid1(VALU_DEP_1)
	v_add_nc_u64_e32 v[8:9], s[52:53], v[4:5]
	v_add_nc_u64_e32 v[76:77], s[52:53], v[8:9]
	s_clause 0x2
	global_load_b128 v[0:3], v[0:1], off offset:256
	global_load_b128 v[4:7], v[4:5], off offset:256
	;; [unrolled: 1-line block ×3, first 2 shown]
	v_add_nc_u64_e32 v[80:81], s[52:53], v[76:77]
	s_delay_alu instid0(VALU_DEP_1) | instskip(NEXT) | instid1(VALU_DEP_1)
	v_add_nc_u64_e32 v[84:85], s[52:53], v[80:81]
	v_add_nc_u64_e32 v[88:89], s[52:53], v[84:85]
	s_delay_alu instid0(VALU_DEP_1) | instskip(NEXT) | instid1(VALU_DEP_1)
	v_add_nc_u64_e32 v[92:93], s[52:53], v[88:89]
	v_add_nc_u64_e32 v[96:97], s[52:53], v[92:93]
	s_delay_alu instid0(VALU_DEP_1)
	v_add_nc_u64_e32 v[100:101], s[52:53], v[96:97]
	s_clause 0x1
	global_load_b128 v[76:79], v[76:77], off offset:256
	global_load_b128 v[80:83], v[80:81], off offset:256
	;; [unrolled: 1-line block ×6, first 2 shown]
	v_add_nc_u64_e32 v[104:105], s[52:53], v[100:101]
	s_delay_alu instid0(VALU_DEP_1) | instskip(NEXT) | instid1(VALU_DEP_1)
	v_add_nc_u64_e32 v[108:109], s[52:53], v[104:105]
	v_add_nc_u64_e32 v[112:113], s[52:53], v[108:109]
	s_delay_alu instid0(VALU_DEP_1) | instskip(NEXT) | instid1(VALU_DEP_1)
	v_add_nc_u64_e32 v[116:117], s[52:53], v[112:113]
	v_add_nc_u64_e32 v[124:125], s[52:53], v[116:117]
	global_load_b128 v[100:103], v[100:101], off offset:256
	global_load_b128 v[104:107], v[104:105], off offset:256
	;; [unrolled: 1-line block ×7, first 2 shown]
	s_wait_loadcnt 0xf
	ds_store_2addr_b64 v42, v[0:1], v[2:3] offset1:1
	s_wait_loadcnt 0xe
	ds_store_2addr_b64 v41, v[4:5], v[6:7] offset1:1
	;; [unrolled: 2-line block ×16, first 2 shown]
.LBB258_9:                              ;   in Loop: Header=BB258_3 Depth=1
	s_wait_xcnt 0x0
	s_or_b32 exec_lo, exec_lo, s90
.LBB258_10:                             ;   in Loop: Header=BB258_3 Depth=1
	s_and_not1_saveexec_b32 s38, s38
	s_cbranch_execz .LBB258_77
; %bb.11:                               ;   in Loop: Header=BB258_3 Depth=1
	v_lshl_add_u64 v[0:1], v[12:13], 4, s[88:89]
	s_and_not1_b32 vcc_lo, exec_lo, s95
	s_mov_b32 s88, -1
	s_delay_alu instid0(VALU_DEP_1)
	v_lshl_add_u64 v[22:23], v[14:15], 4, v[0:1]
	s_cbranch_vccnz .LBB258_45
; %bb.12:                               ;   in Loop: Header=BB258_3 Depth=1
	v_mov_b64_e32 v[0:1], 0
	v_mov_b64_e32 v[4:5], 0
	v_mov_b64_e32 v[6:7], 0
	s_and_saveexec_b32 s88, s4
	s_cbranch_execz .LBB258_14
; %bb.13:                               ;   in Loop: Header=BB258_3 Depth=1
	v_add_nc_u64_e32 v[2:3], s[58:59], v[22:23]
	global_load_b128 v[4:7], v[2:3], off
.LBB258_14:                             ;   in Loop: Header=BB258_3 Depth=1
	s_wait_xcnt 0x0
	s_or_b32 exec_lo, exec_lo, s88
	v_mov_b64_e32 v[2:3], 0
	s_wait_loadcnt 0x0
	ds_store_b128 v43, v[4:7] offset:4080
	s_and_saveexec_b32 s88, s5
	s_cbranch_execz .LBB258_16
; %bb.15:                               ;   in Loop: Header=BB258_3 Depth=1
	v_add_nc_u64_e32 v[0:1], s[60:61], v[22:23]
	global_load_b128 v[0:3], v[0:1], off
.LBB258_16:                             ;   in Loop: Header=BB258_3 Depth=1
	s_wait_xcnt 0x0
	s_or_b32 exec_lo, exec_lo, s88
	v_mov_b64_e32 v[4:5], 0
	v_mov_b64_e32 v[8:9], 0
	v_mov_b64_e32 v[10:11], 0
	s_wait_loadcnt 0x0
	ds_store_b128 v44, v[0:3] offset:4080
	s_and_saveexec_b32 s88, s6
	s_cbranch_execz .LBB258_18
; %bb.17:                               ;   in Loop: Header=BB258_3 Depth=1
	v_add_nc_u64_e32 v[0:1], s[62:63], v[22:23]
	global_load_b128 v[8:11], v[0:1], off
.LBB258_18:                             ;   in Loop: Header=BB258_3 Depth=1
	s_wait_xcnt 0x0
	s_or_b32 exec_lo, exec_lo, s88
	v_mov_b64_e32 v[6:7], 0
	s_wait_loadcnt 0x0
	ds_store_b128 v45, v[8:11] offset:4080
	s_and_saveexec_b32 s88, s7
	s_cbranch_execz .LBB258_20
; %bb.19:                               ;   in Loop: Header=BB258_3 Depth=1
	v_add_nc_u64_e32 v[0:1], s[64:65], v[22:23]
	global_load_b128 v[4:7], v[0:1], off
.LBB258_20:                             ;   in Loop: Header=BB258_3 Depth=1
	s_wait_xcnt 0x0
	s_or_b32 exec_lo, exec_lo, s88
	v_mov_b64_e32 v[2:3], 0
	v_mov_b64_e32 v[8:9], 0
	v_mov_b64_e32 v[10:11], 0
	s_wait_loadcnt 0x0
	ds_store_b128 v46, v[4:7] offset:4080
	;; [unrolled: 24-line block ×7, first 2 shown]
	s_and_saveexec_b32 s88, s18
	s_cbranch_execz .LBB258_42
; %bb.41:                               ;   in Loop: Header=BB258_3 Depth=1
	v_lshl_add_u64 v[0:1], s[50:51], 4, v[22:23]
	global_load_b128 v[8:11], v[0:1], off
.LBB258_42:                             ;   in Loop: Header=BB258_3 Depth=1
	s_wait_xcnt 0x0
	s_or_b32 exec_lo, exec_lo, s88
	v_mov_b64_e32 v[6:7], 0
	s_wait_loadcnt 0x0
	ds_store_b128 v57, v[8:11] offset:4080
	s_and_saveexec_b32 s88, s19
	s_cbranch_execz .LBB258_44
; %bb.43:                               ;   in Loop: Header=BB258_3 Depth=1
	global_load_b128 v[4:7], v[22:23], off
.LBB258_44:                             ;   in Loop: Header=BB258_3 Depth=1
	s_wait_xcnt 0x0
	s_or_b32 exec_lo, exec_lo, s88
	s_mov_b32 s88, 0
	s_wait_loadcnt 0x0
	ds_store_b128 v58, v[4:7] offset:4080
.LBB258_45:                             ;   in Loop: Header=BB258_3 Depth=1
	s_and_b32 vcc_lo, exec_lo, s88
	s_cbranch_vccz .LBB258_77
; %bb.46:                               ;   in Loop: Header=BB258_3 Depth=1
	global_load_b128 v[8:11], v[22:23], off
	v_mov_b64_e32 v[0:1], 0
	v_mov_b64_e32 v[4:5], 0
	;; [unrolled: 1-line block ×3, first 2 shown]
	s_wait_loadcnt 0x0
	ds_store_b128 v59, v[8:11]
	s_wait_xcnt 0x0
	s_and_saveexec_b32 s88, s20
	s_cbranch_execz .LBB258_48
; %bb.47:                               ;   in Loop: Header=BB258_3 Depth=1
	v_lshl_add_u64 v[2:3], s[50:51], 4, v[22:23]
	global_load_b128 v[4:7], v[2:3], off
.LBB258_48:                             ;   in Loop: Header=BB258_3 Depth=1
	s_wait_xcnt 0x0
	s_or_b32 exec_lo, exec_lo, s88
	v_mov_b64_e32 v[2:3], 0
	s_wait_loadcnt 0x0
	ds_store_b128 v59, v[4:7] offset:256
	s_and_saveexec_b32 s88, s21
	s_cbranch_execz .LBB258_50
; %bb.49:                               ;   in Loop: Header=BB258_3 Depth=1
	v_add_nc_u64_e32 v[0:1], s[82:83], v[22:23]
	global_load_b128 v[0:3], v[0:1], off
.LBB258_50:                             ;   in Loop: Header=BB258_3 Depth=1
	s_wait_xcnt 0x0
	s_or_b32 exec_lo, exec_lo, s88
	v_mov_b64_e32 v[4:5], 0
	v_mov_b64_e32 v[8:9], 0
	v_mov_b64_e32 v[10:11], 0
	s_wait_loadcnt 0x0
	ds_store_b128 v59, v[0:3] offset:512
	s_and_saveexec_b32 s88, s22
	s_cbranch_execz .LBB258_52
; %bb.51:                               ;   in Loop: Header=BB258_3 Depth=1
	v_add_nc_u64_e32 v[0:1], s[42:43], v[22:23]
	global_load_b128 v[8:11], v[0:1], off
.LBB258_52:                             ;   in Loop: Header=BB258_3 Depth=1
	s_wait_xcnt 0x0
	s_or_b32 exec_lo, exec_lo, s88
	v_mov_b64_e32 v[6:7], 0
	s_wait_loadcnt 0x0
	ds_store_b128 v59, v[8:11] offset:768
	s_and_saveexec_b32 s88, s23
	s_cbranch_execz .LBB258_54
; %bb.53:                               ;   in Loop: Header=BB258_3 Depth=1
	v_add_nc_u64_e32 v[0:1], s[80:81], v[22:23]
	global_load_b128 v[4:7], v[0:1], off
.LBB258_54:                             ;   in Loop: Header=BB258_3 Depth=1
	s_wait_xcnt 0x0
	s_or_b32 exec_lo, exec_lo, s88
	v_mov_b64_e32 v[2:3], 0
	v_mov_b64_e32 v[8:9], 0
	v_mov_b64_e32 v[10:11], 0
	s_wait_loadcnt 0x0
	ds_store_b128 v59, v[4:7] offset:1024
	s_and_saveexec_b32 s88, s24
	s_cbranch_execz .LBB258_56
; %bb.55:                               ;   in Loop: Header=BB258_3 Depth=1
	v_add_nc_u64_e32 v[0:1], s[78:79], v[22:23]
	global_load_b128 v[8:11], v[0:1], off
.LBB258_56:                             ;   in Loop: Header=BB258_3 Depth=1
	;; [unrolled: 24-line block ×6, first 2 shown]
	s_wait_xcnt 0x0
	s_or_b32 exec_lo, exec_lo, s88
	v_mov_b64_e32 v[2:3], 0
	s_wait_loadcnt 0x0
	ds_store_b128 v59, v[6:9] offset:3328
	s_and_saveexec_b32 s88, s34
	s_cbranch_execz .LBB258_74
; %bb.73:                               ;   in Loop: Header=BB258_3 Depth=1
	v_add_nc_u64_e32 v[0:1], s[60:61], v[22:23]
	global_load_b128 v[0:3], v[0:1], off
.LBB258_74:                             ;   in Loop: Header=BB258_3 Depth=1
	s_wait_xcnt 0x0
	s_or_b32 exec_lo, exec_lo, s88
	v_mov_b64_e32 v[4:5], 0
	v_mov_b64_e32 v[6:7], 0
	s_wait_loadcnt 0x0
	ds_store_b128 v59, v[0:3] offset:3584
	s_and_saveexec_b32 s88, s35
	s_cbranch_execz .LBB258_76
; %bb.75:                               ;   in Loop: Header=BB258_3 Depth=1
	v_add_nc_u64_e32 v[0:1], s[58:59], v[22:23]
	global_load_b128 v[4:7], v[0:1], off
.LBB258_76:                             ;   in Loop: Header=BB258_3 Depth=1
	s_wait_xcnt 0x0
	s_or_b32 exec_lo, exec_lo, s88
	s_wait_loadcnt 0x0
	ds_store_b128 v59, v[4:7] offset:3840
.LBB258_77:                             ;   in Loop: Header=BB258_3 Depth=1
	s_or_b32 exec_lo, exec_lo, s38
	s_wait_dscnt 0x0
	s_barrier_signal -1
	s_barrier_wait -1
	s_and_saveexec_b32 s88, s1
	s_cbranch_execz .LBB258_88
; %bb.78:                               ;   in Loop: Header=BB258_3 Depth=1
	s_and_not1_b32 vcc_lo, exec_lo, s96
	s_cbranch_vccnz .LBB258_86
; %bb.79:                               ;   in Loop: Header=BB258_3 Depth=1
	ds_load_b128 v[0:3], v60
	v_mov_b64_e32 v[6:7], 0
	v_mov_b64_e32 v[4:5], 1.0
	s_wait_dscnt 0x0
	v_cmp_neq_f64_e32 vcc_lo, 0, v[0:1]
	v_cmp_neq_f64_e64 s38, 0, v[2:3]
	s_or_b32 s89, vcc_lo, s38
	s_delay_alu instid0(SALU_CYCLE_1)
	s_and_saveexec_b32 s38, s89
	s_cbranch_execz .LBB258_85
; %bb.80:                               ;   in Loop: Header=BB258_3 Depth=1
	v_cmp_ngt_f64_e64 s89, |v[0:1]|, |v[2:3]|
                                        ; implicit-def: $vgpr6_vgpr7
	s_and_saveexec_b32 s90, s89
	s_delay_alu instid0(SALU_CYCLE_1)
	s_xor_b32 s89, exec_lo, s90
	s_cbranch_execz .LBB258_82
; %bb.81:                               ;   in Loop: Header=BB258_3 Depth=1
	v_div_scale_f64 v[4:5], null, v[2:3], v[2:3], v[0:1]
	v_div_scale_f64 v[10:11], vcc_lo, v[0:1], v[2:3], v[0:1]
	s_delay_alu instid0(VALU_DEP_2) | instskip(SKIP_1) | instid1(TRANS32_DEP_1)
	v_rcp_f64_e32 v[6:7], v[4:5]
	v_nop
	v_fma_f64 v[8:9], -v[4:5], v[6:7], 1.0
	s_delay_alu instid0(VALU_DEP_1) | instskip(NEXT) | instid1(VALU_DEP_1)
	v_fmac_f64_e32 v[6:7], v[6:7], v[8:9]
	v_fma_f64 v[8:9], -v[4:5], v[6:7], 1.0
	s_delay_alu instid0(VALU_DEP_1) | instskip(NEXT) | instid1(VALU_DEP_1)
	v_fmac_f64_e32 v[6:7], v[6:7], v[8:9]
	v_mul_f64_e32 v[8:9], v[10:11], v[6:7]
	s_delay_alu instid0(VALU_DEP_1) | instskip(NEXT) | instid1(VALU_DEP_1)
	v_fma_f64 v[4:5], -v[4:5], v[8:9], v[10:11]
	v_div_fmas_f64 v[4:5], v[4:5], v[6:7], v[8:9]
	s_delay_alu instid0(VALU_DEP_1) | instskip(NEXT) | instid1(VALU_DEP_1)
	v_div_fixup_f64 v[4:5], v[4:5], v[2:3], v[0:1]
	v_fmac_f64_e32 v[2:3], v[0:1], v[4:5]
	s_delay_alu instid0(VALU_DEP_1) | instskip(NEXT) | instid1(VALU_DEP_1)
	v_div_scale_f64 v[0:1], null, v[2:3], v[2:3], 1.0
	v_rcp_f64_e32 v[6:7], v[0:1]
	v_nop
	s_delay_alu instid0(TRANS32_DEP_1) | instskip(NEXT) | instid1(VALU_DEP_1)
	v_fma_f64 v[8:9], -v[0:1], v[6:7], 1.0
	v_fmac_f64_e32 v[6:7], v[6:7], v[8:9]
	s_delay_alu instid0(VALU_DEP_1) | instskip(NEXT) | instid1(VALU_DEP_1)
	v_fma_f64 v[8:9], -v[0:1], v[6:7], 1.0
	v_fmac_f64_e32 v[6:7], v[6:7], v[8:9]
	v_div_scale_f64 v[8:9], vcc_lo, 1.0, v[2:3], 1.0
	s_delay_alu instid0(VALU_DEP_1) | instskip(NEXT) | instid1(VALU_DEP_1)
	v_mul_f64_e32 v[10:11], v[8:9], v[6:7]
	v_fma_f64 v[0:1], -v[0:1], v[10:11], v[8:9]
	s_delay_alu instid0(VALU_DEP_1) | instskip(NEXT) | instid1(VALU_DEP_1)
	v_div_fmas_f64 v[0:1], v[0:1], v[6:7], v[10:11]
	v_div_fixup_f64 v[6:7], v[0:1], v[2:3], 1.0
                                        ; implicit-def: $vgpr0_vgpr1
	s_delay_alu instid0(VALU_DEP_1)
	v_mul_f64_e32 v[4:5], v[4:5], v[6:7]
	v_xor_b32_e32 v7, 0x80000000, v7
.LBB258_82:                             ;   in Loop: Header=BB258_3 Depth=1
	s_and_not1_saveexec_b32 s89, s89
	s_cbranch_execz .LBB258_84
; %bb.83:                               ;   in Loop: Header=BB258_3 Depth=1
	v_div_scale_f64 v[4:5], null, v[0:1], v[0:1], v[2:3]
	v_div_scale_f64 v[10:11], vcc_lo, v[2:3], v[0:1], v[2:3]
	s_delay_alu instid0(VALU_DEP_2) | instskip(SKIP_1) | instid1(TRANS32_DEP_1)
	v_rcp_f64_e32 v[6:7], v[4:5]
	v_nop
	v_fma_f64 v[8:9], -v[4:5], v[6:7], 1.0
	s_delay_alu instid0(VALU_DEP_1) | instskip(NEXT) | instid1(VALU_DEP_1)
	v_fmac_f64_e32 v[6:7], v[6:7], v[8:9]
	v_fma_f64 v[8:9], -v[4:5], v[6:7], 1.0
	s_delay_alu instid0(VALU_DEP_1) | instskip(NEXT) | instid1(VALU_DEP_1)
	v_fmac_f64_e32 v[6:7], v[6:7], v[8:9]
	v_mul_f64_e32 v[8:9], v[10:11], v[6:7]
	s_delay_alu instid0(VALU_DEP_1) | instskip(NEXT) | instid1(VALU_DEP_1)
	v_fma_f64 v[4:5], -v[4:5], v[8:9], v[10:11]
	v_div_fmas_f64 v[4:5], v[4:5], v[6:7], v[8:9]
	s_delay_alu instid0(VALU_DEP_1) | instskip(NEXT) | instid1(VALU_DEP_1)
	v_div_fixup_f64 v[6:7], v[4:5], v[0:1], v[2:3]
	v_fmac_f64_e32 v[0:1], v[2:3], v[6:7]
	s_delay_alu instid0(VALU_DEP_1) | instskip(NEXT) | instid1(VALU_DEP_1)
	v_div_scale_f64 v[2:3], null, v[0:1], v[0:1], 1.0
	v_rcp_f64_e32 v[4:5], v[2:3]
	v_nop
	s_delay_alu instid0(TRANS32_DEP_1) | instskip(NEXT) | instid1(VALU_DEP_1)
	v_fma_f64 v[8:9], -v[2:3], v[4:5], 1.0
	v_fmac_f64_e32 v[4:5], v[4:5], v[8:9]
	s_delay_alu instid0(VALU_DEP_1) | instskip(NEXT) | instid1(VALU_DEP_1)
	v_fma_f64 v[8:9], -v[2:3], v[4:5], 1.0
	v_fmac_f64_e32 v[4:5], v[4:5], v[8:9]
	v_div_scale_f64 v[8:9], vcc_lo, 1.0, v[0:1], 1.0
	s_delay_alu instid0(VALU_DEP_1) | instskip(NEXT) | instid1(VALU_DEP_1)
	v_mul_f64_e32 v[10:11], v[8:9], v[4:5]
	v_fma_f64 v[2:3], -v[2:3], v[10:11], v[8:9]
	s_delay_alu instid0(VALU_DEP_1) | instskip(NEXT) | instid1(VALU_DEP_1)
	v_div_fmas_f64 v[2:3], v[2:3], v[4:5], v[10:11]
	v_div_fixup_f64 v[4:5], v[2:3], v[0:1], 1.0
	s_delay_alu instid0(VALU_DEP_1)
	v_mul_f64_e64 v[6:7], v[6:7], -v[4:5]
.LBB258_84:                             ;   in Loop: Header=BB258_3 Depth=1
	s_or_b32 exec_lo, exec_lo, s89
.LBB258_85:                             ;   in Loop: Header=BB258_3 Depth=1
	s_delay_alu instid0(SALU_CYCLE_1)
	s_or_b32 exec_lo, exec_lo, s38
	s_branch .LBB258_87
.LBB258_86:                             ;   in Loop: Header=BB258_3 Depth=1
	v_mov_b64_e32 v[6:7], 0
	v_mov_b64_e32 v[4:5], 1.0
.LBB258_87:                             ;   in Loop: Header=BB258_3 Depth=1
	ds_store_b128 v60, v[4:7]
.LBB258_88:                             ;   in Loop: Header=BB258_3 Depth=1
	s_or_b32 exec_lo, exec_lo, s88
	s_wait_dscnt 0x0
	s_barrier_signal -1
	s_barrier_wait -1
	s_and_saveexec_b32 s38, s1
	s_cbranch_execz .LBB258_100
; %bb.89:                               ;   in Loop: Header=BB258_3 Depth=1
	v_dual_mov_b32 v5, v62 :: v_dual_bitop2_b32 v4, 16, v24 bitop3:0x54
	s_mov_b32 s88, 0
	s_branch .LBB258_91
.LBB258_90:                             ;   in Loop: Header=BB258_91 Depth=2
	v_add_nc_u32_e32 v5, 0x100, v5
	v_add_nc_u32_e32 v4, 0x110, v4
	s_cmp_eq_u32 s88, 16
	s_cbranch_scc1 .LBB258_100
.LBB258_91:                             ;   Parent Loop BB258_3 Depth=1
                                        ; =>  This Loop Header: Depth=2
                                        ;       Child Loop BB258_96 Depth 3
	v_mov_b64_e32 v[0:1], 0
	v_mov_b64_e32 v[2:3], 0
	s_mov_b32 s89, s88
	s_mov_b32 s88, exec_lo
	v_cmpx_lt_i32_e64 s89, v14
	s_cbranch_execz .LBB258_93
; %bb.92:                               ;   in Loop: Header=BB258_91 Depth=2
	v_mad_u32 v0, 0x110, s89, v24
	v_lshl_add_u32 v6, s89, 8, v61
	ds_load_b128 v[0:3], v0
	ds_load_b128 v[6:9], v6
	s_wait_dscnt 0x0
	v_mul_f64_e32 v[10:11], v[2:3], v[8:9]
	v_mul_f64_e32 v[8:9], v[0:1], v[8:9]
	s_delay_alu instid0(VALU_DEP_2) | instskip(NEXT) | instid1(VALU_DEP_2)
	v_fma_f64 v[0:1], v[0:1], v[6:7], -v[10:11]
	v_fmac_f64_e32 v[8:9], v[2:3], v[6:7]
	s_delay_alu instid0(VALU_DEP_2) | instskip(NEXT) | instid1(VALU_DEP_2)
	v_add_f64_e32 v[0:1], 0, v[0:1]
	v_add_f64_e32 v[2:3], 0, v[8:9]
.LBB258_93:                             ;   in Loop: Header=BB258_91 Depth=2
	s_or_b32 exec_lo, exec_lo, s88
	s_add_co_i32 s88, s89, 1
	s_cmp_gt_u32 s89, 14
	s_cbranch_scc1 .LBB258_90
; %bb.94:                               ;   in Loop: Header=BB258_91 Depth=2
	v_dual_mov_b32 v6, v4 :: v_dual_mov_b32 v7, v5
	s_lshl_b32 s89, s89, 8
	s_mov_b32 s90, s88
	s_branch .LBB258_96
.LBB258_95:                             ;   in Loop: Header=BB258_96 Depth=3
	s_or_b32 exec_lo, exec_lo, s91
	v_add_nc_u32_e32 v7, 0x100, v7
	v_add_nc_u32_e32 v6, 16, v6
	s_add_co_i32 s90, s90, 1
	s_delay_alu instid0(SALU_CYCLE_1)
	s_cmp_eq_u32 s90, 16
	s_cbranch_scc1 .LBB258_90
.LBB258_96:                             ;   Parent Loop BB258_3 Depth=1
                                        ;     Parent Loop BB258_91 Depth=2
                                        ; =>    This Inner Loop Header: Depth=3
	s_mov_b32 s91, exec_lo
	v_cmpx_eq_u32_e64 s90, v14
	s_cbranch_execz .LBB258_98
; %bb.97:                               ;   in Loop: Header=BB258_96 Depth=3
	ds_load_b128 v[8:11], v60
	v_add_f64_e64 v[22:23], -v[0:1], 0
	s_wait_dscnt 0x0
	v_mul_f64_e32 v[76:77], v[2:3], v[10:11]
	v_mul_f64_e32 v[78:79], v[2:3], v[8:9]
	s_delay_alu instid0(VALU_DEP_2) | instskip(NEXT) | instid1(VALU_DEP_2)
	v_fmac_f64_e32 v[76:77], v[22:23], v[8:9]
	v_dual_fma_f64 v[78:79], v[22:23], v[10:11], -v[78:79] :: v_dual_add_nc_u32 v8, s89, v61
	ds_store_b128 v8, v[76:79]
.LBB258_98:                             ;   in Loop: Header=BB258_96 Depth=3
	s_or_b32 exec_lo, exec_lo, s91
	s_delay_alu instid0(SALU_CYCLE_1)
	s_mov_b32 s91, exec_lo
	v_cmpx_lt_i32_e64 s90, v14
	s_cbranch_execz .LBB258_95
; %bb.99:                               ;   in Loop: Header=BB258_96 Depth=3
	ds_load_b128 v[8:11], v6
	ds_load_b128 v[76:79], v7
	s_wait_dscnt 0x0
	v_mul_f64_e32 v[22:23], v[10:11], v[78:79]
	v_mul_f64_e32 v[78:79], v[8:9], v[78:79]
	s_delay_alu instid0(VALU_DEP_2) | instskip(NEXT) | instid1(VALU_DEP_2)
	v_fma_f64 v[8:9], v[8:9], v[76:77], -v[22:23]
	v_fmac_f64_e32 v[78:79], v[10:11], v[76:77]
	s_delay_alu instid0(VALU_DEP_2) | instskip(NEXT) | instid1(VALU_DEP_2)
	v_add_f64_e32 v[0:1], v[0:1], v[8:9]
	v_add_f64_e32 v[2:3], v[2:3], v[78:79]
	s_branch .LBB258_95
.LBB258_100:                            ;   in Loop: Header=BB258_3 Depth=1
	s_or_b32 exec_lo, exec_lo, s38
	s_delay_alu instid0(SALU_CYCLE_1)
	s_and_b32 vcc_lo, exec_lo, s95
	s_wait_dscnt 0x0
	s_barrier_signal -1
	s_barrier_wait -1
	s_cbranch_vccz .LBB258_105
; %bb.101:                              ;   in Loop: Header=BB258_3 Depth=1
	s_mov_b32 s88, 0
	s_mov_b32 s38, 0
                                        ; implicit-def: $vgpr2_vgpr3
	s_and_saveexec_b32 s89, s3
	s_cbranch_execz .LBB258_106
; %bb.102:                              ;   in Loop: Header=BB258_3 Depth=1
	v_mov_b64_e32 v[2:3], 0
	v_mov_b64_e32 v[0:1], 0
	v_dual_mov_b32 v4, v25 :: v_dual_mov_b32 v5, v64
	v_mov_b32_e32 v6, v63
.LBB258_103:                            ;   Parent Loop BB258_3 Depth=1
                                        ; =>  This Inner Loop Header: Depth=2
	ds_load_b128 v[8:11], v5
	ds_load_b128 v[76:79], v4
	v_add_nc_u32_e32 v4, 0x100, v4
	v_dual_add_nc_u32 v5, -16, v5 :: v_dual_add_nc_u32 v6, -1, v6
	s_delay_alu instid0(VALU_DEP_1) | instskip(SKIP_4) | instid1(VALU_DEP_2)
	v_cmp_eq_u32_e32 vcc_lo, 0, v6
	s_or_b32 s38, vcc_lo, s38
	s_wait_dscnt 0x0
	v_mul_f64_e32 v[22:23], v[10:11], v[78:79]
	v_mul_f64_e32 v[78:79], v[8:9], v[78:79]
	v_fma_f64 v[8:9], v[8:9], v[76:77], -v[22:23]
	s_delay_alu instid0(VALU_DEP_2) | instskip(NEXT) | instid1(VALU_DEP_2)
	v_fmac_f64_e32 v[78:79], v[10:11], v[76:77]
	v_add_f64_e32 v[0:1], v[0:1], v[8:9]
	s_delay_alu instid0(VALU_DEP_2)
	v_add_f64_e32 v[2:3], v[2:3], v[78:79]
	s_and_not1_b32 exec_lo, exec_lo, s38
	s_cbranch_execnz .LBB258_103
; %bb.104:                              ;   in Loop: Header=BB258_3 Depth=1
	s_or_b32 exec_lo, exec_lo, s38
	s_delay_alu instid0(SALU_CYCLE_1) | instskip(SKIP_1) | instid1(SALU_CYCLE_1)
	s_mov_b32 s38, exec_lo
	s_or_b32 exec_lo, exec_lo, s89
	s_and_b32 vcc_lo, exec_lo, s88
	s_cbranch_vccnz .LBB258_107
	s_branch .LBB258_112
.LBB258_105:                            ;   in Loop: Header=BB258_3 Depth=1
	s_mov_b32 s38, 0
                                        ; implicit-def: $vgpr2_vgpr3
	s_cbranch_execnz .LBB258_107
	s_branch .LBB258_112
.LBB258_106:                            ;   in Loop: Header=BB258_3 Depth=1
	s_or_b32 exec_lo, exec_lo, s89
	s_delay_alu instid0(SALU_CYCLE_1)
	s_and_b32 vcc_lo, exec_lo, s88
	s_cbranch_vccz .LBB258_112
.LBB258_107:                            ;   in Loop: Header=BB258_3 Depth=1
                                        ; implicit-def: $vgpr2_vgpr3
	s_and_saveexec_b32 s88, s3
	s_cbranch_execz .LBB258_111
; %bb.108:                              ;   in Loop: Header=BB258_3 Depth=1
	v_mov_b64_e32 v[2:3], 0
	v_mov_b64_e32 v[0:1], 0
	v_dual_mov_b32 v4, v66 :: v_dual_mov_b32 v5, v67
	v_mov_b32_e32 v6, v65
	s_mov_b32 s89, 0
.LBB258_109:                            ;   Parent Loop BB258_3 Depth=1
                                        ; =>  This Inner Loop Header: Depth=2
	ds_load_b128 v[8:11], v5
	ds_load_b128 v[76:79], v4
	v_add_nc_u32_e32 v4, 0x100, v4
	v_dual_add_nc_u32 v5, 16, v5 :: v_dual_add_nc_u32 v6, 1, v6
	s_delay_alu instid0(VALU_DEP_1) | instskip(SKIP_4) | instid1(VALU_DEP_2)
	v_cmp_lt_u32_e32 vcc_lo, 14, v6
	s_or_b32 s89, vcc_lo, s89
	s_wait_dscnt 0x0
	v_mul_f64_e32 v[22:23], v[10:11], v[78:79]
	v_mul_f64_e32 v[78:79], v[8:9], v[78:79]
	v_fma_f64 v[8:9], v[8:9], v[76:77], -v[22:23]
	s_delay_alu instid0(VALU_DEP_2) | instskip(NEXT) | instid1(VALU_DEP_2)
	v_fmac_f64_e32 v[78:79], v[10:11], v[76:77]
	v_add_f64_e32 v[0:1], v[0:1], v[8:9]
	s_delay_alu instid0(VALU_DEP_2)
	v_add_f64_e32 v[2:3], v[2:3], v[78:79]
	s_and_not1_b32 exec_lo, exec_lo, s89
	s_cbranch_execnz .LBB258_109
; %bb.110:                              ;   in Loop: Header=BB258_3 Depth=1
	s_or_b32 exec_lo, exec_lo, s89
	s_delay_alu instid0(SALU_CYCLE_1)
	s_or_b32 s38, s38, exec_lo
.LBB258_111:                            ;   in Loop: Header=BB258_3 Depth=1
	s_or_b32 exec_lo, exec_lo, s88
.LBB258_112:                            ;   in Loop: Header=BB258_3 Depth=1
	s_and_saveexec_b32 s88, s38
; %bb.113:                              ;   in Loop: Header=BB258_3 Depth=1
	ds_store_b128 v26, v[0:3]
; %bb.114:                              ;   in Loop: Header=BB258_3 Depth=1
	s_or_b32 exec_lo, exec_lo, s88
	s_delay_alu instid0(SALU_CYCLE_1)
	s_and_b32 vcc_lo, exec_lo, s95
	s_wait_dscnt 0x0
	s_barrier_signal -1
	s_barrier_wait -1
	s_cbranch_vccz .LBB258_119
; %bb.115:                              ;   in Loop: Header=BB258_3 Depth=1
	s_mov_b32 s88, 0
	s_mov_b32 s38, 0
                                        ; implicit-def: $vgpr2_vgpr3
                                        ; implicit-def: $vgpr0_vgpr1
	s_and_saveexec_b32 s89, s3
	s_cbranch_execz .LBB258_125
; %bb.116:                              ;   in Loop: Header=BB258_3 Depth=1
	v_mov_b64_e32 v[0:1], 0
	v_mov_b64_e32 v[2:3], 0
	v_dual_mov_b32 v4, v70 :: v_dual_mov_b32 v5, v69
	v_mov_b32_e32 v6, v68
.LBB258_117:                            ;   Parent Loop BB258_3 Depth=1
                                        ; =>  This Inner Loop Header: Depth=2
	ds_load_b128 v[8:11], v4
	ds_load_b128 v[76:79], v5
	v_add_nc_u32_e32 v4, 0xffffff00, v4
	v_dual_add_nc_u32 v6, 1, v6 :: v_dual_add_nc_u32 v5, 16, v5
	s_delay_alu instid0(VALU_DEP_1) | instskip(SKIP_4) | instid1(VALU_DEP_2)
	v_cmp_lt_u32_e32 vcc_lo, 14, v6
	s_or_b32 s38, vcc_lo, s38
	s_wait_dscnt 0x0
	v_mul_f64_e32 v[22:23], v[8:9], v[76:77]
	v_mul_f64_e32 v[8:9], v[8:9], v[78:79]
	v_fma_f64 v[22:23], v[10:11], v[78:79], -v[22:23]
	s_delay_alu instid0(VALU_DEP_2) | instskip(NEXT) | instid1(VALU_DEP_2)
	v_fma_f64 v[8:9], v[76:77], -v[10:11], -v[8:9]
	v_add_f64_e32 v[0:1], v[0:1], v[22:23]
	s_delay_alu instid0(VALU_DEP_2)
	v_add_f64_e32 v[2:3], v[2:3], v[8:9]
	s_and_not1_b32 exec_lo, exec_lo, s38
	s_cbranch_execnz .LBB258_117
; %bb.118:                              ;   in Loop: Header=BB258_3 Depth=1
	s_or_b32 exec_lo, exec_lo, s38
	s_delay_alu instid0(SALU_CYCLE_1) | instskip(SKIP_1) | instid1(SALU_CYCLE_1)
	s_mov_b32 s38, exec_lo
	s_or_b32 exec_lo, exec_lo, s89
	s_and_b32 vcc_lo, exec_lo, s88
	s_cbranch_vccnz .LBB258_120
	s_branch .LBB258_126
.LBB258_119:                            ;   in Loop: Header=BB258_3 Depth=1
	s_mov_b32 s38, 0
                                        ; implicit-def: $vgpr2_vgpr3
                                        ; implicit-def: $vgpr0_vgpr1
	s_cbranch_execz .LBB258_126
.LBB258_120:                            ;   in Loop: Header=BB258_3 Depth=1
                                        ; implicit-def: $vgpr2_vgpr3
                                        ; implicit-def: $vgpr0_vgpr1
	s_and_saveexec_b32 s88, s3
	s_cbranch_execz .LBB258_124
; %bb.121:                              ;   in Loop: Header=BB258_3 Depth=1
	v_mov_b64_e32 v[0:1], 0
	v_mov_b64_e32 v[2:3], 0
	v_dual_mov_b32 v4, v73 :: v_dual_mov_b32 v5, v72
	v_mov_b32_e32 v6, v71
	s_mov_b32 s89, 0
.LBB258_122:                            ;   Parent Loop BB258_3 Depth=1
                                        ; =>  This Inner Loop Header: Depth=2
	ds_load_b128 v[8:11], v4
	ds_load_b128 v[76:79], v5
	v_add_nc_u32_e32 v4, 0x100, v4
	v_dual_add_nc_u32 v6, -1, v6 :: v_dual_add_nc_u32 v5, 16, v5
	s_delay_alu instid0(VALU_DEP_1) | instskip(SKIP_4) | instid1(VALU_DEP_2)
	v_cmp_eq_u32_e32 vcc_lo, 0, v6
	s_or_b32 s89, vcc_lo, s89
	s_wait_dscnt 0x0
	v_mul_f64_e32 v[22:23], v[8:9], v[76:77]
	v_mul_f64_e32 v[8:9], v[8:9], v[78:79]
	v_fma_f64 v[22:23], v[10:11], v[78:79], -v[22:23]
	s_delay_alu instid0(VALU_DEP_2) | instskip(NEXT) | instid1(VALU_DEP_2)
	v_fma_f64 v[8:9], v[76:77], -v[10:11], -v[8:9]
	v_add_f64_e32 v[0:1], v[0:1], v[22:23]
	s_delay_alu instid0(VALU_DEP_2)
	v_add_f64_e32 v[2:3], v[2:3], v[8:9]
	s_and_not1_b32 exec_lo, exec_lo, s89
	s_cbranch_execnz .LBB258_122
; %bb.123:                              ;   in Loop: Header=BB258_3 Depth=1
	s_or_b32 exec_lo, exec_lo, s89
	s_delay_alu instid0(SALU_CYCLE_1)
	s_or_b32 s38, s38, exec_lo
.LBB258_124:                            ;   in Loop: Header=BB258_3 Depth=1
	s_or_b32 exec_lo, exec_lo, s88
	s_mov_b64 s[92:93], 0x100
	s_mov_b64 s[90:91], 0x108
	s_branch .LBB258_127
.LBB258_125:                            ;   in Loop: Header=BB258_3 Depth=1
	s_or_b32 exec_lo, exec_lo, s89
	s_delay_alu instid0(SALU_CYCLE_1)
	s_and_b32 vcc_lo, exec_lo, s88
	s_cbranch_vccnz .LBB258_120
.LBB258_126:                            ;   in Loop: Header=BB258_3 Depth=1
	s_mov_b64 s[92:93], 0x8000
	s_mov_b64 s[90:91], 0x8008
.LBB258_127:                            ;   in Loop: Header=BB258_3 Depth=1
	s_mul_u64 s[88:89], s[46:47], s[48:49]
	s_delay_alu instid0(SALU_CYCLE_1) | instskip(NEXT) | instid1(SALU_CYCLE_1)
	s_lshl_b64 s[88:89], s[88:89], 4
	s_add_nc_u64 s[88:89], s[54:55], s[88:89]
	s_and_saveexec_b32 s49, s38
	s_cbranch_execz .LBB258_129
; %bb.128:                              ;   in Loop: Header=BB258_3 Depth=1
	v_add_nc_u64_e32 v[4:5], s[88:89], v[16:17]
	s_delay_alu instid0(VALU_DEP_1)
	v_add_nc_u64_e32 v[6:7], s[92:93], v[4:5]
	v_add_nc_u64_e32 v[4:5], s[90:91], v[4:5]
	s_clause 0x1
	global_store_b64 v[6:7], v[0:1], off
	global_store_b64 v[4:5], v[2:3], off
.LBB258_129:                            ;   in Loop: Header=BB258_3 Depth=1
	s_wait_xcnt 0x0
	s_or_b32 exec_lo, exec_lo, s49
	s_and_saveexec_b32 s49, s1
	s_cbranch_execz .LBB258_2
; %bb.130:                              ;   in Loop: Header=BB258_3 Depth=1
	s_and_not1_b32 vcc_lo, exec_lo, s95
	s_mov_b32 s38, -1
	s_cbranch_vccnz .LBB258_135
; %bb.131:                              ;   in Loop: Header=BB258_3 Depth=1
	s_and_saveexec_b32 s90, s36
	s_cbranch_execz .LBB258_134
; %bb.132:                              ;   in Loop: Header=BB258_3 Depth=1
	v_dual_mov_b32 v21, v17 :: v_dual_mov_b32 v2, v74
	s_mov_b32 s38, 16
	s_delay_alu instid0(VALU_DEP_1) | instskip(SKIP_1) | instid1(VALU_DEP_1)
	v_add_nc_u64_e32 v[0:1], s[88:89], v[20:21]
	s_mov_b32 s88, 0
	v_lshl_add_u64 v[0:1], v[14:15], 4, v[0:1]
.LBB258_133:                            ;   Parent Loop BB258_3 Depth=1
                                        ; =>  This Inner Loop Header: Depth=2
	ds_load_2addr_b64 v[4:7], v2 offset1:1
	s_add_co_i32 s38, s38, -1
	v_add_nc_u32_e32 v2, 0x100, v2
	s_lshl_b64 s[92:93], s[38:39], 11
	v_cmp_le_i32_e32 vcc_lo, s38, v14
	v_add_nc_u64_e32 v[8:9], s[92:93], v[0:1]
	s_or_b32 s88, vcc_lo, s88
	s_wait_dscnt 0x0
	global_store_b128 v[8:9], v[4:7], off
	s_wait_xcnt 0x0
	s_and_not1_b32 exec_lo, exec_lo, s88
	s_cbranch_execnz .LBB258_133
.LBB258_134:                            ;   in Loop: Header=BB258_3 Depth=1
	s_or_b32 exec_lo, exec_lo, s90
	s_mov_b32 s38, 0
.LBB258_135:                            ;   in Loop: Header=BB258_3 Depth=1
	s_delay_alu instid0(SALU_CYCLE_1)
	s_and_not1_b32 vcc_lo, exec_lo, s38
	s_cbranch_vccnz .LBB258_2
; %bb.136:                              ;   in Loop: Header=BB258_3 Depth=1
	s_and_b32 exec_lo, exec_lo, s37
	s_cbranch_execz .LBB258_2
; %bb.137:                              ;   in Loop: Header=BB258_3 Depth=1
	v_mad_nc_u64_u32 v[0:1], s86, s48, v[18:19]
	v_dual_mov_b32 v2, v61 :: v_dual_mov_b32 v3, v75
	s_mov_b32 s38, 0
	s_delay_alu instid0(VALU_DEP_2)
	v_mad_u32 v1, s87, s48, v1
.LBB258_138:                            ;   Parent Loop BB258_3 Depth=1
                                        ; =>  This Inner Loop Header: Depth=2
	ds_load_2addr_b64 v[4:7], v2 offset1:1
	v_add_nc_u32_e32 v3, -1, v3
	v_add_nc_u32_e32 v2, 0x100, v2
	s_delay_alu instid0(VALU_DEP_2)
	v_cmp_eq_u32_e32 vcc_lo, 0, v3
	s_or_b32 s38, vcc_lo, s38
	s_wait_dscnt 0x0
	global_store_b128 v[0:1], v[4:7], off
	s_wait_xcnt 0x0
	v_add_nc_u64_e32 v[0:1], 0x800, v[0:1]
	s_and_not1_b32 exec_lo, exec_lo, s38
	s_cbranch_execnz .LBB258_138
	s_branch .LBB258_2
.LBB258_139:
	s_sendmsg sendmsg(MSG_DEALLOC_VGPRS)
	s_endpgm
	.section	.rodata,"a",@progbits
	.p2align	6, 0x0
	.amdhsa_kernel _ZL25rocblas_trtri_trsm_kernelILi128ELi16ELi8E19rocblas_complex_numIdEPKS1_PS1_Ev13rocblas_fill_17rocblas_diagonal_T3_lilT4_lli
		.amdhsa_group_segment_fixed_size 16384
		.amdhsa_private_segment_fixed_size 0
		.amdhsa_kernarg_size 68
		.amdhsa_user_sgpr_count 2
		.amdhsa_user_sgpr_dispatch_ptr 0
		.amdhsa_user_sgpr_queue_ptr 0
		.amdhsa_user_sgpr_kernarg_segment_ptr 1
		.amdhsa_user_sgpr_dispatch_id 0
		.amdhsa_user_sgpr_kernarg_preload_length 0
		.amdhsa_user_sgpr_kernarg_preload_offset 0
		.amdhsa_user_sgpr_private_segment_size 0
		.amdhsa_wavefront_size32 1
		.amdhsa_uses_dynamic_stack 0
		.amdhsa_enable_private_segment 0
		.amdhsa_system_sgpr_workgroup_id_x 1
		.amdhsa_system_sgpr_workgroup_id_y 0
		.amdhsa_system_sgpr_workgroup_id_z 1
		.amdhsa_system_sgpr_workgroup_info 0
		.amdhsa_system_vgpr_workitem_id 0
		.amdhsa_next_free_vgpr 128
		.amdhsa_next_free_sgpr 97
		.amdhsa_named_barrier_count 0
		.amdhsa_reserve_vcc 1
		.amdhsa_float_round_mode_32 0
		.amdhsa_float_round_mode_16_64 0
		.amdhsa_float_denorm_mode_32 3
		.amdhsa_float_denorm_mode_16_64 3
		.amdhsa_fp16_overflow 0
		.amdhsa_memory_ordered 1
		.amdhsa_forward_progress 1
		.amdhsa_inst_pref_size 50
		.amdhsa_round_robin_scheduling 0
		.amdhsa_exception_fp_ieee_invalid_op 0
		.amdhsa_exception_fp_denorm_src 0
		.amdhsa_exception_fp_ieee_div_zero 0
		.amdhsa_exception_fp_ieee_overflow 0
		.amdhsa_exception_fp_ieee_underflow 0
		.amdhsa_exception_fp_ieee_inexact 0
		.amdhsa_exception_int_div_zero 0
	.end_amdhsa_kernel
	.section	.text._ZL25rocblas_trtri_trsm_kernelILi128ELi16ELi8E19rocblas_complex_numIdEPKS1_PS1_Ev13rocblas_fill_17rocblas_diagonal_T3_lilT4_lli,"axG",@progbits,_ZL25rocblas_trtri_trsm_kernelILi128ELi16ELi8E19rocblas_complex_numIdEPKS1_PS1_Ev13rocblas_fill_17rocblas_diagonal_T3_lilT4_lli,comdat
.Lfunc_end258:
	.size	_ZL25rocblas_trtri_trsm_kernelILi128ELi16ELi8E19rocblas_complex_numIdEPKS1_PS1_Ev13rocblas_fill_17rocblas_diagonal_T3_lilT4_lli, .Lfunc_end258-_ZL25rocblas_trtri_trsm_kernelILi128ELi16ELi8E19rocblas_complex_numIdEPKS1_PS1_Ev13rocblas_fill_17rocblas_diagonal_T3_lilT4_lli
                                        ; -- End function
	.set _ZL25rocblas_trtri_trsm_kernelILi128ELi16ELi8E19rocblas_complex_numIdEPKS1_PS1_Ev13rocblas_fill_17rocblas_diagonal_T3_lilT4_lli.num_vgpr, 128
	.set _ZL25rocblas_trtri_trsm_kernelILi128ELi16ELi8E19rocblas_complex_numIdEPKS1_PS1_Ev13rocblas_fill_17rocblas_diagonal_T3_lilT4_lli.num_agpr, 0
	.set _ZL25rocblas_trtri_trsm_kernelILi128ELi16ELi8E19rocblas_complex_numIdEPKS1_PS1_Ev13rocblas_fill_17rocblas_diagonal_T3_lilT4_lli.numbered_sgpr, 97
	.set _ZL25rocblas_trtri_trsm_kernelILi128ELi16ELi8E19rocblas_complex_numIdEPKS1_PS1_Ev13rocblas_fill_17rocblas_diagonal_T3_lilT4_lli.num_named_barrier, 0
	.set _ZL25rocblas_trtri_trsm_kernelILi128ELi16ELi8E19rocblas_complex_numIdEPKS1_PS1_Ev13rocblas_fill_17rocblas_diagonal_T3_lilT4_lli.private_seg_size, 0
	.set _ZL25rocblas_trtri_trsm_kernelILi128ELi16ELi8E19rocblas_complex_numIdEPKS1_PS1_Ev13rocblas_fill_17rocblas_diagonal_T3_lilT4_lli.uses_vcc, 1
	.set _ZL25rocblas_trtri_trsm_kernelILi128ELi16ELi8E19rocblas_complex_numIdEPKS1_PS1_Ev13rocblas_fill_17rocblas_diagonal_T3_lilT4_lli.uses_flat_scratch, 0
	.set _ZL25rocblas_trtri_trsm_kernelILi128ELi16ELi8E19rocblas_complex_numIdEPKS1_PS1_Ev13rocblas_fill_17rocblas_diagonal_T3_lilT4_lli.has_dyn_sized_stack, 0
	.set _ZL25rocblas_trtri_trsm_kernelILi128ELi16ELi8E19rocblas_complex_numIdEPKS1_PS1_Ev13rocblas_fill_17rocblas_diagonal_T3_lilT4_lli.has_recursion, 0
	.set _ZL25rocblas_trtri_trsm_kernelILi128ELi16ELi8E19rocblas_complex_numIdEPKS1_PS1_Ev13rocblas_fill_17rocblas_diagonal_T3_lilT4_lli.has_indirect_call, 0
	.section	.AMDGPU.csdata,"",@progbits
; Kernel info:
; codeLenInByte = 6276
; TotalNumSgprs: 99
; NumVgprs: 128
; ScratchSize: 0
; MemoryBound: 1
; FloatMode: 240
; IeeeMode: 1
; LDSByteSize: 16384 bytes/workgroup (compile time only)
; SGPRBlocks: 0
; VGPRBlocks: 7
; NumSGPRsForWavesPerEU: 99
; NumVGPRsForWavesPerEU: 128
; NamedBarCnt: 0
; Occupancy: 8
; WaveLimiterHint : 0
; COMPUTE_PGM_RSRC2:SCRATCH_EN: 0
; COMPUTE_PGM_RSRC2:USER_SGPR: 2
; COMPUTE_PGM_RSRC2:TRAP_HANDLER: 0
; COMPUTE_PGM_RSRC2:TGID_X_EN: 1
; COMPUTE_PGM_RSRC2:TGID_Y_EN: 0
; COMPUTE_PGM_RSRC2:TGID_Z_EN: 1
; COMPUTE_PGM_RSRC2:TIDIG_COMP_CNT: 0
	.section	.text._ZL18rocblas_trtri_fillILi128E19rocblas_complex_numIdEPS1_EvP15_rocblas_handle13rocblas_fill_ililT1_llii,"axG",@progbits,_ZL18rocblas_trtri_fillILi128E19rocblas_complex_numIdEPS1_EvP15_rocblas_handle13rocblas_fill_ililT1_llii,comdat
	.globl	_ZL18rocblas_trtri_fillILi128E19rocblas_complex_numIdEPS1_EvP15_rocblas_handle13rocblas_fill_ililT1_llii ; -- Begin function _ZL18rocblas_trtri_fillILi128E19rocblas_complex_numIdEPS1_EvP15_rocblas_handle13rocblas_fill_ililT1_llii
	.p2align	8
	.type	_ZL18rocblas_trtri_fillILi128E19rocblas_complex_numIdEPS1_EvP15_rocblas_handle13rocblas_fill_ililT1_llii,@function
_ZL18rocblas_trtri_fillILi128E19rocblas_complex_numIdEPS1_EvP15_rocblas_handle13rocblas_fill_ililT1_llii: ; @_ZL18rocblas_trtri_fillILi128E19rocblas_complex_numIdEPS1_EvP15_rocblas_handle13rocblas_fill_ililT1_llii
; %bb.0:
	s_load_b64 s[2:3], s[0:1], 0x40
	s_bfe_u32 s4, ttmp6, 0x40014
	s_lshr_b32 s5, ttmp7, 16
	s_add_co_i32 s4, s4, 1
	s_bfe_u32 s6, ttmp6, 0x40008
	s_mul_i32 s4, s5, s4
	s_getreg_b32 s17, hwreg(HW_REG_IB_STS2, 6, 4)
	s_add_co_i32 s6, s6, s4
	s_cmp_eq_u32 s17, 0
	s_mov_b32 s19, 0
	s_cselect_b32 s16, s5, s6
	s_wait_kmcnt 0x0
	s_cmp_ge_u32 s16, s3
	s_cbranch_scc1 .LBB259_19
; %bb.1:
	s_clause 0x2
	s_load_b32 s20, s[0:1], 0x18
	s_load_b128 s[12:15], s[0:1], 0x8
	s_load_b256 s[4:11], s[0:1], 0x20
	s_bfe_u32 s18, ttmp6, 0x4000c
	s_and_b32 s22, ttmp6, 15
	s_add_co_i32 s18, s18, 1
	s_ashr_i32 s23, s2, 31
	s_mul_i32 s18, ttmp9, s18
	v_mov_b64_e32 v[6:7], 0
	s_add_co_i32 s22, s22, s18
	s_mov_b64 s[28:29], 0xffffffff
	s_add_nc_u64 s[34:35], s[0:1], 0x48
	s_wait_kmcnt 0x0
	s_ashr_i32 s21, s20, 31
	v_cvt_f32_u32_e32 v1, s14
	s_lshl_b64 s[24:25], s[8:9], 4
	s_cmp_eq_u32 s17, 0
	s_cvt_f32_u32 s17, s14
	s_cselect_b32 s18, ttmp9, s22
	v_rcp_iflag_f32_e32 v1, v1
	s_lshl_b64 s[8:9], s[18:19], 7
	s_cvt_f32_u32 s18, s15
	v_or_b32_e32 v0, s8, v0
	s_add_co_i32 s8, s13, -2
	s_mov_b32 s22, s2
	s_fmamk_f32 s17, s18, 0x4f800000, s17
	v_mul_f32_e32 v1, 0x4f7ffffe, v1
	v_cvt_f64_i32_e32 v[2:3], s8
	s_sub_co_i32 s8, 0, s14
	v_s_rcp_f32 s17, s17
	s_add_nc_u64 s[6:7], s[6:7], s[24:25]
	v_cvt_u32_f32_e32 v5, v1
	v_mov_b32_e32 v1, s9
	s_add_co_i32 s24, s13, -1
	s_sub_nc_u64 s[36:37], 0, s[14:15]
	s_ashr_i32 s25, s24, 31
	v_mul_lo_u32 v4, s8, v5
	s_mul_f32 s17, s17, 0x5f7ffffc
	s_mul_u64 s[8:9], s[14:15], s[22:23]
	s_ashr_i32 s23, s13, 31
	s_mov_b32 s22, s13
	s_mul_f32 s13, s17, 0x2f800000
	v_cmp_gt_u64_e64 s2, s[8:9], v[0:1]
	s_mul_u64 s[26:27], s[24:25], s[22:23]
	s_delay_alu instid0(SALU_CYCLE_1)
	s_trunc_f32 s13, s13
	s_lshl_b64 s[24:25], s[26:27], 2
	v_mul_hi_u32 v8, v5, v4
	v_mov_b32_e32 v4, 0
	s_fmamk_f32 s17, s13, 0xcf800000, s17
	s_cvt_u32_f32 s31, s13
	s_add_nc_u64 s[24:25], s[24:25], -7
	s_lshr_b64 s[26:27], s[26:27], 1
	s_cvt_u32_f32 s30, s17
	s_delay_alu instid0(VALU_DEP_2)
	v_add_nc_u32_e32 v16, v5, v8
	s_branch .LBB259_3
.LBB259_2:                              ;   in Loop: Header=BB259_3 Depth=1
	s_or_b32 exec_lo, exec_lo, s1
	s_add_co_i32 s16, s16, 0x10000
	s_delay_alu instid0(SALU_CYCLE_1)
	s_cmp_lt_u32 s16, s3
	s_cbranch_scc0 .LBB259_19
.LBB259_3:                              ; =>This Loop Header: Depth=1
                                        ;     Child Loop BB259_6 Depth 2
	s_and_saveexec_b32 s1, s2
	s_cbranch_execz .LBB259_2
; %bb.4:                                ;   in Loop: Header=BB259_3 Depth=1
	s_clause 0x1
	s_load_b32 s0, s[34:35], 0xc
	s_load_b32 s18, s[34:35], 0x0
	s_mov_b32 s17, s19
	v_mov_b64_e32 v[8:9], v[0:1]
	s_mul_u64 s[38:39], s[10:11], s[16:17]
	s_mov_b32 s41, s19
	s_lshl_b64 s[38:39], s[38:39], 4
	s_mov_b32 s13, 0
	s_add_nc_u64 s[38:39], s[6:7], s[38:39]
	s_wait_kmcnt 0x0
	s_and_b32 s40, s0, 0xffff
	s_delay_alu instid0(SALU_CYCLE_1)
	s_mul_u64 s[40:41], s[40:41], s[18:19]
	s_branch .LBB259_6
.LBB259_5:                              ;   in Loop: Header=BB259_6 Depth=2
	v_add_nc_u64_e32 v[8:9], s[40:41], v[8:9]
	s_delay_alu instid0(VALU_DEP_1)
	v_cmp_le_u64_e32 vcc_lo, s[8:9], v[8:9]
	s_or_b32 s13, vcc_lo, s13
	s_wait_xcnt 0x0
	s_and_not1_b32 exec_lo, exec_lo, s13
	s_cbranch_execz .LBB259_2
.LBB259_6:                              ;   Parent Loop BB259_3 Depth=1
                                        ; =>  This Inner Loop Header: Depth=2
	v_or_b32_e32 v5, s15, v9
                                        ; implicit-def: $vgpr10_vgpr11
	s_mov_b32 s0, exec_lo
	s_delay_alu instid0(VALU_DEP_1)
	v_cmpx_ne_u64_e32 0, v[4:5]
	s_xor_b32 s17, exec_lo, s0
	s_cbranch_execz .LBB259_8
; %bb.7:                                ;   in Loop: Header=BB259_6 Depth=2
	s_mul_u64 s[42:43], s[36:37], s[30:31]
	v_dual_mov_b32 v10, v8 :: v_dual_mov_b32 v11, v4
	s_mul_hi_u32 s45, s30, s43
	s_mul_i32 s44, s30, s43
	s_mul_hi_u32 s18, s30, s42
	s_mul_hi_u32 s0, s31, s42
	s_add_nc_u64 s[44:45], s[18:19], s[44:45]
	s_mul_i32 s18, s31, s42
	s_mul_hi_u32 s33, s31, s43
	s_add_co_u32 s18, s44, s18
	s_add_co_ci_u32 s18, s45, s0
	s_add_co_ci_u32 s45, s33, 0
	s_mul_i32 s44, s31, s43
	v_dual_mov_b32 v12, v9 :: v_dual_mov_b32 v13, v4
	s_add_nc_u64 s[42:43], s[18:19], s[44:45]
	v_mov_b32_e32 v19, v4
	s_add_co_u32 s42, s30, s42
	s_cselect_b32 s0, -1, 0
	s_delay_alu instid0(SALU_CYCLE_1) | instskip(SKIP_1) | instid1(SALU_CYCLE_1)
	s_cmp_lg_u32 s0, 0
	s_add_co_ci_u32 s43, s31, s43
	s_mul_u64 s[44:45], s[36:37], s[42:43]
	s_delay_alu instid0(SALU_CYCLE_1)
	s_mul_hi_u32 s47, s42, s45
	s_mul_i32 s46, s42, s45
	s_mul_hi_u32 s18, s42, s44
	s_mul_i32 s33, s43, s44
	s_add_nc_u64 s[46:47], s[18:19], s[46:47]
	s_mul_hi_u32 s0, s43, s44
	s_mul_hi_u32 s48, s43, s45
	s_add_co_u32 s18, s46, s33
	s_add_co_ci_u32 s18, s47, s0
	s_mul_i32 s44, s43, s45
	s_add_co_ci_u32 s45, s48, 0
	s_delay_alu instid0(SALU_CYCLE_1) | instskip(NEXT) | instid1(SALU_CYCLE_1)
	s_add_nc_u64 s[44:45], s[18:19], s[44:45]
	s_add_co_u32 s0, s42, s44
	s_cselect_b32 s18, -1, 0
	v_mul_hi_u32 v18, v8, s0
	s_cmp_lg_u32 s18, 0
	s_add_co_ci_u32 s18, s43, s45
	s_and_b64 s[42:43], s[0:1], s[28:29]
	v_mul_u64_e32 v[10:11], s[18:19], v[10:11]
	v_mul_u64_e32 v[14:15], s[42:43], v[12:13]
	;; [unrolled: 1-line block ×3, first 2 shown]
	s_delay_alu instid0(VALU_DEP_3) | instskip(NEXT) | instid1(VALU_DEP_1)
	v_add_nc_u64_e32 v[10:11], v[18:19], v[10:11]
	v_add_co_u32 v5, vcc_lo, v10, v14
	s_delay_alu instid0(VALU_DEP_2) | instskip(NEXT) | instid1(VALU_DEP_4)
	v_add_co_ci_u32_e32 v18, vcc_lo, v11, v15, vcc_lo
	v_add_co_ci_u32_e32 v13, vcc_lo, 0, v13, vcc_lo
	s_delay_alu instid0(VALU_DEP_1) | instskip(NEXT) | instid1(VALU_DEP_1)
	v_add_nc_u64_e32 v[10:11], v[18:19], v[12:13]
	v_mul_u64_e32 v[12:13], s[14:15], v[10:11]
	v_add_nc_u64_e32 v[14:15], 2, v[10:11]
	s_delay_alu instid0(VALU_DEP_2) | instskip(NEXT) | instid1(VALU_DEP_3)
	v_sub_nc_u32_e32 v5, v9, v13
	v_sub_co_u32 v12, vcc_lo, v8, v12
	s_delay_alu instid0(VALU_DEP_1) | instskip(NEXT) | instid1(VALU_DEP_3)
	v_sub_co_ci_u32_e64 v19, null, v9, v13, vcc_lo
	v_subrev_co_ci_u32_e64 v5, null, s15, v5, vcc_lo
	s_delay_alu instid0(VALU_DEP_3) | instskip(SKIP_1) | instid1(VALU_DEP_3)
	v_sub_co_u32 v17, s0, v12, s14
	v_cmp_le_u32_e32 vcc_lo, s14, v12
	v_subrev_co_ci_u32_e64 v5, null, 0, v5, s0
	s_delay_alu instid0(VALU_DEP_3) | instskip(SKIP_2) | instid1(VALU_DEP_4)
	v_cmp_le_u32_e64 s0, s14, v17
	v_add_nc_u64_e32 v[12:13], 1, v[10:11]
	v_cndmask_b32_e64 v20, 0, -1, vcc_lo
	v_cmp_eq_u32_e32 vcc_lo, s15, v5
	s_delay_alu instid0(VALU_DEP_4) | instskip(SKIP_1) | instid1(VALU_DEP_1)
	v_cndmask_b32_e64 v17, 0, -1, s0
	v_cmp_le_u32_e64 s0, s15, v5
	v_cndmask_b32_e64 v18, 0, -1, s0
	v_cmp_eq_u32_e64 s0, s15, v19
	s_delay_alu instid0(VALU_DEP_2) | instskip(SKIP_2) | instid1(VALU_DEP_3)
	v_cndmask_b32_e32 v5, v18, v17, vcc_lo
	v_cmp_le_u32_e32 vcc_lo, s15, v19
	v_cndmask_b32_e64 v17, 0, -1, vcc_lo
	v_cmp_ne_u32_e32 vcc_lo, 0, v5
	s_delay_alu instid0(VALU_DEP_2) | instskip(SKIP_1) | instid1(VALU_DEP_2)
	v_dual_cndmask_b32 v5, v17, v20, s0 :: v_dual_cndmask_b32 v12, v12, v14, vcc_lo
	v_cndmask_b32_e32 v13, v13, v15, vcc_lo
	v_cmp_ne_u32_e32 vcc_lo, 0, v5
	s_delay_alu instid0(VALU_DEP_2)
	v_dual_cndmask_b32 v11, v11, v13 :: v_dual_cndmask_b32 v10, v10, v12
.LBB259_8:                              ;   in Loop: Header=BB259_6 Depth=2
	s_and_not1_saveexec_b32 s0, s17
	s_cbranch_execz .LBB259_10
; %bb.9:                                ;   in Loop: Header=BB259_6 Depth=2
	v_mul_hi_u32 v5, v8, v16
	s_delay_alu instid0(VALU_DEP_1) | instskip(NEXT) | instid1(VALU_DEP_1)
	v_mul_lo_u32 v10, v5, s14
	v_dual_add_nc_u32 v11, 1, v5 :: v_dual_sub_nc_u32 v10, v8, v10
	s_delay_alu instid0(VALU_DEP_1) | instskip(SKIP_1) | instid1(VALU_DEP_2)
	v_subrev_nc_u32_e32 v12, s14, v10
	v_cmp_le_u32_e32 vcc_lo, s14, v10
	v_dual_cndmask_b32 v10, v10, v12 :: v_dual_cndmask_b32 v5, v5, v11
	s_delay_alu instid0(VALU_DEP_1) | instskip(NEXT) | instid1(VALU_DEP_2)
	v_cmp_le_u32_e32 vcc_lo, s14, v10
	v_add_nc_u32_e32 v11, 1, v5
	s_delay_alu instid0(VALU_DEP_1)
	v_dual_cndmask_b32 v10, v5, v11 :: v_dual_mov_b32 v11, v4
.LBB259_10:                             ;   in Loop: Header=BB259_6 Depth=2
	s_or_b32 exec_lo, exec_lo, s0
	s_delay_alu instid0(VALU_DEP_1) | instskip(SKIP_1) | instid1(VALU_DEP_1)
	v_mul_u64_e32 v[12:13], s[14:15], v[10:11]
	s_cmp_lt_i32 s12, 0x7a
	v_sub_nc_u64_e32 v[12:13], v[8:9], v[12:13]
	s_cbranch_scc1 .LBB259_13
; %bb.11:                               ;   in Loop: Header=BB259_6 Depth=2
	s_mov_b32 s0, 0
	s_cmp_eq_u32 s12, 0x7a
	s_mov_b32 s17, 0
                                        ; implicit-def: $vgpr14_vgpr15
	s_cbranch_scc0 .LBB259_14
; %bb.12:                               ;   in Loop: Header=BB259_6 Depth=2
	s_delay_alu instid0(VALU_DEP_1) | instskip(SKIP_1) | instid1(VALU_DEP_1)
	v_lshlrev_b64_e32 v[14:15], 3, v[12:13]
	s_mov_b32 s17, -1
	v_sub_nc_u64_e32 v[14:15], s[24:25], v[14:15]
	s_delay_alu instid0(VALU_DEP_1) | instskip(NEXT) | instid1(VALU_DEP_2)
	v_cvt_f64_u32_e32 v[18:19], v15
	v_cvt_f64_u32_e32 v[14:15], v14
	s_delay_alu instid0(VALU_DEP_2) | instskip(NEXT) | instid1(VALU_DEP_1)
	v_ldexp_f64 v[18:19], v[18:19], 32
	v_add_f64_e32 v[14:15], v[18:19], v[14:15]
	s_delay_alu instid0(VALU_DEP_1) | instskip(SKIP_1) | instid1(VALU_DEP_1)
	v_cmp_gt_f64_e32 vcc_lo, 0x10000000, v[14:15]
	v_cndmask_b32_e64 v5, 0, 0x100, vcc_lo
	v_ldexp_f64 v[14:15], v[14:15], v5
	v_cndmask_b32_e64 v5, 0, 0xffffff80, vcc_lo
	s_delay_alu instid0(VALU_DEP_2) | instskip(SKIP_1) | instid1(TRANS32_DEP_1)
	v_rsq_f64_e32 v[18:19], v[14:15]
	v_cmp_class_f64_e64 vcc_lo, v[14:15], 0x260
	v_mul_f64_e32 v[20:21], v[14:15], v[18:19]
	v_mul_f64_e32 v[18:19], 0.5, v[18:19]
	s_delay_alu instid0(VALU_DEP_1) | instskip(NEXT) | instid1(VALU_DEP_1)
	v_fma_f64 v[22:23], -v[18:19], v[20:21], 0.5
	v_fmac_f64_e32 v[20:21], v[20:21], v[22:23]
	v_fmac_f64_e32 v[18:19], v[18:19], v[22:23]
	s_delay_alu instid0(VALU_DEP_2) | instskip(NEXT) | instid1(VALU_DEP_1)
	v_fma_f64 v[22:23], -v[20:21], v[20:21], v[14:15]
	v_fmac_f64_e32 v[20:21], v[22:23], v[18:19]
	s_delay_alu instid0(VALU_DEP_1) | instskip(NEXT) | instid1(VALU_DEP_1)
	v_fma_f64 v[22:23], -v[20:21], v[20:21], v[14:15]
	v_fmac_f64_e32 v[20:21], v[22:23], v[18:19]
	s_delay_alu instid0(VALU_DEP_1) | instskip(SKIP_1) | instid1(VALU_DEP_2)
	v_ldexp_f64 v[18:19], v[20:21], v5
	v_mul_u64_e32 v[20:21], s[4:5], v[10:11]
	v_dual_cndmask_b32 v15, v19, v15 :: v_dual_cndmask_b32 v14, v18, v14
	s_delay_alu instid0(VALU_DEP_2) | instskip(NEXT) | instid1(VALU_DEP_2)
	v_lshl_add_u64 v[20:21], v[20:21], 4, s[38:39]
	v_fma_f64 v[14:15], v[14:15], 0.5, -0.5
	s_delay_alu instid0(VALU_DEP_1) | instskip(NEXT) | instid1(VALU_DEP_1)
	v_floor_f64_e32 v[14:15], v[14:15]
	v_add_f64_e64 v[14:15], v[2:3], -v[14:15]
	s_delay_alu instid0(VALU_DEP_1) | instskip(NEXT) | instid1(VALU_DEP_1)
	v_trunc_f64_e32 v[14:15], v[14:15]
	v_ldexp_f64 v[18:19], v[14:15], 0xffffffe0
	s_delay_alu instid0(VALU_DEP_1) | instskip(NEXT) | instid1(VALU_DEP_1)
	v_floor_f64_e32 v[18:19], v[18:19]
	v_fmac_f64_e32 v[14:15], 0xc1f00000, v[18:19]
	s_delay_alu instid0(VALU_DEP_1) | instskip(SKIP_1) | instid1(VALU_DEP_1)
	v_cvt_u32_f64_e32 v14, v[14:15]
	v_cvt_u32_f64_e32 v15, v[18:19]
	v_sub_nc_u64_e32 v[18:19], s[22:23], v[14:15]
	v_mul_u64_e32 v[24:25], s[20:21], v[14:15]
	s_delay_alu instid0(VALU_DEP_2) | instskip(NEXT) | instid1(VALU_DEP_1)
	v_add_nc_u64_e32 v[22:23], -1, v[18:19]
	v_mul_u64_e32 v[18:19], v[22:23], v[18:19]
	v_sub_nc_u64_e64 v[22:23], v[12:13], s[26:27]
	s_delay_alu instid0(VALU_DEP_4) | instskip(NEXT) | instid1(VALU_DEP_1)
	v_lshl_add_u64 v[20:21], v[24:25], 4, v[20:21]
	v_lshl_add_u64 v[20:21], v[22:23], 4, v[20:21]
	s_delay_alu instid0(VALU_DEP_1) | instskip(SKIP_1) | instid1(VALU_DEP_1)
	v_lshl_add_u64 v[14:15], v[14:15], 4, v[20:21]
	v_lshlrev_b64_e32 v[18:19], 3, v[18:19]
	v_and_b32_e32 v18, -16, v18
	s_delay_alu instid0(VALU_DEP_1) | instskip(NEXT) | instid1(VALU_DEP_1)
	v_add_nc_u64_e32 v[18:19], v[14:15], v[18:19]
	v_add_nc_u64_e32 v[14:15], 16, v[18:19]
	global_store_b64 v[18:19], v[6:7], off offset:16
	s_branch .LBB259_14
.LBB259_13:                             ;   in Loop: Header=BB259_6 Depth=2
	s_mov_b32 s0, -1
	s_mov_b32 s17, 0
                                        ; implicit-def: $vgpr14_vgpr15
.LBB259_14:                             ;   in Loop: Header=BB259_6 Depth=2
	s_and_b32 vcc_lo, exec_lo, s0
	s_cbranch_vccz .LBB259_17
; %bb.15:                               ;   in Loop: Header=BB259_6 Depth=2
	s_cmp_eq_u32 s12, 0x79
                                        ; implicit-def: $vgpr14_vgpr15
	s_cbranch_scc0 .LBB259_17
; %bb.16:                               ;   in Loop: Header=BB259_6 Depth=2
	v_lshlrev_b64_e32 v[14:15], 3, v[12:13]
	v_mul_u64_e32 v[10:11], s[4:5], v[10:11]
	s_mov_b32 s17, -1
	s_wait_xcnt 0x0
	s_delay_alu instid0(VALU_DEP_2) | instskip(NEXT) | instid1(VALU_DEP_3)
	v_cvt_f64_u32_e32 v[18:19], v15
	v_or_b32_e32 v5, 1, v14
	s_delay_alu instid0(VALU_DEP_1) | instskip(NEXT) | instid1(VALU_DEP_4)
	v_cvt_f64_u32_e32 v[14:15], v5
	v_lshl_add_u64 v[10:11], v[10:11], 4, s[38:39]
	s_delay_alu instid0(VALU_DEP_4) | instskip(NEXT) | instid1(VALU_DEP_1)
	v_ldexp_f64 v[18:19], v[18:19], 32
	v_add_f64_e32 v[14:15], v[18:19], v[14:15]
	s_delay_alu instid0(VALU_DEP_1) | instskip(SKIP_1) | instid1(VALU_DEP_1)
	v_cmp_gt_f64_e32 vcc_lo, 0x10000000, v[14:15]
	v_cndmask_b32_e64 v5, 0, 0x100, vcc_lo
	v_ldexp_f64 v[14:15], v[14:15], v5
	v_cndmask_b32_e64 v5, 0, 0xffffff80, vcc_lo
	s_delay_alu instid0(VALU_DEP_2) | instskip(SKIP_1) | instid1(TRANS32_DEP_1)
	v_rsq_f64_e32 v[18:19], v[14:15]
	v_cmp_class_f64_e64 vcc_lo, v[14:15], 0x260
	v_mul_f64_e32 v[20:21], v[14:15], v[18:19]
	v_mul_f64_e32 v[18:19], 0.5, v[18:19]
	s_delay_alu instid0(VALU_DEP_1) | instskip(NEXT) | instid1(VALU_DEP_1)
	v_fma_f64 v[22:23], -v[18:19], v[20:21], 0.5
	v_fmac_f64_e32 v[20:21], v[20:21], v[22:23]
	v_fmac_f64_e32 v[18:19], v[18:19], v[22:23]
	s_delay_alu instid0(VALU_DEP_2) | instskip(NEXT) | instid1(VALU_DEP_1)
	v_fma_f64 v[22:23], -v[20:21], v[20:21], v[14:15]
	v_fmac_f64_e32 v[20:21], v[22:23], v[18:19]
	s_delay_alu instid0(VALU_DEP_1) | instskip(NEXT) | instid1(VALU_DEP_1)
	v_fma_f64 v[22:23], -v[20:21], v[20:21], v[14:15]
	v_fmac_f64_e32 v[20:21], v[22:23], v[18:19]
	s_delay_alu instid0(VALU_DEP_1) | instskip(NEXT) | instid1(VALU_DEP_1)
	v_ldexp_f64 v[18:19], v[20:21], v5
	v_dual_cndmask_b32 v15, v19, v15 :: v_dual_cndmask_b32 v14, v18, v14
	s_delay_alu instid0(VALU_DEP_1) | instskip(NEXT) | instid1(VALU_DEP_1)
	v_add_f64_e32 v[14:15], -1.0, v[14:15]
	v_mul_f64_e32 v[14:15], 0.5, v[14:15]
	s_delay_alu instid0(VALU_DEP_1) | instskip(NEXT) | instid1(VALU_DEP_1)
	v_trunc_f64_e32 v[14:15], v[14:15]
	v_ldexp_f64 v[18:19], v[14:15], 0xffffffe0
	s_delay_alu instid0(VALU_DEP_1) | instskip(NEXT) | instid1(VALU_DEP_1)
	v_floor_f64_e32 v[18:19], v[18:19]
	v_fmac_f64_e32 v[14:15], 0xc1f00000, v[18:19]
	s_delay_alu instid0(VALU_DEP_1) | instskip(SKIP_1) | instid1(VALU_DEP_2)
	v_cvt_u32_f64_e32 v14, v[14:15]
	v_cvt_u32_f64_e32 v15, v[18:19]
	v_mad_nc_u64_u32 v[18:19], s20, v14, s[20:21]
	s_delay_alu instid0(VALU_DEP_2) | instskip(SKIP_1) | instid1(VALU_DEP_3)
	v_mad_nc_u64_u32 v[20:21], v14, v14, v[14:15]
	v_mul_lo_u32 v5, v14, v15
	v_mad_u32 v14, s21, v14, v19
	s_delay_alu instid0(VALU_DEP_2) | instskip(NEXT) | instid1(VALU_DEP_2)
	v_add3_u32 v21, v5, v21, v5
	v_mad_u32 v19, s20, v15, v14
	s_delay_alu instid0(VALU_DEP_2) | instskip(NEXT) | instid1(VALU_DEP_1)
	v_lshrrev_b64 v[14:15], 1, v[20:21]
	v_sub_nc_u64_e32 v[12:13], v[12:13], v[14:15]
	s_delay_alu instid0(VALU_DEP_3) | instskip(NEXT) | instid1(VALU_DEP_1)
	v_lshl_add_u64 v[10:11], v[18:19], 4, v[10:11]
	v_lshl_add_u64 v[14:15], v[12:13], 4, v[10:11]
	global_store_b64 v[14:15], v[6:7], off
.LBB259_17:                             ;   in Loop: Header=BB259_6 Depth=2
	s_and_b32 vcc_lo, exec_lo, s17
	s_cbranch_vccz .LBB259_5
; %bb.18:                               ;   in Loop: Header=BB259_6 Depth=2
	global_store_b64 v[14:15], v[6:7], off offset:8
	s_branch .LBB259_5
.LBB259_19:
	s_endpgm
	.section	.rodata,"a",@progbits
	.p2align	6, 0x0
	.amdhsa_kernel _ZL18rocblas_trtri_fillILi128E19rocblas_complex_numIdEPS1_EvP15_rocblas_handle13rocblas_fill_ililT1_llii
		.amdhsa_group_segment_fixed_size 0
		.amdhsa_private_segment_fixed_size 0
		.amdhsa_kernarg_size 328
		.amdhsa_user_sgpr_count 2
		.amdhsa_user_sgpr_dispatch_ptr 0
		.amdhsa_user_sgpr_queue_ptr 0
		.amdhsa_user_sgpr_kernarg_segment_ptr 1
		.amdhsa_user_sgpr_dispatch_id 0
		.amdhsa_user_sgpr_kernarg_preload_length 0
		.amdhsa_user_sgpr_kernarg_preload_offset 0
		.amdhsa_user_sgpr_private_segment_size 0
		.amdhsa_wavefront_size32 1
		.amdhsa_uses_dynamic_stack 0
		.amdhsa_enable_private_segment 0
		.amdhsa_system_sgpr_workgroup_id_x 1
		.amdhsa_system_sgpr_workgroup_id_y 0
		.amdhsa_system_sgpr_workgroup_id_z 1
		.amdhsa_system_sgpr_workgroup_info 0
		.amdhsa_system_vgpr_workitem_id 0
		.amdhsa_next_free_vgpr 26
		.amdhsa_next_free_sgpr 49
		.amdhsa_named_barrier_count 0
		.amdhsa_reserve_vcc 1
		.amdhsa_float_round_mode_32 0
		.amdhsa_float_round_mode_16_64 0
		.amdhsa_float_denorm_mode_32 3
		.amdhsa_float_denorm_mode_16_64 3
		.amdhsa_fp16_overflow 0
		.amdhsa_memory_ordered 1
		.amdhsa_forward_progress 1
		.amdhsa_inst_pref_size 15
		.amdhsa_round_robin_scheduling 0
		.amdhsa_exception_fp_ieee_invalid_op 0
		.amdhsa_exception_fp_denorm_src 0
		.amdhsa_exception_fp_ieee_div_zero 0
		.amdhsa_exception_fp_ieee_overflow 0
		.amdhsa_exception_fp_ieee_underflow 0
		.amdhsa_exception_fp_ieee_inexact 0
		.amdhsa_exception_int_div_zero 0
	.end_amdhsa_kernel
	.section	.text._ZL18rocblas_trtri_fillILi128E19rocblas_complex_numIdEPS1_EvP15_rocblas_handle13rocblas_fill_ililT1_llii,"axG",@progbits,_ZL18rocblas_trtri_fillILi128E19rocblas_complex_numIdEPS1_EvP15_rocblas_handle13rocblas_fill_ililT1_llii,comdat
.Lfunc_end259:
	.size	_ZL18rocblas_trtri_fillILi128E19rocblas_complex_numIdEPS1_EvP15_rocblas_handle13rocblas_fill_ililT1_llii, .Lfunc_end259-_ZL18rocblas_trtri_fillILi128E19rocblas_complex_numIdEPS1_EvP15_rocblas_handle13rocblas_fill_ililT1_llii
                                        ; -- End function
	.set _ZL18rocblas_trtri_fillILi128E19rocblas_complex_numIdEPS1_EvP15_rocblas_handle13rocblas_fill_ililT1_llii.num_vgpr, 26
	.set _ZL18rocblas_trtri_fillILi128E19rocblas_complex_numIdEPS1_EvP15_rocblas_handle13rocblas_fill_ililT1_llii.num_agpr, 0
	.set _ZL18rocblas_trtri_fillILi128E19rocblas_complex_numIdEPS1_EvP15_rocblas_handle13rocblas_fill_ililT1_llii.numbered_sgpr, 49
	.set _ZL18rocblas_trtri_fillILi128E19rocblas_complex_numIdEPS1_EvP15_rocblas_handle13rocblas_fill_ililT1_llii.num_named_barrier, 0
	.set _ZL18rocblas_trtri_fillILi128E19rocblas_complex_numIdEPS1_EvP15_rocblas_handle13rocblas_fill_ililT1_llii.private_seg_size, 0
	.set _ZL18rocblas_trtri_fillILi128E19rocblas_complex_numIdEPS1_EvP15_rocblas_handle13rocblas_fill_ililT1_llii.uses_vcc, 1
	.set _ZL18rocblas_trtri_fillILi128E19rocblas_complex_numIdEPS1_EvP15_rocblas_handle13rocblas_fill_ililT1_llii.uses_flat_scratch, 0
	.set _ZL18rocblas_trtri_fillILi128E19rocblas_complex_numIdEPS1_EvP15_rocblas_handle13rocblas_fill_ililT1_llii.has_dyn_sized_stack, 0
	.set _ZL18rocblas_trtri_fillILi128E19rocblas_complex_numIdEPS1_EvP15_rocblas_handle13rocblas_fill_ililT1_llii.has_recursion, 0
	.set _ZL18rocblas_trtri_fillILi128E19rocblas_complex_numIdEPS1_EvP15_rocblas_handle13rocblas_fill_ililT1_llii.has_indirect_call, 0
	.section	.AMDGPU.csdata,"",@progbits
; Kernel info:
; codeLenInByte = 1864
; TotalNumSgprs: 51
; NumVgprs: 26
; ScratchSize: 0
; MemoryBound: 0
; FloatMode: 240
; IeeeMode: 1
; LDSByteSize: 0 bytes/workgroup (compile time only)
; SGPRBlocks: 0
; VGPRBlocks: 1
; NumSGPRsForWavesPerEU: 51
; NumVGPRsForWavesPerEU: 26
; NamedBarCnt: 0
; Occupancy: 16
; WaveLimiterHint : 0
; COMPUTE_PGM_RSRC2:SCRATCH_EN: 0
; COMPUTE_PGM_RSRC2:USER_SGPR: 2
; COMPUTE_PGM_RSRC2:TRAP_HANDLER: 0
; COMPUTE_PGM_RSRC2:TGID_X_EN: 1
; COMPUTE_PGM_RSRC2:TGID_Y_EN: 0
; COMPUTE_PGM_RSRC2:TGID_Z_EN: 1
; COMPUTE_PGM_RSRC2:TIDIG_COMP_CNT: 0
	.section	.text._ZL24rocblas_copy_matrix_trsmILi128ELi8E19rocblas_complex_numIdEPKS1_PS1_EviiiT2_ilT3_illli,"axG",@progbits,_ZL24rocblas_copy_matrix_trsmILi128ELi8E19rocblas_complex_numIdEPKS1_PS1_EviiiT2_ilT3_illli,comdat
	.globl	_ZL24rocblas_copy_matrix_trsmILi128ELi8E19rocblas_complex_numIdEPKS1_PS1_EviiiT2_ilT3_illli ; -- Begin function _ZL24rocblas_copy_matrix_trsmILi128ELi8E19rocblas_complex_numIdEPKS1_PS1_EviiiT2_ilT3_illli
	.p2align	8
	.type	_ZL24rocblas_copy_matrix_trsmILi128ELi8E19rocblas_complex_numIdEPKS1_PS1_EviiiT2_ilT3_illli,@function
_ZL24rocblas_copy_matrix_trsmILi128ELi8E19rocblas_complex_numIdEPKS1_PS1_EviiiT2_ilT3_illli: ; @_ZL24rocblas_copy_matrix_trsmILi128ELi8E19rocblas_complex_numIdEPKS1_PS1_EviiiT2_ilT3_illli
; %bb.0:
	s_load_b32 s18, s[0:1], 0x50
	s_bfe_u32 s2, ttmp6, 0x40014
	s_lshr_b32 s3, ttmp7, 16
	s_add_co_i32 s2, s2, 1
	s_bfe_u32 s5, ttmp6, 0x40008
	s_mul_i32 s4, s3, s2
	s_getreg_b32 s2, hwreg(HW_REG_IB_STS2, 6, 4)
	s_add_co_i32 s5, s5, s4
	s_cmp_eq_u32 s2, 0
	s_cselect_b32 s19, s3, s5
	s_mov_b32 s3, 0
	s_wait_kmcnt 0x0
	s_cmp_ge_u32 s19, s18
	s_cbranch_scc1 .LBB260_6
; %bb.1:
	s_clause 0x1
	s_load_b96 s[4:6], s[0:1], 0x10
	s_load_b32 s16, s[0:1], 0x30
	s_bfe_u32 s8, ttmp6, 0x40010
	s_bfe_u32 s11, ttmp6, 0x4000c
	s_and_b32 s7, ttmp7, 0xffff
	s_add_co_i32 s8, s8, 1
	s_add_co_i32 s11, s11, 1
	s_bfe_u32 s9, ttmp6, 0x40004
	s_and_b32 s10, ttmp6, 15
	s_mul_i32 s8, s7, s8
	s_mul_i32 s11, ttmp9, s11
	v_mov_b32_e32 v1, 0
	v_bfe_u32 v2, v0, 10, 10
	s_add_co_i32 s9, s9, s8
	s_add_co_i32 s12, s10, s11
	v_and_b32_e32 v0, 0x3ff, v0
	v_mov_b32_e32 v3, v1
	s_wait_kmcnt 0x0
	s_ashr_i32 s23, s6, 31
	s_ashr_i32 s17, s16, 31
	s_cmp_eq_u32 s2, 0
	s_mov_b32 s22, s6
	s_cselect_b32 s2, s7, s9
	s_clause 0x2
	s_load_b64 s[20:21], s[0:1], 0x0
	s_load_b64 s[24:25], s[0:1], 0x48
	s_load_b128 s[8:11], s[0:1], 0x38
	v_lshl_add_u32 v2, s2, 3, v2
	s_cselect_b32 s2, ttmp9, s12
	s_load_b128 s[12:15], s[0:1], 0x20
	v_lshl_add_u32 v0, s2, 7, v0
	s_wait_xcnt 0x0
	s_add_nc_u64 s[0:1], s[0:1], 0x58
	v_mul_u64_e32 v[4:5], s[16:17], v[2:3]
	v_mul_u64_e32 v[6:7], s[22:23], v[2:3]
	v_lshlrev_b64_e32 v[8:9], 4, v[0:1]
	s_wait_kmcnt 0x0
	s_mov_b32 s6, s21
	s_lshl_b64 s[24:25], s[24:25], 4
	s_lshl_b64 s[10:11], s[10:11], 4
	s_ashr_i32 s7, s21, 31
	s_ashr_i32 s21, s20, 31
	v_cmp_gt_u64_e64 s2, s[6:7], v[2:3]
	v_cmp_gt_u64_e32 vcc_lo, s[20:21], v[0:1]
	s_and_b32 s20, vcc_lo, s2
	v_lshl_add_u64 v[4:5], v[4:5], 4, s[24:25]
	v_lshl_add_u64 v[6:7], v[6:7], 4, s[10:11]
	s_lshl_b64 s[10:11], s[12:13], 4
	s_lshl_b64 s[12:13], s[22:23], 4
	s_delay_alu instid0(VALU_DEP_2) | instskip(NEXT) | instid1(VALU_DEP_2)
	v_add_nc_u64_e32 v[0:1], v[4:5], v[8:9]
	v_add_nc_u64_e32 v[4:5], v[6:7], v[8:9]
	s_delay_alu instid0(VALU_DEP_2) | instskip(NEXT) | instid1(VALU_DEP_2)
	v_add_nc_u64_e32 v[0:1], s[14:15], v[0:1]
	v_add_nc_u64_e32 v[4:5], s[4:5], v[4:5]
	s_lshl_b64 s[4:5], s[8:9], 4
	s_lshl_b64 s[8:9], s[16:17], 4
	s_branch .LBB260_3
.LBB260_2:                              ;   in Loop: Header=BB260_3 Depth=1
	s_or_b32 exec_lo, exec_lo, s21
	s_add_co_i32 s19, s19, 0x10000
	s_delay_alu instid0(SALU_CYCLE_1)
	s_cmp_ge_u32 s19, s18
	s_cbranch_scc1 .LBB260_6
.LBB260_3:                              ; =>This Loop Header: Depth=1
                                        ;     Child Loop BB260_5 Depth 2
	s_and_saveexec_b32 s21, s20
	s_cbranch_execz .LBB260_2
; %bb.4:                                ;   in Loop: Header=BB260_3 Depth=1
	s_load_b32 s2, s[0:1], 0x4
	v_mad_nc_u64_u32 v[6:7], s4, s19, v[0:1]
	v_mad_nc_u64_u32 v[8:9], s10, s19, v[4:5]
	v_mov_b64_e32 v[10:11], v[2:3]
	s_mov_b32 s22, 0
	s_delay_alu instid0(VALU_DEP_3) | instskip(NEXT) | instid1(VALU_DEP_3)
	v_mad_u32 v7, s5, s19, v7
	v_mad_u32 v9, s11, s19, v9
	s_wait_kmcnt 0x0
	s_lshl_b32 s2, s2, 3
	s_delay_alu instid0(SALU_CYCLE_1)
	s_mul_u64 s[14:15], s[8:9], s[2:3]
	s_mul_u64 s[16:17], s[12:13], s[2:3]
.LBB260_5:                              ;   Parent Loop BB260_3 Depth=1
                                        ; =>  This Inner Loop Header: Depth=2
	global_load_b128 v[12:15], v[8:9], off
	v_add_nc_u64_e32 v[10:11], s[2:3], v[10:11]
	s_wait_xcnt 0x0
	v_add_nc_u64_e32 v[8:9], s[16:17], v[8:9]
	s_delay_alu instid0(VALU_DEP_2)
	v_cmp_le_u64_e32 vcc_lo, s[6:7], v[10:11]
	s_or_b32 s22, vcc_lo, s22
	s_wait_loadcnt 0x0
	global_store_b128 v[6:7], v[12:15], off
	s_wait_xcnt 0x0
	v_add_nc_u64_e32 v[6:7], s[14:15], v[6:7]
	s_and_not1_b32 exec_lo, exec_lo, s22
	s_cbranch_execnz .LBB260_5
	s_branch .LBB260_2
.LBB260_6:
	s_endpgm
	.section	.rodata,"a",@progbits
	.p2align	6, 0x0
	.amdhsa_kernel _ZL24rocblas_copy_matrix_trsmILi128ELi8E19rocblas_complex_numIdEPKS1_PS1_EviiiT2_ilT3_illli
		.amdhsa_group_segment_fixed_size 0
		.amdhsa_private_segment_fixed_size 0
		.amdhsa_kernarg_size 344
		.amdhsa_user_sgpr_count 2
		.amdhsa_user_sgpr_dispatch_ptr 0
		.amdhsa_user_sgpr_queue_ptr 0
		.amdhsa_user_sgpr_kernarg_segment_ptr 1
		.amdhsa_user_sgpr_dispatch_id 0
		.amdhsa_user_sgpr_kernarg_preload_length 0
		.amdhsa_user_sgpr_kernarg_preload_offset 0
		.amdhsa_user_sgpr_private_segment_size 0
		.amdhsa_wavefront_size32 1
		.amdhsa_uses_dynamic_stack 0
		.amdhsa_enable_private_segment 0
		.amdhsa_system_sgpr_workgroup_id_x 1
		.amdhsa_system_sgpr_workgroup_id_y 1
		.amdhsa_system_sgpr_workgroup_id_z 1
		.amdhsa_system_sgpr_workgroup_info 0
		.amdhsa_system_vgpr_workitem_id 1
		.amdhsa_next_free_vgpr 16
		.amdhsa_next_free_sgpr 26
		.amdhsa_named_barrier_count 0
		.amdhsa_reserve_vcc 1
		.amdhsa_float_round_mode_32 0
		.amdhsa_float_round_mode_16_64 0
		.amdhsa_float_denorm_mode_32 3
		.amdhsa_float_denorm_mode_16_64 3
		.amdhsa_fp16_overflow 0
		.amdhsa_memory_ordered 1
		.amdhsa_forward_progress 1
		.amdhsa_inst_pref_size 5
		.amdhsa_round_robin_scheduling 0
		.amdhsa_exception_fp_ieee_invalid_op 0
		.amdhsa_exception_fp_denorm_src 0
		.amdhsa_exception_fp_ieee_div_zero 0
		.amdhsa_exception_fp_ieee_overflow 0
		.amdhsa_exception_fp_ieee_underflow 0
		.amdhsa_exception_fp_ieee_inexact 0
		.amdhsa_exception_int_div_zero 0
	.end_amdhsa_kernel
	.section	.text._ZL24rocblas_copy_matrix_trsmILi128ELi8E19rocblas_complex_numIdEPKS1_PS1_EviiiT2_ilT3_illli,"axG",@progbits,_ZL24rocblas_copy_matrix_trsmILi128ELi8E19rocblas_complex_numIdEPKS1_PS1_EviiiT2_ilT3_illli,comdat
.Lfunc_end260:
	.size	_ZL24rocblas_copy_matrix_trsmILi128ELi8E19rocblas_complex_numIdEPKS1_PS1_EviiiT2_ilT3_illli, .Lfunc_end260-_ZL24rocblas_copy_matrix_trsmILi128ELi8E19rocblas_complex_numIdEPKS1_PS1_EviiiT2_ilT3_illli
                                        ; -- End function
	.set _ZL24rocblas_copy_matrix_trsmILi128ELi8E19rocblas_complex_numIdEPKS1_PS1_EviiiT2_ilT3_illli.num_vgpr, 16
	.set _ZL24rocblas_copy_matrix_trsmILi128ELi8E19rocblas_complex_numIdEPKS1_PS1_EviiiT2_ilT3_illli.num_agpr, 0
	.set _ZL24rocblas_copy_matrix_trsmILi128ELi8E19rocblas_complex_numIdEPKS1_PS1_EviiiT2_ilT3_illli.numbered_sgpr, 26
	.set _ZL24rocblas_copy_matrix_trsmILi128ELi8E19rocblas_complex_numIdEPKS1_PS1_EviiiT2_ilT3_illli.num_named_barrier, 0
	.set _ZL24rocblas_copy_matrix_trsmILi128ELi8E19rocblas_complex_numIdEPKS1_PS1_EviiiT2_ilT3_illli.private_seg_size, 0
	.set _ZL24rocblas_copy_matrix_trsmILi128ELi8E19rocblas_complex_numIdEPKS1_PS1_EviiiT2_ilT3_illli.uses_vcc, 1
	.set _ZL24rocblas_copy_matrix_trsmILi128ELi8E19rocblas_complex_numIdEPKS1_PS1_EviiiT2_ilT3_illli.uses_flat_scratch, 0
	.set _ZL24rocblas_copy_matrix_trsmILi128ELi8E19rocblas_complex_numIdEPKS1_PS1_EviiiT2_ilT3_illli.has_dyn_sized_stack, 0
	.set _ZL24rocblas_copy_matrix_trsmILi128ELi8E19rocblas_complex_numIdEPKS1_PS1_EviiiT2_ilT3_illli.has_recursion, 0
	.set _ZL24rocblas_copy_matrix_trsmILi128ELi8E19rocblas_complex_numIdEPKS1_PS1_EviiiT2_ilT3_illli.has_indirect_call, 0
	.section	.AMDGPU.csdata,"",@progbits
; Kernel info:
; codeLenInByte = 556
; TotalNumSgprs: 28
; NumVgprs: 16
; ScratchSize: 0
; MemoryBound: 0
; FloatMode: 240
; IeeeMode: 1
; LDSByteSize: 0 bytes/workgroup (compile time only)
; SGPRBlocks: 0
; VGPRBlocks: 0
; NumSGPRsForWavesPerEU: 28
; NumVGPRsForWavesPerEU: 16
; NamedBarCnt: 0
; Occupancy: 16
; WaveLimiterHint : 0
; COMPUTE_PGM_RSRC2:SCRATCH_EN: 0
; COMPUTE_PGM_RSRC2:USER_SGPR: 2
; COMPUTE_PGM_RSRC2:TRAP_HANDLER: 0
; COMPUTE_PGM_RSRC2:TGID_X_EN: 1
; COMPUTE_PGM_RSRC2:TGID_Y_EN: 1
; COMPUTE_PGM_RSRC2:TGID_Z_EN: 1
; COMPUTE_PGM_RSRC2:TIDIG_COMP_CNT: 1
	.section	.AMDGPU.gpr_maximums,"",@progbits
	.set amdgpu.max_num_vgpr, 0
	.set amdgpu.max_num_agpr, 0
	.set amdgpu.max_num_sgpr, 0
	.section	.AMDGPU.csdata,"",@progbits
	.type	__const._ZL38rocblas_trsm_small_left_device_sharedBILi4ELi4ELb0EffPKfPfEv13rocblas_fill_18rocblas_operation_17rocblas_diagonal_iiT3_T4_lilT5_lili.step_sizes,@object ; @__const._ZL38rocblas_trsm_small_left_device_sharedBILi4ELi4ELb0EffPKfPfEv13rocblas_fill_18rocblas_operation_17rocblas_diagonal_iiT3_T4_lilT5_lili.step_sizes
	.section	.rodata,"a",@progbits
	.p2align	2, 0x0
__const._ZL38rocblas_trsm_small_left_device_sharedBILi4ELi4ELb0EffPKfPfEv13rocblas_fill_18rocblas_operation_17rocblas_diagonal_iiT3_T4_lilT5_lili.step_sizes:
	.long	4                               ; 0x4
	.long	1                               ; 0x1
	;; [unrolled: 1-line block ×3, first 2 shown]
	.size	__const._ZL38rocblas_trsm_small_left_device_sharedBILi4ELi4ELb0EffPKfPfEv13rocblas_fill_18rocblas_operation_17rocblas_diagonal_iiT3_T4_lilT5_lili.step_sizes, 12

	.type	__const._ZL30rocblas_trsm_small_left_deviceILi4ELi4ELb0EffPKfPfEv13rocblas_fill_18rocblas_operation_17rocblas_diagonal_iiT3_T4_lilT5_lili.step_sizes,@object ; @__const._ZL30rocblas_trsm_small_left_deviceILi4ELi4ELb0EffPKfPfEv13rocblas_fill_18rocblas_operation_17rocblas_diagonal_iiT3_T4_lilT5_lili.step_sizes
	.p2align	2, 0x0
__const._ZL30rocblas_trsm_small_left_deviceILi4ELi4ELb0EffPKfPfEv13rocblas_fill_18rocblas_operation_17rocblas_diagonal_iiT3_T4_lilT5_lili.step_sizes:
	.long	4                               ; 0x4
	.long	1                               ; 0x1
	;; [unrolled: 1-line block ×3, first 2 shown]
	.size	__const._ZL30rocblas_trsm_small_left_deviceILi4ELi4ELb0EffPKfPfEv13rocblas_fill_18rocblas_operation_17rocblas_diagonal_iiT3_T4_lilT5_lili.step_sizes, 12

	.type	__const._ZL38rocblas_trsm_small_left_device_sharedBILi4ELi4ELb1EffPKfPfEv13rocblas_fill_18rocblas_operation_17rocblas_diagonal_iiT3_T4_lilT5_lili.step_sizes,@object ; @__const._ZL38rocblas_trsm_small_left_device_sharedBILi4ELi4ELb1EffPKfPfEv13rocblas_fill_18rocblas_operation_17rocblas_diagonal_iiT3_T4_lilT5_lili.step_sizes
	.p2align	2, 0x0
__const._ZL38rocblas_trsm_small_left_device_sharedBILi4ELi4ELb1EffPKfPfEv13rocblas_fill_18rocblas_operation_17rocblas_diagonal_iiT3_T4_lilT5_lili.step_sizes:
	.long	4                               ; 0x4
	.long	1                               ; 0x1
	;; [unrolled: 1-line block ×3, first 2 shown]
	.size	__const._ZL38rocblas_trsm_small_left_device_sharedBILi4ELi4ELb1EffPKfPfEv13rocblas_fill_18rocblas_operation_17rocblas_diagonal_iiT3_T4_lilT5_lili.step_sizes, 12

	.type	__const._ZL30rocblas_trsm_small_left_deviceILi4ELi4ELb1EffPKfPfEv13rocblas_fill_18rocblas_operation_17rocblas_diagonal_iiT3_T4_lilT5_lili.step_sizes,@object ; @__const._ZL30rocblas_trsm_small_left_deviceILi4ELi4ELb1EffPKfPfEv13rocblas_fill_18rocblas_operation_17rocblas_diagonal_iiT3_T4_lilT5_lili.step_sizes
	.p2align	2, 0x0
__const._ZL30rocblas_trsm_small_left_deviceILi4ELi4ELb1EffPKfPfEv13rocblas_fill_18rocblas_operation_17rocblas_diagonal_iiT3_T4_lilT5_lili.step_sizes:
	.long	4                               ; 0x4
	.long	1                               ; 0x1
	;; [unrolled: 1-line block ×3, first 2 shown]
	.size	__const._ZL30rocblas_trsm_small_left_deviceILi4ELi4ELb1EffPKfPfEv13rocblas_fill_18rocblas_operation_17rocblas_diagonal_iiT3_T4_lilT5_lili.step_sizes, 12

	.type	__const._ZL38rocblas_trsm_small_left_device_sharedBILi8ELi8ELb0EffPKfPfEv13rocblas_fill_18rocblas_operation_17rocblas_diagonal_iiT3_T4_lilT5_lili.step_sizes,@object ; @__const._ZL38rocblas_trsm_small_left_device_sharedBILi8ELi8ELb0EffPKfPfEv13rocblas_fill_18rocblas_operation_17rocblas_diagonal_iiT3_T4_lilT5_lili.step_sizes
	.p2align	2, 0x0
__const._ZL38rocblas_trsm_small_left_device_sharedBILi8ELi8ELb0EffPKfPfEv13rocblas_fill_18rocblas_operation_17rocblas_diagonal_iiT3_T4_lilT5_lili.step_sizes:
	.long	8                               ; 0x8
	.long	4                               ; 0x4
	;; [unrolled: 1-line block ×3, first 2 shown]
	.size	__const._ZL38rocblas_trsm_small_left_device_sharedBILi8ELi8ELb0EffPKfPfEv13rocblas_fill_18rocblas_operation_17rocblas_diagonal_iiT3_T4_lilT5_lili.step_sizes, 12

	.type	__const._ZL30rocblas_trsm_small_left_deviceILi8ELi8ELb0EffPKfPfEv13rocblas_fill_18rocblas_operation_17rocblas_diagonal_iiT3_T4_lilT5_lili.step_sizes,@object ; @__const._ZL30rocblas_trsm_small_left_deviceILi8ELi8ELb0EffPKfPfEv13rocblas_fill_18rocblas_operation_17rocblas_diagonal_iiT3_T4_lilT5_lili.step_sizes
	.p2align	2, 0x0
__const._ZL30rocblas_trsm_small_left_deviceILi8ELi8ELb0EffPKfPfEv13rocblas_fill_18rocblas_operation_17rocblas_diagonal_iiT3_T4_lilT5_lili.step_sizes:
	.long	8                               ; 0x8
	.long	4                               ; 0x4
	;; [unrolled: 1-line block ×3, first 2 shown]
	.size	__const._ZL30rocblas_trsm_small_left_deviceILi8ELi8ELb0EffPKfPfEv13rocblas_fill_18rocblas_operation_17rocblas_diagonal_iiT3_T4_lilT5_lili.step_sizes, 12

	.type	__const._ZL38rocblas_trsm_small_left_device_sharedBILi8ELi8ELb1EffPKfPfEv13rocblas_fill_18rocblas_operation_17rocblas_diagonal_iiT3_T4_lilT5_lili.step_sizes,@object ; @__const._ZL38rocblas_trsm_small_left_device_sharedBILi8ELi8ELb1EffPKfPfEv13rocblas_fill_18rocblas_operation_17rocblas_diagonal_iiT3_T4_lilT5_lili.step_sizes
	.p2align	2, 0x0
__const._ZL38rocblas_trsm_small_left_device_sharedBILi8ELi8ELb1EffPKfPfEv13rocblas_fill_18rocblas_operation_17rocblas_diagonal_iiT3_T4_lilT5_lili.step_sizes:
	.long	8                               ; 0x8
	.long	4                               ; 0x4
	;; [unrolled: 1-line block ×3, first 2 shown]
	.size	__const._ZL38rocblas_trsm_small_left_device_sharedBILi8ELi8ELb1EffPKfPfEv13rocblas_fill_18rocblas_operation_17rocblas_diagonal_iiT3_T4_lilT5_lili.step_sizes, 12

	.type	__const._ZL30rocblas_trsm_small_left_deviceILi8ELi8ELb1EffPKfPfEv13rocblas_fill_18rocblas_operation_17rocblas_diagonal_iiT3_T4_lilT5_lili.step_sizes,@object ; @__const._ZL30rocblas_trsm_small_left_deviceILi8ELi8ELb1EffPKfPfEv13rocblas_fill_18rocblas_operation_17rocblas_diagonal_iiT3_T4_lilT5_lili.step_sizes
	.p2align	2, 0x0
__const._ZL30rocblas_trsm_small_left_deviceILi8ELi8ELb1EffPKfPfEv13rocblas_fill_18rocblas_operation_17rocblas_diagonal_iiT3_T4_lilT5_lili.step_sizes:
	.long	8                               ; 0x8
	.long	4                               ; 0x4
	;; [unrolled: 1-line block ×3, first 2 shown]
	.size	__const._ZL30rocblas_trsm_small_left_deviceILi8ELi8ELb1EffPKfPfEv13rocblas_fill_18rocblas_operation_17rocblas_diagonal_iiT3_T4_lilT5_lili.step_sizes, 12

	.type	__const._ZL38rocblas_trsm_small_left_device_sharedBILi12ELi12ELb0EffPKfPfEv13rocblas_fill_18rocblas_operation_17rocblas_diagonal_iiT3_T4_lilT5_lili.step_sizes,@object ; @__const._ZL38rocblas_trsm_small_left_device_sharedBILi12ELi12ELb0EffPKfPfEv13rocblas_fill_18rocblas_operation_17rocblas_diagonal_iiT3_T4_lilT5_lili.step_sizes
	.p2align	2, 0x0
__const._ZL38rocblas_trsm_small_left_device_sharedBILi12ELi12ELb0EffPKfPfEv13rocblas_fill_18rocblas_operation_17rocblas_diagonal_iiT3_T4_lilT5_lili.step_sizes:
	.long	12                              ; 0xc
	.long	8                               ; 0x8
	.long	1                               ; 0x1
	.size	__const._ZL38rocblas_trsm_small_left_device_sharedBILi12ELi12ELb0EffPKfPfEv13rocblas_fill_18rocblas_operation_17rocblas_diagonal_iiT3_T4_lilT5_lili.step_sizes, 12

	.type	__const._ZL30rocblas_trsm_small_left_deviceILi12ELi12ELb0EffPKfPfEv13rocblas_fill_18rocblas_operation_17rocblas_diagonal_iiT3_T4_lilT5_lili.step_sizes,@object ; @__const._ZL30rocblas_trsm_small_left_deviceILi12ELi12ELb0EffPKfPfEv13rocblas_fill_18rocblas_operation_17rocblas_diagonal_iiT3_T4_lilT5_lili.step_sizes
	.p2align	2, 0x0
__const._ZL30rocblas_trsm_small_left_deviceILi12ELi12ELb0EffPKfPfEv13rocblas_fill_18rocblas_operation_17rocblas_diagonal_iiT3_T4_lilT5_lili.step_sizes:
	.long	12                              ; 0xc
	.long	8                               ; 0x8
	.long	1                               ; 0x1
	.size	__const._ZL30rocblas_trsm_small_left_deviceILi12ELi12ELb0EffPKfPfEv13rocblas_fill_18rocblas_operation_17rocblas_diagonal_iiT3_T4_lilT5_lili.step_sizes, 12

	.type	__const._ZL38rocblas_trsm_small_left_device_sharedBILi12ELi12ELb1EffPKfPfEv13rocblas_fill_18rocblas_operation_17rocblas_diagonal_iiT3_T4_lilT5_lili.step_sizes,@object ; @__const._ZL38rocblas_trsm_small_left_device_sharedBILi12ELi12ELb1EffPKfPfEv13rocblas_fill_18rocblas_operation_17rocblas_diagonal_iiT3_T4_lilT5_lili.step_sizes
	.p2align	2, 0x0
__const._ZL38rocblas_trsm_small_left_device_sharedBILi12ELi12ELb1EffPKfPfEv13rocblas_fill_18rocblas_operation_17rocblas_diagonal_iiT3_T4_lilT5_lili.step_sizes:
	.long	12                              ; 0xc
	.long	8                               ; 0x8
	.long	1                               ; 0x1
	.size	__const._ZL38rocblas_trsm_small_left_device_sharedBILi12ELi12ELb1EffPKfPfEv13rocblas_fill_18rocblas_operation_17rocblas_diagonal_iiT3_T4_lilT5_lili.step_sizes, 12

	.type	__const._ZL30rocblas_trsm_small_left_deviceILi12ELi12ELb1EffPKfPfEv13rocblas_fill_18rocblas_operation_17rocblas_diagonal_iiT3_T4_lilT5_lili.step_sizes,@object ; @__const._ZL30rocblas_trsm_small_left_deviceILi12ELi12ELb1EffPKfPfEv13rocblas_fill_18rocblas_operation_17rocblas_diagonal_iiT3_T4_lilT5_lili.step_sizes
	.p2align	2, 0x0
__const._ZL30rocblas_trsm_small_left_deviceILi12ELi12ELb1EffPKfPfEv13rocblas_fill_18rocblas_operation_17rocblas_diagonal_iiT3_T4_lilT5_lili.step_sizes:
	.long	12                              ; 0xc
	.long	8                               ; 0x8
	.long	1                               ; 0x1
	.size	__const._ZL30rocblas_trsm_small_left_deviceILi12ELi12ELb1EffPKfPfEv13rocblas_fill_18rocblas_operation_17rocblas_diagonal_iiT3_T4_lilT5_lili.step_sizes, 12

	.type	__const._ZL38rocblas_trsm_small_left_device_sharedBILi16ELi16ELb0EffPKfPfEv13rocblas_fill_18rocblas_operation_17rocblas_diagonal_iiT3_T4_lilT5_lili.step_sizes,@object ; @__const._ZL38rocblas_trsm_small_left_device_sharedBILi16ELi16ELb0EffPKfPfEv13rocblas_fill_18rocblas_operation_17rocblas_diagonal_iiT3_T4_lilT5_lili.step_sizes
	.p2align	2, 0x0
__const._ZL38rocblas_trsm_small_left_device_sharedBILi16ELi16ELb0EffPKfPfEv13rocblas_fill_18rocblas_operation_17rocblas_diagonal_iiT3_T4_lilT5_lili.step_sizes:
	.long	16                              ; 0x10
	.long	12                              ; 0xc
	.long	1                               ; 0x1
	.size	__const._ZL38rocblas_trsm_small_left_device_sharedBILi16ELi16ELb0EffPKfPfEv13rocblas_fill_18rocblas_operation_17rocblas_diagonal_iiT3_T4_lilT5_lili.step_sizes, 12

	.type	__const._ZL30rocblas_trsm_small_left_deviceILi16ELi16ELb0EffPKfPfEv13rocblas_fill_18rocblas_operation_17rocblas_diagonal_iiT3_T4_lilT5_lili.step_sizes,@object ; @__const._ZL30rocblas_trsm_small_left_deviceILi16ELi16ELb0EffPKfPfEv13rocblas_fill_18rocblas_operation_17rocblas_diagonal_iiT3_T4_lilT5_lili.step_sizes
	.p2align	2, 0x0
__const._ZL30rocblas_trsm_small_left_deviceILi16ELi16ELb0EffPKfPfEv13rocblas_fill_18rocblas_operation_17rocblas_diagonal_iiT3_T4_lilT5_lili.step_sizes:
	.long	16                              ; 0x10
	.long	12                              ; 0xc
	.long	1                               ; 0x1
	.size	__const._ZL30rocblas_trsm_small_left_deviceILi16ELi16ELb0EffPKfPfEv13rocblas_fill_18rocblas_operation_17rocblas_diagonal_iiT3_T4_lilT5_lili.step_sizes, 12

	.type	__const._ZL38rocblas_trsm_small_left_device_sharedBILi16ELi16ELb1EffPKfPfEv13rocblas_fill_18rocblas_operation_17rocblas_diagonal_iiT3_T4_lilT5_lili.step_sizes,@object ; @__const._ZL38rocblas_trsm_small_left_device_sharedBILi16ELi16ELb1EffPKfPfEv13rocblas_fill_18rocblas_operation_17rocblas_diagonal_iiT3_T4_lilT5_lili.step_sizes
	.p2align	2, 0x0
__const._ZL38rocblas_trsm_small_left_device_sharedBILi16ELi16ELb1EffPKfPfEv13rocblas_fill_18rocblas_operation_17rocblas_diagonal_iiT3_T4_lilT5_lili.step_sizes:
	.long	16                              ; 0x10
	.long	12                              ; 0xc
	.long	1                               ; 0x1
	.size	__const._ZL38rocblas_trsm_small_left_device_sharedBILi16ELi16ELb1EffPKfPfEv13rocblas_fill_18rocblas_operation_17rocblas_diagonal_iiT3_T4_lilT5_lili.step_sizes, 12

	.type	__const._ZL30rocblas_trsm_small_left_deviceILi16ELi16ELb1EffPKfPfEv13rocblas_fill_18rocblas_operation_17rocblas_diagonal_iiT3_T4_lilT5_lili.step_sizes,@object ; @__const._ZL30rocblas_trsm_small_left_deviceILi16ELi16ELb1EffPKfPfEv13rocblas_fill_18rocblas_operation_17rocblas_diagonal_iiT3_T4_lilT5_lili.step_sizes
	.p2align	2, 0x0
__const._ZL30rocblas_trsm_small_left_deviceILi16ELi16ELb1EffPKfPfEv13rocblas_fill_18rocblas_operation_17rocblas_diagonal_iiT3_T4_lilT5_lili.step_sizes:
	.long	16                              ; 0x10
	.long	12                              ; 0xc
	.long	1                               ; 0x1
	.size	__const._ZL30rocblas_trsm_small_left_deviceILi16ELi16ELb1EffPKfPfEv13rocblas_fill_18rocblas_operation_17rocblas_diagonal_iiT3_T4_lilT5_lili.step_sizes, 12

	.type	__const._ZL38rocblas_trsm_small_left_device_sharedBILi20ELi20ELb0EffPKfPfEv13rocblas_fill_18rocblas_operation_17rocblas_diagonal_iiT3_T4_lilT5_lili.step_sizes,@object ; @__const._ZL38rocblas_trsm_small_left_device_sharedBILi20ELi20ELb0EffPKfPfEv13rocblas_fill_18rocblas_operation_17rocblas_diagonal_iiT3_T4_lilT5_lili.step_sizes
	.p2align	2, 0x0
__const._ZL38rocblas_trsm_small_left_device_sharedBILi20ELi20ELb0EffPKfPfEv13rocblas_fill_18rocblas_operation_17rocblas_diagonal_iiT3_T4_lilT5_lili.step_sizes:
	.long	20                              ; 0x14
	.long	16                              ; 0x10
	.long	1                               ; 0x1
	.size	__const._ZL38rocblas_trsm_small_left_device_sharedBILi20ELi20ELb0EffPKfPfEv13rocblas_fill_18rocblas_operation_17rocblas_diagonal_iiT3_T4_lilT5_lili.step_sizes, 12

	.type	__const._ZL30rocblas_trsm_small_left_deviceILi20ELi20ELb0EffPKfPfEv13rocblas_fill_18rocblas_operation_17rocblas_diagonal_iiT3_T4_lilT5_lili.step_sizes,@object ; @__const._ZL30rocblas_trsm_small_left_deviceILi20ELi20ELb0EffPKfPfEv13rocblas_fill_18rocblas_operation_17rocblas_diagonal_iiT3_T4_lilT5_lili.step_sizes
	.p2align	2, 0x0
__const._ZL30rocblas_trsm_small_left_deviceILi20ELi20ELb0EffPKfPfEv13rocblas_fill_18rocblas_operation_17rocblas_diagonal_iiT3_T4_lilT5_lili.step_sizes:
	.long	20                              ; 0x14
	.long	16                              ; 0x10
	.long	1                               ; 0x1
	.size	__const._ZL30rocblas_trsm_small_left_deviceILi20ELi20ELb0EffPKfPfEv13rocblas_fill_18rocblas_operation_17rocblas_diagonal_iiT3_T4_lilT5_lili.step_sizes, 12

	.type	__const._ZL38rocblas_trsm_small_left_device_sharedBILi20ELi20ELb1EffPKfPfEv13rocblas_fill_18rocblas_operation_17rocblas_diagonal_iiT3_T4_lilT5_lili.step_sizes,@object ; @__const._ZL38rocblas_trsm_small_left_device_sharedBILi20ELi20ELb1EffPKfPfEv13rocblas_fill_18rocblas_operation_17rocblas_diagonal_iiT3_T4_lilT5_lili.step_sizes
	.p2align	2, 0x0
__const._ZL38rocblas_trsm_small_left_device_sharedBILi20ELi20ELb1EffPKfPfEv13rocblas_fill_18rocblas_operation_17rocblas_diagonal_iiT3_T4_lilT5_lili.step_sizes:
	.long	20                              ; 0x14
	.long	16                              ; 0x10
	.long	1                               ; 0x1
	.size	__const._ZL38rocblas_trsm_small_left_device_sharedBILi20ELi20ELb1EffPKfPfEv13rocblas_fill_18rocblas_operation_17rocblas_diagonal_iiT3_T4_lilT5_lili.step_sizes, 12

	.type	__const._ZL30rocblas_trsm_small_left_deviceILi20ELi20ELb1EffPKfPfEv13rocblas_fill_18rocblas_operation_17rocblas_diagonal_iiT3_T4_lilT5_lili.step_sizes,@object ; @__const._ZL30rocblas_trsm_small_left_deviceILi20ELi20ELb1EffPKfPfEv13rocblas_fill_18rocblas_operation_17rocblas_diagonal_iiT3_T4_lilT5_lili.step_sizes
	.p2align	2, 0x0
__const._ZL30rocblas_trsm_small_left_deviceILi20ELi20ELb1EffPKfPfEv13rocblas_fill_18rocblas_operation_17rocblas_diagonal_iiT3_T4_lilT5_lili.step_sizes:
	.long	20                              ; 0x14
	.long	16                              ; 0x10
	.long	1                               ; 0x1
	.size	__const._ZL30rocblas_trsm_small_left_deviceILi20ELi20ELb1EffPKfPfEv13rocblas_fill_18rocblas_operation_17rocblas_diagonal_iiT3_T4_lilT5_lili.step_sizes, 12

	.type	__const._ZL38rocblas_trsm_small_left_device_sharedBILi24ELi24ELb0EffPKfPfEv13rocblas_fill_18rocblas_operation_17rocblas_diagonal_iiT3_T4_lilT5_lili.step_sizes,@object ; @__const._ZL38rocblas_trsm_small_left_device_sharedBILi24ELi24ELb0EffPKfPfEv13rocblas_fill_18rocblas_operation_17rocblas_diagonal_iiT3_T4_lilT5_lili.step_sizes
	.p2align	2, 0x0
__const._ZL38rocblas_trsm_small_left_device_sharedBILi24ELi24ELb0EffPKfPfEv13rocblas_fill_18rocblas_operation_17rocblas_diagonal_iiT3_T4_lilT5_lili.step_sizes:
	.long	24                              ; 0x18
	.long	20                              ; 0x14
	.long	1                               ; 0x1
	.size	__const._ZL38rocblas_trsm_small_left_device_sharedBILi24ELi24ELb0EffPKfPfEv13rocblas_fill_18rocblas_operation_17rocblas_diagonal_iiT3_T4_lilT5_lili.step_sizes, 12

	.type	__const._ZL30rocblas_trsm_small_left_deviceILi24ELi24ELb0EffPKfPfEv13rocblas_fill_18rocblas_operation_17rocblas_diagonal_iiT3_T4_lilT5_lili.step_sizes,@object ; @__const._ZL30rocblas_trsm_small_left_deviceILi24ELi24ELb0EffPKfPfEv13rocblas_fill_18rocblas_operation_17rocblas_diagonal_iiT3_T4_lilT5_lili.step_sizes
	.p2align	2, 0x0
__const._ZL30rocblas_trsm_small_left_deviceILi24ELi24ELb0EffPKfPfEv13rocblas_fill_18rocblas_operation_17rocblas_diagonal_iiT3_T4_lilT5_lili.step_sizes:
	.long	24                              ; 0x18
	.long	20                              ; 0x14
	.long	1                               ; 0x1
	.size	__const._ZL30rocblas_trsm_small_left_deviceILi24ELi24ELb0EffPKfPfEv13rocblas_fill_18rocblas_operation_17rocblas_diagonal_iiT3_T4_lilT5_lili.step_sizes, 12

	.type	__const._ZL38rocblas_trsm_small_left_device_sharedBILi24ELi24ELb1EffPKfPfEv13rocblas_fill_18rocblas_operation_17rocblas_diagonal_iiT3_T4_lilT5_lili.step_sizes,@object ; @__const._ZL38rocblas_trsm_small_left_device_sharedBILi24ELi24ELb1EffPKfPfEv13rocblas_fill_18rocblas_operation_17rocblas_diagonal_iiT3_T4_lilT5_lili.step_sizes
	.p2align	2, 0x0
__const._ZL38rocblas_trsm_small_left_device_sharedBILi24ELi24ELb1EffPKfPfEv13rocblas_fill_18rocblas_operation_17rocblas_diagonal_iiT3_T4_lilT5_lili.step_sizes:
	.long	24                              ; 0x18
	.long	20                              ; 0x14
	.long	1                               ; 0x1
	.size	__const._ZL38rocblas_trsm_small_left_device_sharedBILi24ELi24ELb1EffPKfPfEv13rocblas_fill_18rocblas_operation_17rocblas_diagonal_iiT3_T4_lilT5_lili.step_sizes, 12

	.type	__const._ZL30rocblas_trsm_small_left_deviceILi24ELi24ELb1EffPKfPfEv13rocblas_fill_18rocblas_operation_17rocblas_diagonal_iiT3_T4_lilT5_lili.step_sizes,@object ; @__const._ZL30rocblas_trsm_small_left_deviceILi24ELi24ELb1EffPKfPfEv13rocblas_fill_18rocblas_operation_17rocblas_diagonal_iiT3_T4_lilT5_lili.step_sizes
	.p2align	2, 0x0
__const._ZL30rocblas_trsm_small_left_deviceILi24ELi24ELb1EffPKfPfEv13rocblas_fill_18rocblas_operation_17rocblas_diagonal_iiT3_T4_lilT5_lili.step_sizes:
	.long	24                              ; 0x18
	.long	20                              ; 0x14
	.long	1                               ; 0x1
	.size	__const._ZL30rocblas_trsm_small_left_deviceILi24ELi24ELb1EffPKfPfEv13rocblas_fill_18rocblas_operation_17rocblas_diagonal_iiT3_T4_lilT5_lili.step_sizes, 12

	.type	__const._ZL38rocblas_trsm_small_left_device_sharedBILi28ELi28ELb0EffPKfPfEv13rocblas_fill_18rocblas_operation_17rocblas_diagonal_iiT3_T4_lilT5_lili.step_sizes,@object ; @__const._ZL38rocblas_trsm_small_left_device_sharedBILi28ELi28ELb0EffPKfPfEv13rocblas_fill_18rocblas_operation_17rocblas_diagonal_iiT3_T4_lilT5_lili.step_sizes
	.p2align	2, 0x0
__const._ZL38rocblas_trsm_small_left_device_sharedBILi28ELi28ELb0EffPKfPfEv13rocblas_fill_18rocblas_operation_17rocblas_diagonal_iiT3_T4_lilT5_lili.step_sizes:
	.long	28                              ; 0x1c
	.long	24                              ; 0x18
	.long	1                               ; 0x1
	.size	__const._ZL38rocblas_trsm_small_left_device_sharedBILi28ELi28ELb0EffPKfPfEv13rocblas_fill_18rocblas_operation_17rocblas_diagonal_iiT3_T4_lilT5_lili.step_sizes, 12

	.type	__const._ZL30rocblas_trsm_small_left_deviceILi28ELi28ELb0EffPKfPfEv13rocblas_fill_18rocblas_operation_17rocblas_diagonal_iiT3_T4_lilT5_lili.step_sizes,@object ; @__const._ZL30rocblas_trsm_small_left_deviceILi28ELi28ELb0EffPKfPfEv13rocblas_fill_18rocblas_operation_17rocblas_diagonal_iiT3_T4_lilT5_lili.step_sizes
	.p2align	2, 0x0
__const._ZL30rocblas_trsm_small_left_deviceILi28ELi28ELb0EffPKfPfEv13rocblas_fill_18rocblas_operation_17rocblas_diagonal_iiT3_T4_lilT5_lili.step_sizes:
	.long	28                              ; 0x1c
	.long	24                              ; 0x18
	.long	1                               ; 0x1
	.size	__const._ZL30rocblas_trsm_small_left_deviceILi28ELi28ELb0EffPKfPfEv13rocblas_fill_18rocblas_operation_17rocblas_diagonal_iiT3_T4_lilT5_lili.step_sizes, 12

	.type	__const._ZL38rocblas_trsm_small_left_device_sharedBILi28ELi28ELb1EffPKfPfEv13rocblas_fill_18rocblas_operation_17rocblas_diagonal_iiT3_T4_lilT5_lili.step_sizes,@object ; @__const._ZL38rocblas_trsm_small_left_device_sharedBILi28ELi28ELb1EffPKfPfEv13rocblas_fill_18rocblas_operation_17rocblas_diagonal_iiT3_T4_lilT5_lili.step_sizes
	.p2align	2, 0x0
__const._ZL38rocblas_trsm_small_left_device_sharedBILi28ELi28ELb1EffPKfPfEv13rocblas_fill_18rocblas_operation_17rocblas_diagonal_iiT3_T4_lilT5_lili.step_sizes:
	.long	28                              ; 0x1c
	.long	24                              ; 0x18
	.long	1                               ; 0x1
	.size	__const._ZL38rocblas_trsm_small_left_device_sharedBILi28ELi28ELb1EffPKfPfEv13rocblas_fill_18rocblas_operation_17rocblas_diagonal_iiT3_T4_lilT5_lili.step_sizes, 12

	.type	__const._ZL30rocblas_trsm_small_left_deviceILi28ELi28ELb1EffPKfPfEv13rocblas_fill_18rocblas_operation_17rocblas_diagonal_iiT3_T4_lilT5_lili.step_sizes,@object ; @__const._ZL30rocblas_trsm_small_left_deviceILi28ELi28ELb1EffPKfPfEv13rocblas_fill_18rocblas_operation_17rocblas_diagonal_iiT3_T4_lilT5_lili.step_sizes
	.p2align	2, 0x0
__const._ZL30rocblas_trsm_small_left_deviceILi28ELi28ELb1EffPKfPfEv13rocblas_fill_18rocblas_operation_17rocblas_diagonal_iiT3_T4_lilT5_lili.step_sizes:
	.long	28                              ; 0x1c
	.long	24                              ; 0x18
	.long	1                               ; 0x1
	.size	__const._ZL30rocblas_trsm_small_left_deviceILi28ELi28ELb1EffPKfPfEv13rocblas_fill_18rocblas_operation_17rocblas_diagonal_iiT3_T4_lilT5_lili.step_sizes, 12

	.type	__const._ZL38rocblas_trsm_small_left_device_sharedBILi32ELi32ELb0EffPKfPfEv13rocblas_fill_18rocblas_operation_17rocblas_diagonal_iiT3_T4_lilT5_lili.step_sizes,@object ; @__const._ZL38rocblas_trsm_small_left_device_sharedBILi32ELi32ELb0EffPKfPfEv13rocblas_fill_18rocblas_operation_17rocblas_diagonal_iiT3_T4_lilT5_lili.step_sizes
	.p2align	2, 0x0
__const._ZL38rocblas_trsm_small_left_device_sharedBILi32ELi32ELb0EffPKfPfEv13rocblas_fill_18rocblas_operation_17rocblas_diagonal_iiT3_T4_lilT5_lili.step_sizes:
	.long	32                              ; 0x20
	.long	28                              ; 0x1c
	.long	1                               ; 0x1
	.size	__const._ZL38rocblas_trsm_small_left_device_sharedBILi32ELi32ELb0EffPKfPfEv13rocblas_fill_18rocblas_operation_17rocblas_diagonal_iiT3_T4_lilT5_lili.step_sizes, 12

	.type	__const._ZL30rocblas_trsm_small_left_deviceILi32ELi32ELb0EffPKfPfEv13rocblas_fill_18rocblas_operation_17rocblas_diagonal_iiT3_T4_lilT5_lili.step_sizes,@object ; @__const._ZL30rocblas_trsm_small_left_deviceILi32ELi32ELb0EffPKfPfEv13rocblas_fill_18rocblas_operation_17rocblas_diagonal_iiT3_T4_lilT5_lili.step_sizes
	.p2align	2, 0x0
__const._ZL30rocblas_trsm_small_left_deviceILi32ELi32ELb0EffPKfPfEv13rocblas_fill_18rocblas_operation_17rocblas_diagonal_iiT3_T4_lilT5_lili.step_sizes:
	.long	32                              ; 0x20
	.long	28                              ; 0x1c
	.long	1                               ; 0x1
	.size	__const._ZL30rocblas_trsm_small_left_deviceILi32ELi32ELb0EffPKfPfEv13rocblas_fill_18rocblas_operation_17rocblas_diagonal_iiT3_T4_lilT5_lili.step_sizes, 12

	.type	__const._ZL38rocblas_trsm_small_left_device_sharedBILi32ELi32ELb1EffPKfPfEv13rocblas_fill_18rocblas_operation_17rocblas_diagonal_iiT3_T4_lilT5_lili.step_sizes,@object ; @__const._ZL38rocblas_trsm_small_left_device_sharedBILi32ELi32ELb1EffPKfPfEv13rocblas_fill_18rocblas_operation_17rocblas_diagonal_iiT3_T4_lilT5_lili.step_sizes
	.p2align	2, 0x0
__const._ZL38rocblas_trsm_small_left_device_sharedBILi32ELi32ELb1EffPKfPfEv13rocblas_fill_18rocblas_operation_17rocblas_diagonal_iiT3_T4_lilT5_lili.step_sizes:
	.long	32                              ; 0x20
	.long	28                              ; 0x1c
	.long	1                               ; 0x1
	.size	__const._ZL38rocblas_trsm_small_left_device_sharedBILi32ELi32ELb1EffPKfPfEv13rocblas_fill_18rocblas_operation_17rocblas_diagonal_iiT3_T4_lilT5_lili.step_sizes, 12

	.type	__const._ZL30rocblas_trsm_small_left_deviceILi32ELi32ELb1EffPKfPfEv13rocblas_fill_18rocblas_operation_17rocblas_diagonal_iiT3_T4_lilT5_lili.step_sizes,@object ; @__const._ZL30rocblas_trsm_small_left_deviceILi32ELi32ELb1EffPKfPfEv13rocblas_fill_18rocblas_operation_17rocblas_diagonal_iiT3_T4_lilT5_lili.step_sizes
	.p2align	2, 0x0
__const._ZL30rocblas_trsm_small_left_deviceILi32ELi32ELb1EffPKfPfEv13rocblas_fill_18rocblas_operation_17rocblas_diagonal_iiT3_T4_lilT5_lili.step_sizes:
	.long	32                              ; 0x20
	.long	28                              ; 0x1c
	.long	1                               ; 0x1
	.size	__const._ZL30rocblas_trsm_small_left_deviceILi32ELi32ELb1EffPKfPfEv13rocblas_fill_18rocblas_operation_17rocblas_diagonal_iiT3_T4_lilT5_lili.step_sizes, 12

	.type	__const._ZL38rocblas_trsm_small_left_device_sharedBILi64ELi32ELb0EffPKfPfEv13rocblas_fill_18rocblas_operation_17rocblas_diagonal_iiT3_T4_lilT5_lili.step_sizes,@object ; @__const._ZL38rocblas_trsm_small_left_device_sharedBILi64ELi32ELb0EffPKfPfEv13rocblas_fill_18rocblas_operation_17rocblas_diagonal_iiT3_T4_lilT5_lili.step_sizes
	.p2align	2, 0x0
__const._ZL38rocblas_trsm_small_left_device_sharedBILi64ELi32ELb0EffPKfPfEv13rocblas_fill_18rocblas_operation_17rocblas_diagonal_iiT3_T4_lilT5_lili.step_sizes:
	.long	32                              ; 0x20
	.long	4                               ; 0x4
	.long	1                               ; 0x1
	.size	__const._ZL38rocblas_trsm_small_left_device_sharedBILi64ELi32ELb0EffPKfPfEv13rocblas_fill_18rocblas_operation_17rocblas_diagonal_iiT3_T4_lilT5_lili.step_sizes, 12

	.type	__const._ZL30rocblas_trsm_small_left_deviceILi64ELi32ELb0EffPKfPfEv13rocblas_fill_18rocblas_operation_17rocblas_diagonal_iiT3_T4_lilT5_lili.step_sizes,@object ; @__const._ZL30rocblas_trsm_small_left_deviceILi64ELi32ELb0EffPKfPfEv13rocblas_fill_18rocblas_operation_17rocblas_diagonal_iiT3_T4_lilT5_lili.step_sizes
	.p2align	2, 0x0
__const._ZL30rocblas_trsm_small_left_deviceILi64ELi32ELb0EffPKfPfEv13rocblas_fill_18rocblas_operation_17rocblas_diagonal_iiT3_T4_lilT5_lili.step_sizes:
	.long	32                              ; 0x20
	.long	4                               ; 0x4
	.long	1                               ; 0x1
	.size	__const._ZL30rocblas_trsm_small_left_deviceILi64ELi32ELb0EffPKfPfEv13rocblas_fill_18rocblas_operation_17rocblas_diagonal_iiT3_T4_lilT5_lili.step_sizes, 12

	.type	__const._ZL38rocblas_trsm_small_left_device_sharedBILi64ELi32ELb1EffPKfPfEv13rocblas_fill_18rocblas_operation_17rocblas_diagonal_iiT3_T4_lilT5_lili.step_sizes,@object ; @__const._ZL38rocblas_trsm_small_left_device_sharedBILi64ELi32ELb1EffPKfPfEv13rocblas_fill_18rocblas_operation_17rocblas_diagonal_iiT3_T4_lilT5_lili.step_sizes
	.p2align	2, 0x0
__const._ZL38rocblas_trsm_small_left_device_sharedBILi64ELi32ELb1EffPKfPfEv13rocblas_fill_18rocblas_operation_17rocblas_diagonal_iiT3_T4_lilT5_lili.step_sizes:
	.long	32                              ; 0x20
	.long	4                               ; 0x4
	.long	1                               ; 0x1
	.size	__const._ZL38rocblas_trsm_small_left_device_sharedBILi64ELi32ELb1EffPKfPfEv13rocblas_fill_18rocblas_operation_17rocblas_diagonal_iiT3_T4_lilT5_lili.step_sizes, 12

	.type	__const._ZL30rocblas_trsm_small_left_deviceILi64ELi32ELb1EffPKfPfEv13rocblas_fill_18rocblas_operation_17rocblas_diagonal_iiT3_T4_lilT5_lili.step_sizes,@object ; @__const._ZL30rocblas_trsm_small_left_deviceILi64ELi32ELb1EffPKfPfEv13rocblas_fill_18rocblas_operation_17rocblas_diagonal_iiT3_T4_lilT5_lili.step_sizes
	.p2align	2, 0x0
__const._ZL30rocblas_trsm_small_left_deviceILi64ELi32ELb1EffPKfPfEv13rocblas_fill_18rocblas_operation_17rocblas_diagonal_iiT3_T4_lilT5_lili.step_sizes:
	.long	32                              ; 0x20
	.long	4                               ; 0x4
	.long	1                               ; 0x1
	.size	__const._ZL30rocblas_trsm_small_left_deviceILi64ELi32ELb1EffPKfPfEv13rocblas_fill_18rocblas_operation_17rocblas_diagonal_iiT3_T4_lilT5_lili.step_sizes, 12

	.type	__const._ZL38rocblas_trsm_small_left_device_sharedBILi4ELi4ELb0EddPKdPdEv13rocblas_fill_18rocblas_operation_17rocblas_diagonal_iiT3_T4_lilT5_lili.step_sizes,@object ; @__const._ZL38rocblas_trsm_small_left_device_sharedBILi4ELi4ELb0EddPKdPdEv13rocblas_fill_18rocblas_operation_17rocblas_diagonal_iiT3_T4_lilT5_lili.step_sizes
	.p2align	2, 0x0
__const._ZL38rocblas_trsm_small_left_device_sharedBILi4ELi4ELb0EddPKdPdEv13rocblas_fill_18rocblas_operation_17rocblas_diagonal_iiT3_T4_lilT5_lili.step_sizes:
	.long	4                               ; 0x4
	.long	1                               ; 0x1
	;; [unrolled: 1-line block ×3, first 2 shown]
	.size	__const._ZL38rocblas_trsm_small_left_device_sharedBILi4ELi4ELb0EddPKdPdEv13rocblas_fill_18rocblas_operation_17rocblas_diagonal_iiT3_T4_lilT5_lili.step_sizes, 12

	.type	__const._ZL30rocblas_trsm_small_left_deviceILi4ELi4ELb0EddPKdPdEv13rocblas_fill_18rocblas_operation_17rocblas_diagonal_iiT3_T4_lilT5_lili.step_sizes,@object ; @__const._ZL30rocblas_trsm_small_left_deviceILi4ELi4ELb0EddPKdPdEv13rocblas_fill_18rocblas_operation_17rocblas_diagonal_iiT3_T4_lilT5_lili.step_sizes
	.p2align	2, 0x0
__const._ZL30rocblas_trsm_small_left_deviceILi4ELi4ELb0EddPKdPdEv13rocblas_fill_18rocblas_operation_17rocblas_diagonal_iiT3_T4_lilT5_lili.step_sizes:
	.long	4                               ; 0x4
	.long	1                               ; 0x1
	;; [unrolled: 1-line block ×3, first 2 shown]
	.size	__const._ZL30rocblas_trsm_small_left_deviceILi4ELi4ELb0EddPKdPdEv13rocblas_fill_18rocblas_operation_17rocblas_diagonal_iiT3_T4_lilT5_lili.step_sizes, 12

	.type	__const._ZL38rocblas_trsm_small_left_device_sharedBILi4ELi4ELb1EddPKdPdEv13rocblas_fill_18rocblas_operation_17rocblas_diagonal_iiT3_T4_lilT5_lili.step_sizes,@object ; @__const._ZL38rocblas_trsm_small_left_device_sharedBILi4ELi4ELb1EddPKdPdEv13rocblas_fill_18rocblas_operation_17rocblas_diagonal_iiT3_T4_lilT5_lili.step_sizes
	.p2align	2, 0x0
__const._ZL38rocblas_trsm_small_left_device_sharedBILi4ELi4ELb1EddPKdPdEv13rocblas_fill_18rocblas_operation_17rocblas_diagonal_iiT3_T4_lilT5_lili.step_sizes:
	.long	4                               ; 0x4
	.long	1                               ; 0x1
	;; [unrolled: 1-line block ×3, first 2 shown]
	.size	__const._ZL38rocblas_trsm_small_left_device_sharedBILi4ELi4ELb1EddPKdPdEv13rocblas_fill_18rocblas_operation_17rocblas_diagonal_iiT3_T4_lilT5_lili.step_sizes, 12

	.type	__const._ZL30rocblas_trsm_small_left_deviceILi4ELi4ELb1EddPKdPdEv13rocblas_fill_18rocblas_operation_17rocblas_diagonal_iiT3_T4_lilT5_lili.step_sizes,@object ; @__const._ZL30rocblas_trsm_small_left_deviceILi4ELi4ELb1EddPKdPdEv13rocblas_fill_18rocblas_operation_17rocblas_diagonal_iiT3_T4_lilT5_lili.step_sizes
	.p2align	2, 0x0
__const._ZL30rocblas_trsm_small_left_deviceILi4ELi4ELb1EddPKdPdEv13rocblas_fill_18rocblas_operation_17rocblas_diagonal_iiT3_T4_lilT5_lili.step_sizes:
	.long	4                               ; 0x4
	.long	1                               ; 0x1
	;; [unrolled: 1-line block ×3, first 2 shown]
	.size	__const._ZL30rocblas_trsm_small_left_deviceILi4ELi4ELb1EddPKdPdEv13rocblas_fill_18rocblas_operation_17rocblas_diagonal_iiT3_T4_lilT5_lili.step_sizes, 12

	.type	__const._ZL38rocblas_trsm_small_left_device_sharedBILi8ELi8ELb0EddPKdPdEv13rocblas_fill_18rocblas_operation_17rocblas_diagonal_iiT3_T4_lilT5_lili.step_sizes,@object ; @__const._ZL38rocblas_trsm_small_left_device_sharedBILi8ELi8ELb0EddPKdPdEv13rocblas_fill_18rocblas_operation_17rocblas_diagonal_iiT3_T4_lilT5_lili.step_sizes
	.p2align	2, 0x0
__const._ZL38rocblas_trsm_small_left_device_sharedBILi8ELi8ELb0EddPKdPdEv13rocblas_fill_18rocblas_operation_17rocblas_diagonal_iiT3_T4_lilT5_lili.step_sizes:
	.long	8                               ; 0x8
	.long	4                               ; 0x4
	;; [unrolled: 1-line block ×3, first 2 shown]
	.size	__const._ZL38rocblas_trsm_small_left_device_sharedBILi8ELi8ELb0EddPKdPdEv13rocblas_fill_18rocblas_operation_17rocblas_diagonal_iiT3_T4_lilT5_lili.step_sizes, 12

	.type	__const._ZL30rocblas_trsm_small_left_deviceILi8ELi8ELb0EddPKdPdEv13rocblas_fill_18rocblas_operation_17rocblas_diagonal_iiT3_T4_lilT5_lili.step_sizes,@object ; @__const._ZL30rocblas_trsm_small_left_deviceILi8ELi8ELb0EddPKdPdEv13rocblas_fill_18rocblas_operation_17rocblas_diagonal_iiT3_T4_lilT5_lili.step_sizes
	.p2align	2, 0x0
__const._ZL30rocblas_trsm_small_left_deviceILi8ELi8ELb0EddPKdPdEv13rocblas_fill_18rocblas_operation_17rocblas_diagonal_iiT3_T4_lilT5_lili.step_sizes:
	.long	8                               ; 0x8
	.long	4                               ; 0x4
	;; [unrolled: 1-line block ×3, first 2 shown]
	.size	__const._ZL30rocblas_trsm_small_left_deviceILi8ELi8ELb0EddPKdPdEv13rocblas_fill_18rocblas_operation_17rocblas_diagonal_iiT3_T4_lilT5_lili.step_sizes, 12

	.type	__const._ZL38rocblas_trsm_small_left_device_sharedBILi8ELi8ELb1EddPKdPdEv13rocblas_fill_18rocblas_operation_17rocblas_diagonal_iiT3_T4_lilT5_lili.step_sizes,@object ; @__const._ZL38rocblas_trsm_small_left_device_sharedBILi8ELi8ELb1EddPKdPdEv13rocblas_fill_18rocblas_operation_17rocblas_diagonal_iiT3_T4_lilT5_lili.step_sizes
	.p2align	2, 0x0
__const._ZL38rocblas_trsm_small_left_device_sharedBILi8ELi8ELb1EddPKdPdEv13rocblas_fill_18rocblas_operation_17rocblas_diagonal_iiT3_T4_lilT5_lili.step_sizes:
	.long	8                               ; 0x8
	.long	4                               ; 0x4
	;; [unrolled: 1-line block ×3, first 2 shown]
	.size	__const._ZL38rocblas_trsm_small_left_device_sharedBILi8ELi8ELb1EddPKdPdEv13rocblas_fill_18rocblas_operation_17rocblas_diagonal_iiT3_T4_lilT5_lili.step_sizes, 12

	.type	__const._ZL30rocblas_trsm_small_left_deviceILi8ELi8ELb1EddPKdPdEv13rocblas_fill_18rocblas_operation_17rocblas_diagonal_iiT3_T4_lilT5_lili.step_sizes,@object ; @__const._ZL30rocblas_trsm_small_left_deviceILi8ELi8ELb1EddPKdPdEv13rocblas_fill_18rocblas_operation_17rocblas_diagonal_iiT3_T4_lilT5_lili.step_sizes
	.p2align	2, 0x0
__const._ZL30rocblas_trsm_small_left_deviceILi8ELi8ELb1EddPKdPdEv13rocblas_fill_18rocblas_operation_17rocblas_diagonal_iiT3_T4_lilT5_lili.step_sizes:
	.long	8                               ; 0x8
	.long	4                               ; 0x4
	;; [unrolled: 1-line block ×3, first 2 shown]
	.size	__const._ZL30rocblas_trsm_small_left_deviceILi8ELi8ELb1EddPKdPdEv13rocblas_fill_18rocblas_operation_17rocblas_diagonal_iiT3_T4_lilT5_lili.step_sizes, 12

	.type	__const._ZL38rocblas_trsm_small_left_device_sharedBILi12ELi12ELb0EddPKdPdEv13rocblas_fill_18rocblas_operation_17rocblas_diagonal_iiT3_T4_lilT5_lili.step_sizes,@object ; @__const._ZL38rocblas_trsm_small_left_device_sharedBILi12ELi12ELb0EddPKdPdEv13rocblas_fill_18rocblas_operation_17rocblas_diagonal_iiT3_T4_lilT5_lili.step_sizes
	.p2align	2, 0x0
__const._ZL38rocblas_trsm_small_left_device_sharedBILi12ELi12ELb0EddPKdPdEv13rocblas_fill_18rocblas_operation_17rocblas_diagonal_iiT3_T4_lilT5_lili.step_sizes:
	.long	12                              ; 0xc
	.long	8                               ; 0x8
	.long	1                               ; 0x1
	.size	__const._ZL38rocblas_trsm_small_left_device_sharedBILi12ELi12ELb0EddPKdPdEv13rocblas_fill_18rocblas_operation_17rocblas_diagonal_iiT3_T4_lilT5_lili.step_sizes, 12

	.type	__const._ZL30rocblas_trsm_small_left_deviceILi12ELi12ELb0EddPKdPdEv13rocblas_fill_18rocblas_operation_17rocblas_diagonal_iiT3_T4_lilT5_lili.step_sizes,@object ; @__const._ZL30rocblas_trsm_small_left_deviceILi12ELi12ELb0EddPKdPdEv13rocblas_fill_18rocblas_operation_17rocblas_diagonal_iiT3_T4_lilT5_lili.step_sizes
	.p2align	2, 0x0
__const._ZL30rocblas_trsm_small_left_deviceILi12ELi12ELb0EddPKdPdEv13rocblas_fill_18rocblas_operation_17rocblas_diagonal_iiT3_T4_lilT5_lili.step_sizes:
	.long	12                              ; 0xc
	.long	8                               ; 0x8
	.long	1                               ; 0x1
	.size	__const._ZL30rocblas_trsm_small_left_deviceILi12ELi12ELb0EddPKdPdEv13rocblas_fill_18rocblas_operation_17rocblas_diagonal_iiT3_T4_lilT5_lili.step_sizes, 12

	.type	__const._ZL38rocblas_trsm_small_left_device_sharedBILi12ELi12ELb1EddPKdPdEv13rocblas_fill_18rocblas_operation_17rocblas_diagonal_iiT3_T4_lilT5_lili.step_sizes,@object ; @__const._ZL38rocblas_trsm_small_left_device_sharedBILi12ELi12ELb1EddPKdPdEv13rocblas_fill_18rocblas_operation_17rocblas_diagonal_iiT3_T4_lilT5_lili.step_sizes
	.p2align	2, 0x0
__const._ZL38rocblas_trsm_small_left_device_sharedBILi12ELi12ELb1EddPKdPdEv13rocblas_fill_18rocblas_operation_17rocblas_diagonal_iiT3_T4_lilT5_lili.step_sizes:
	.long	12                              ; 0xc
	.long	8                               ; 0x8
	.long	1                               ; 0x1
	.size	__const._ZL38rocblas_trsm_small_left_device_sharedBILi12ELi12ELb1EddPKdPdEv13rocblas_fill_18rocblas_operation_17rocblas_diagonal_iiT3_T4_lilT5_lili.step_sizes, 12

	.type	__const._ZL30rocblas_trsm_small_left_deviceILi12ELi12ELb1EddPKdPdEv13rocblas_fill_18rocblas_operation_17rocblas_diagonal_iiT3_T4_lilT5_lili.step_sizes,@object ; @__const._ZL30rocblas_trsm_small_left_deviceILi12ELi12ELb1EddPKdPdEv13rocblas_fill_18rocblas_operation_17rocblas_diagonal_iiT3_T4_lilT5_lili.step_sizes
	.p2align	2, 0x0
__const._ZL30rocblas_trsm_small_left_deviceILi12ELi12ELb1EddPKdPdEv13rocblas_fill_18rocblas_operation_17rocblas_diagonal_iiT3_T4_lilT5_lili.step_sizes:
	.long	12                              ; 0xc
	.long	8                               ; 0x8
	.long	1                               ; 0x1
	.size	__const._ZL30rocblas_trsm_small_left_deviceILi12ELi12ELb1EddPKdPdEv13rocblas_fill_18rocblas_operation_17rocblas_diagonal_iiT3_T4_lilT5_lili.step_sizes, 12

	.type	__const._ZL38rocblas_trsm_small_left_device_sharedBILi16ELi16ELb0EddPKdPdEv13rocblas_fill_18rocblas_operation_17rocblas_diagonal_iiT3_T4_lilT5_lili.step_sizes,@object ; @__const._ZL38rocblas_trsm_small_left_device_sharedBILi16ELi16ELb0EddPKdPdEv13rocblas_fill_18rocblas_operation_17rocblas_diagonal_iiT3_T4_lilT5_lili.step_sizes
	.p2align	2, 0x0
__const._ZL38rocblas_trsm_small_left_device_sharedBILi16ELi16ELb0EddPKdPdEv13rocblas_fill_18rocblas_operation_17rocblas_diagonal_iiT3_T4_lilT5_lili.step_sizes:
	.long	16                              ; 0x10
	.long	12                              ; 0xc
	.long	1                               ; 0x1
	.size	__const._ZL38rocblas_trsm_small_left_device_sharedBILi16ELi16ELb0EddPKdPdEv13rocblas_fill_18rocblas_operation_17rocblas_diagonal_iiT3_T4_lilT5_lili.step_sizes, 12

	.type	__const._ZL30rocblas_trsm_small_left_deviceILi16ELi16ELb0EddPKdPdEv13rocblas_fill_18rocblas_operation_17rocblas_diagonal_iiT3_T4_lilT5_lili.step_sizes,@object ; @__const._ZL30rocblas_trsm_small_left_deviceILi16ELi16ELb0EddPKdPdEv13rocblas_fill_18rocblas_operation_17rocblas_diagonal_iiT3_T4_lilT5_lili.step_sizes
	.p2align	2, 0x0
__const._ZL30rocblas_trsm_small_left_deviceILi16ELi16ELb0EddPKdPdEv13rocblas_fill_18rocblas_operation_17rocblas_diagonal_iiT3_T4_lilT5_lili.step_sizes:
	.long	16                              ; 0x10
	.long	12                              ; 0xc
	.long	1                               ; 0x1
	.size	__const._ZL30rocblas_trsm_small_left_deviceILi16ELi16ELb0EddPKdPdEv13rocblas_fill_18rocblas_operation_17rocblas_diagonal_iiT3_T4_lilT5_lili.step_sizes, 12

	.type	__const._ZL38rocblas_trsm_small_left_device_sharedBILi16ELi16ELb1EddPKdPdEv13rocblas_fill_18rocblas_operation_17rocblas_diagonal_iiT3_T4_lilT5_lili.step_sizes,@object ; @__const._ZL38rocblas_trsm_small_left_device_sharedBILi16ELi16ELb1EddPKdPdEv13rocblas_fill_18rocblas_operation_17rocblas_diagonal_iiT3_T4_lilT5_lili.step_sizes
	.p2align	2, 0x0
__const._ZL38rocblas_trsm_small_left_device_sharedBILi16ELi16ELb1EddPKdPdEv13rocblas_fill_18rocblas_operation_17rocblas_diagonal_iiT3_T4_lilT5_lili.step_sizes:
	.long	16                              ; 0x10
	.long	12                              ; 0xc
	.long	1                               ; 0x1
	.size	__const._ZL38rocblas_trsm_small_left_device_sharedBILi16ELi16ELb1EddPKdPdEv13rocblas_fill_18rocblas_operation_17rocblas_diagonal_iiT3_T4_lilT5_lili.step_sizes, 12

	.type	__const._ZL30rocblas_trsm_small_left_deviceILi16ELi16ELb1EddPKdPdEv13rocblas_fill_18rocblas_operation_17rocblas_diagonal_iiT3_T4_lilT5_lili.step_sizes,@object ; @__const._ZL30rocblas_trsm_small_left_deviceILi16ELi16ELb1EddPKdPdEv13rocblas_fill_18rocblas_operation_17rocblas_diagonal_iiT3_T4_lilT5_lili.step_sizes
	.p2align	2, 0x0
__const._ZL30rocblas_trsm_small_left_deviceILi16ELi16ELb1EddPKdPdEv13rocblas_fill_18rocblas_operation_17rocblas_diagonal_iiT3_T4_lilT5_lili.step_sizes:
	.long	16                              ; 0x10
	.long	12                              ; 0xc
	.long	1                               ; 0x1
	.size	__const._ZL30rocblas_trsm_small_left_deviceILi16ELi16ELb1EddPKdPdEv13rocblas_fill_18rocblas_operation_17rocblas_diagonal_iiT3_T4_lilT5_lili.step_sizes, 12

	.type	__const._ZL38rocblas_trsm_small_left_device_sharedBILi20ELi20ELb0EddPKdPdEv13rocblas_fill_18rocblas_operation_17rocblas_diagonal_iiT3_T4_lilT5_lili.step_sizes,@object ; @__const._ZL38rocblas_trsm_small_left_device_sharedBILi20ELi20ELb0EddPKdPdEv13rocblas_fill_18rocblas_operation_17rocblas_diagonal_iiT3_T4_lilT5_lili.step_sizes
	.p2align	2, 0x0
__const._ZL38rocblas_trsm_small_left_device_sharedBILi20ELi20ELb0EddPKdPdEv13rocblas_fill_18rocblas_operation_17rocblas_diagonal_iiT3_T4_lilT5_lili.step_sizes:
	.long	20                              ; 0x14
	.long	16                              ; 0x10
	.long	1                               ; 0x1
	.size	__const._ZL38rocblas_trsm_small_left_device_sharedBILi20ELi20ELb0EddPKdPdEv13rocblas_fill_18rocblas_operation_17rocblas_diagonal_iiT3_T4_lilT5_lili.step_sizes, 12

	.type	__const._ZL30rocblas_trsm_small_left_deviceILi20ELi20ELb0EddPKdPdEv13rocblas_fill_18rocblas_operation_17rocblas_diagonal_iiT3_T4_lilT5_lili.step_sizes,@object ; @__const._ZL30rocblas_trsm_small_left_deviceILi20ELi20ELb0EddPKdPdEv13rocblas_fill_18rocblas_operation_17rocblas_diagonal_iiT3_T4_lilT5_lili.step_sizes
	.p2align	2, 0x0
__const._ZL30rocblas_trsm_small_left_deviceILi20ELi20ELb0EddPKdPdEv13rocblas_fill_18rocblas_operation_17rocblas_diagonal_iiT3_T4_lilT5_lili.step_sizes:
	.long	20                              ; 0x14
	.long	16                              ; 0x10
	.long	1                               ; 0x1
	.size	__const._ZL30rocblas_trsm_small_left_deviceILi20ELi20ELb0EddPKdPdEv13rocblas_fill_18rocblas_operation_17rocblas_diagonal_iiT3_T4_lilT5_lili.step_sizes, 12

	.type	__const._ZL38rocblas_trsm_small_left_device_sharedBILi20ELi20ELb1EddPKdPdEv13rocblas_fill_18rocblas_operation_17rocblas_diagonal_iiT3_T4_lilT5_lili.step_sizes,@object ; @__const._ZL38rocblas_trsm_small_left_device_sharedBILi20ELi20ELb1EddPKdPdEv13rocblas_fill_18rocblas_operation_17rocblas_diagonal_iiT3_T4_lilT5_lili.step_sizes
	.p2align	2, 0x0
__const._ZL38rocblas_trsm_small_left_device_sharedBILi20ELi20ELb1EddPKdPdEv13rocblas_fill_18rocblas_operation_17rocblas_diagonal_iiT3_T4_lilT5_lili.step_sizes:
	.long	20                              ; 0x14
	.long	16                              ; 0x10
	.long	1                               ; 0x1
	.size	__const._ZL38rocblas_trsm_small_left_device_sharedBILi20ELi20ELb1EddPKdPdEv13rocblas_fill_18rocblas_operation_17rocblas_diagonal_iiT3_T4_lilT5_lili.step_sizes, 12

	.type	__const._ZL30rocblas_trsm_small_left_deviceILi20ELi20ELb1EddPKdPdEv13rocblas_fill_18rocblas_operation_17rocblas_diagonal_iiT3_T4_lilT5_lili.step_sizes,@object ; @__const._ZL30rocblas_trsm_small_left_deviceILi20ELi20ELb1EddPKdPdEv13rocblas_fill_18rocblas_operation_17rocblas_diagonal_iiT3_T4_lilT5_lili.step_sizes
	.p2align	2, 0x0
__const._ZL30rocblas_trsm_small_left_deviceILi20ELi20ELb1EddPKdPdEv13rocblas_fill_18rocblas_operation_17rocblas_diagonal_iiT3_T4_lilT5_lili.step_sizes:
	.long	20                              ; 0x14
	.long	16                              ; 0x10
	.long	1                               ; 0x1
	.size	__const._ZL30rocblas_trsm_small_left_deviceILi20ELi20ELb1EddPKdPdEv13rocblas_fill_18rocblas_operation_17rocblas_diagonal_iiT3_T4_lilT5_lili.step_sizes, 12

	.type	__const._ZL38rocblas_trsm_small_left_device_sharedBILi24ELi24ELb0EddPKdPdEv13rocblas_fill_18rocblas_operation_17rocblas_diagonal_iiT3_T4_lilT5_lili.step_sizes,@object ; @__const._ZL38rocblas_trsm_small_left_device_sharedBILi24ELi24ELb0EddPKdPdEv13rocblas_fill_18rocblas_operation_17rocblas_diagonal_iiT3_T4_lilT5_lili.step_sizes
	.p2align	2, 0x0
__const._ZL38rocblas_trsm_small_left_device_sharedBILi24ELi24ELb0EddPKdPdEv13rocblas_fill_18rocblas_operation_17rocblas_diagonal_iiT3_T4_lilT5_lili.step_sizes:
	.long	24                              ; 0x18
	.long	20                              ; 0x14
	.long	1                               ; 0x1
	.size	__const._ZL38rocblas_trsm_small_left_device_sharedBILi24ELi24ELb0EddPKdPdEv13rocblas_fill_18rocblas_operation_17rocblas_diagonal_iiT3_T4_lilT5_lili.step_sizes, 12

	.type	__const._ZL30rocblas_trsm_small_left_deviceILi24ELi24ELb0EddPKdPdEv13rocblas_fill_18rocblas_operation_17rocblas_diagonal_iiT3_T4_lilT5_lili.step_sizes,@object ; @__const._ZL30rocblas_trsm_small_left_deviceILi24ELi24ELb0EddPKdPdEv13rocblas_fill_18rocblas_operation_17rocblas_diagonal_iiT3_T4_lilT5_lili.step_sizes
	.p2align	2, 0x0
__const._ZL30rocblas_trsm_small_left_deviceILi24ELi24ELb0EddPKdPdEv13rocblas_fill_18rocblas_operation_17rocblas_diagonal_iiT3_T4_lilT5_lili.step_sizes:
	.long	24                              ; 0x18
	.long	20                              ; 0x14
	.long	1                               ; 0x1
	.size	__const._ZL30rocblas_trsm_small_left_deviceILi24ELi24ELb0EddPKdPdEv13rocblas_fill_18rocblas_operation_17rocblas_diagonal_iiT3_T4_lilT5_lili.step_sizes, 12

	.type	__const._ZL38rocblas_trsm_small_left_device_sharedBILi24ELi24ELb1EddPKdPdEv13rocblas_fill_18rocblas_operation_17rocblas_diagonal_iiT3_T4_lilT5_lili.step_sizes,@object ; @__const._ZL38rocblas_trsm_small_left_device_sharedBILi24ELi24ELb1EddPKdPdEv13rocblas_fill_18rocblas_operation_17rocblas_diagonal_iiT3_T4_lilT5_lili.step_sizes
	.p2align	2, 0x0
__const._ZL38rocblas_trsm_small_left_device_sharedBILi24ELi24ELb1EddPKdPdEv13rocblas_fill_18rocblas_operation_17rocblas_diagonal_iiT3_T4_lilT5_lili.step_sizes:
	.long	24                              ; 0x18
	.long	20                              ; 0x14
	.long	1                               ; 0x1
	.size	__const._ZL38rocblas_trsm_small_left_device_sharedBILi24ELi24ELb1EddPKdPdEv13rocblas_fill_18rocblas_operation_17rocblas_diagonal_iiT3_T4_lilT5_lili.step_sizes, 12

	.type	__const._ZL30rocblas_trsm_small_left_deviceILi24ELi24ELb1EddPKdPdEv13rocblas_fill_18rocblas_operation_17rocblas_diagonal_iiT3_T4_lilT5_lili.step_sizes,@object ; @__const._ZL30rocblas_trsm_small_left_deviceILi24ELi24ELb1EddPKdPdEv13rocblas_fill_18rocblas_operation_17rocblas_diagonal_iiT3_T4_lilT5_lili.step_sizes
	.p2align	2, 0x0
__const._ZL30rocblas_trsm_small_left_deviceILi24ELi24ELb1EddPKdPdEv13rocblas_fill_18rocblas_operation_17rocblas_diagonal_iiT3_T4_lilT5_lili.step_sizes:
	.long	24                              ; 0x18
	.long	20                              ; 0x14
	.long	1                               ; 0x1
	.size	__const._ZL30rocblas_trsm_small_left_deviceILi24ELi24ELb1EddPKdPdEv13rocblas_fill_18rocblas_operation_17rocblas_diagonal_iiT3_T4_lilT5_lili.step_sizes, 12

	.type	__const._ZL38rocblas_trsm_small_left_device_sharedBILi28ELi28ELb0EddPKdPdEv13rocblas_fill_18rocblas_operation_17rocblas_diagonal_iiT3_T4_lilT5_lili.step_sizes,@object ; @__const._ZL38rocblas_trsm_small_left_device_sharedBILi28ELi28ELb0EddPKdPdEv13rocblas_fill_18rocblas_operation_17rocblas_diagonal_iiT3_T4_lilT5_lili.step_sizes
	.p2align	2, 0x0
__const._ZL38rocblas_trsm_small_left_device_sharedBILi28ELi28ELb0EddPKdPdEv13rocblas_fill_18rocblas_operation_17rocblas_diagonal_iiT3_T4_lilT5_lili.step_sizes:
	.long	28                              ; 0x1c
	.long	24                              ; 0x18
	.long	1                               ; 0x1
	.size	__const._ZL38rocblas_trsm_small_left_device_sharedBILi28ELi28ELb0EddPKdPdEv13rocblas_fill_18rocblas_operation_17rocblas_diagonal_iiT3_T4_lilT5_lili.step_sizes, 12

	.type	__const._ZL30rocblas_trsm_small_left_deviceILi28ELi28ELb0EddPKdPdEv13rocblas_fill_18rocblas_operation_17rocblas_diagonal_iiT3_T4_lilT5_lili.step_sizes,@object ; @__const._ZL30rocblas_trsm_small_left_deviceILi28ELi28ELb0EddPKdPdEv13rocblas_fill_18rocblas_operation_17rocblas_diagonal_iiT3_T4_lilT5_lili.step_sizes
	.p2align	2, 0x0
__const._ZL30rocblas_trsm_small_left_deviceILi28ELi28ELb0EddPKdPdEv13rocblas_fill_18rocblas_operation_17rocblas_diagonal_iiT3_T4_lilT5_lili.step_sizes:
	.long	28                              ; 0x1c
	.long	24                              ; 0x18
	.long	1                               ; 0x1
	.size	__const._ZL30rocblas_trsm_small_left_deviceILi28ELi28ELb0EddPKdPdEv13rocblas_fill_18rocblas_operation_17rocblas_diagonal_iiT3_T4_lilT5_lili.step_sizes, 12

	.type	__const._ZL38rocblas_trsm_small_left_device_sharedBILi28ELi28ELb1EddPKdPdEv13rocblas_fill_18rocblas_operation_17rocblas_diagonal_iiT3_T4_lilT5_lili.step_sizes,@object ; @__const._ZL38rocblas_trsm_small_left_device_sharedBILi28ELi28ELb1EddPKdPdEv13rocblas_fill_18rocblas_operation_17rocblas_diagonal_iiT3_T4_lilT5_lili.step_sizes
	.p2align	2, 0x0
__const._ZL38rocblas_trsm_small_left_device_sharedBILi28ELi28ELb1EddPKdPdEv13rocblas_fill_18rocblas_operation_17rocblas_diagonal_iiT3_T4_lilT5_lili.step_sizes:
	.long	28                              ; 0x1c
	.long	24                              ; 0x18
	.long	1                               ; 0x1
	.size	__const._ZL38rocblas_trsm_small_left_device_sharedBILi28ELi28ELb1EddPKdPdEv13rocblas_fill_18rocblas_operation_17rocblas_diagonal_iiT3_T4_lilT5_lili.step_sizes, 12

	.type	__const._ZL30rocblas_trsm_small_left_deviceILi28ELi28ELb1EddPKdPdEv13rocblas_fill_18rocblas_operation_17rocblas_diagonal_iiT3_T4_lilT5_lili.step_sizes,@object ; @__const._ZL30rocblas_trsm_small_left_deviceILi28ELi28ELb1EddPKdPdEv13rocblas_fill_18rocblas_operation_17rocblas_diagonal_iiT3_T4_lilT5_lili.step_sizes
	.p2align	2, 0x0
__const._ZL30rocblas_trsm_small_left_deviceILi28ELi28ELb1EddPKdPdEv13rocblas_fill_18rocblas_operation_17rocblas_diagonal_iiT3_T4_lilT5_lili.step_sizes:
	.long	28                              ; 0x1c
	.long	24                              ; 0x18
	.long	1                               ; 0x1
	.size	__const._ZL30rocblas_trsm_small_left_deviceILi28ELi28ELb1EddPKdPdEv13rocblas_fill_18rocblas_operation_17rocblas_diagonal_iiT3_T4_lilT5_lili.step_sizes, 12

	.type	__const._ZL38rocblas_trsm_small_left_device_sharedBILi32ELi32ELb0EddPKdPdEv13rocblas_fill_18rocblas_operation_17rocblas_diagonal_iiT3_T4_lilT5_lili.step_sizes,@object ; @__const._ZL38rocblas_trsm_small_left_device_sharedBILi32ELi32ELb0EddPKdPdEv13rocblas_fill_18rocblas_operation_17rocblas_diagonal_iiT3_T4_lilT5_lili.step_sizes
	.p2align	2, 0x0
__const._ZL38rocblas_trsm_small_left_device_sharedBILi32ELi32ELb0EddPKdPdEv13rocblas_fill_18rocblas_operation_17rocblas_diagonal_iiT3_T4_lilT5_lili.step_sizes:
	.long	32                              ; 0x20
	.long	28                              ; 0x1c
	.long	1                               ; 0x1
	.size	__const._ZL38rocblas_trsm_small_left_device_sharedBILi32ELi32ELb0EddPKdPdEv13rocblas_fill_18rocblas_operation_17rocblas_diagonal_iiT3_T4_lilT5_lili.step_sizes, 12

	.type	__const._ZL30rocblas_trsm_small_left_deviceILi32ELi32ELb0EddPKdPdEv13rocblas_fill_18rocblas_operation_17rocblas_diagonal_iiT3_T4_lilT5_lili.step_sizes,@object ; @__const._ZL30rocblas_trsm_small_left_deviceILi32ELi32ELb0EddPKdPdEv13rocblas_fill_18rocblas_operation_17rocblas_diagonal_iiT3_T4_lilT5_lili.step_sizes
	.p2align	2, 0x0
__const._ZL30rocblas_trsm_small_left_deviceILi32ELi32ELb0EddPKdPdEv13rocblas_fill_18rocblas_operation_17rocblas_diagonal_iiT3_T4_lilT5_lili.step_sizes:
	.long	32                              ; 0x20
	.long	28                              ; 0x1c
	.long	1                               ; 0x1
	.size	__const._ZL30rocblas_trsm_small_left_deviceILi32ELi32ELb0EddPKdPdEv13rocblas_fill_18rocblas_operation_17rocblas_diagonal_iiT3_T4_lilT5_lili.step_sizes, 12

	.type	__const._ZL38rocblas_trsm_small_left_device_sharedBILi32ELi32ELb1EddPKdPdEv13rocblas_fill_18rocblas_operation_17rocblas_diagonal_iiT3_T4_lilT5_lili.step_sizes,@object ; @__const._ZL38rocblas_trsm_small_left_device_sharedBILi32ELi32ELb1EddPKdPdEv13rocblas_fill_18rocblas_operation_17rocblas_diagonal_iiT3_T4_lilT5_lili.step_sizes
	.p2align	2, 0x0
__const._ZL38rocblas_trsm_small_left_device_sharedBILi32ELi32ELb1EddPKdPdEv13rocblas_fill_18rocblas_operation_17rocblas_diagonal_iiT3_T4_lilT5_lili.step_sizes:
	.long	32                              ; 0x20
	.long	28                              ; 0x1c
	.long	1                               ; 0x1
	.size	__const._ZL38rocblas_trsm_small_left_device_sharedBILi32ELi32ELb1EddPKdPdEv13rocblas_fill_18rocblas_operation_17rocblas_diagonal_iiT3_T4_lilT5_lili.step_sizes, 12

	.type	__const._ZL30rocblas_trsm_small_left_deviceILi32ELi32ELb1EddPKdPdEv13rocblas_fill_18rocblas_operation_17rocblas_diagonal_iiT3_T4_lilT5_lili.step_sizes,@object ; @__const._ZL30rocblas_trsm_small_left_deviceILi32ELi32ELb1EddPKdPdEv13rocblas_fill_18rocblas_operation_17rocblas_diagonal_iiT3_T4_lilT5_lili.step_sizes
	.p2align	2, 0x0
__const._ZL30rocblas_trsm_small_left_deviceILi32ELi32ELb1EddPKdPdEv13rocblas_fill_18rocblas_operation_17rocblas_diagonal_iiT3_T4_lilT5_lili.step_sizes:
	.long	32                              ; 0x20
	.long	28                              ; 0x1c
	.long	1                               ; 0x1
	.size	__const._ZL30rocblas_trsm_small_left_deviceILi32ELi32ELb1EddPKdPdEv13rocblas_fill_18rocblas_operation_17rocblas_diagonal_iiT3_T4_lilT5_lili.step_sizes, 12

	.type	__const._ZL38rocblas_trsm_small_left_device_sharedBILi64ELi32ELb0EddPKdPdEv13rocblas_fill_18rocblas_operation_17rocblas_diagonal_iiT3_T4_lilT5_lili.step_sizes,@object ; @__const._ZL38rocblas_trsm_small_left_device_sharedBILi64ELi32ELb0EddPKdPdEv13rocblas_fill_18rocblas_operation_17rocblas_diagonal_iiT3_T4_lilT5_lili.step_sizes
	.p2align	2, 0x0
__const._ZL38rocblas_trsm_small_left_device_sharedBILi64ELi32ELb0EddPKdPdEv13rocblas_fill_18rocblas_operation_17rocblas_diagonal_iiT3_T4_lilT5_lili.step_sizes:
	.long	32                              ; 0x20
	.long	4                               ; 0x4
	.long	1                               ; 0x1
	.size	__const._ZL38rocblas_trsm_small_left_device_sharedBILi64ELi32ELb0EddPKdPdEv13rocblas_fill_18rocblas_operation_17rocblas_diagonal_iiT3_T4_lilT5_lili.step_sizes, 12

	.type	__const._ZL30rocblas_trsm_small_left_deviceILi64ELi32ELb0EddPKdPdEv13rocblas_fill_18rocblas_operation_17rocblas_diagonal_iiT3_T4_lilT5_lili.step_sizes,@object ; @__const._ZL30rocblas_trsm_small_left_deviceILi64ELi32ELb0EddPKdPdEv13rocblas_fill_18rocblas_operation_17rocblas_diagonal_iiT3_T4_lilT5_lili.step_sizes
	.p2align	2, 0x0
__const._ZL30rocblas_trsm_small_left_deviceILi64ELi32ELb0EddPKdPdEv13rocblas_fill_18rocblas_operation_17rocblas_diagonal_iiT3_T4_lilT5_lili.step_sizes:
	.long	32                              ; 0x20
	.long	4                               ; 0x4
	.long	1                               ; 0x1
	.size	__const._ZL30rocblas_trsm_small_left_deviceILi64ELi32ELb0EddPKdPdEv13rocblas_fill_18rocblas_operation_17rocblas_diagonal_iiT3_T4_lilT5_lili.step_sizes, 12

	.type	__const._ZL38rocblas_trsm_small_left_device_sharedBILi64ELi32ELb1EddPKdPdEv13rocblas_fill_18rocblas_operation_17rocblas_diagonal_iiT3_T4_lilT5_lili.step_sizes,@object ; @__const._ZL38rocblas_trsm_small_left_device_sharedBILi64ELi32ELb1EddPKdPdEv13rocblas_fill_18rocblas_operation_17rocblas_diagonal_iiT3_T4_lilT5_lili.step_sizes
	.p2align	2, 0x0
__const._ZL38rocblas_trsm_small_left_device_sharedBILi64ELi32ELb1EddPKdPdEv13rocblas_fill_18rocblas_operation_17rocblas_diagonal_iiT3_T4_lilT5_lili.step_sizes:
	.long	32                              ; 0x20
	.long	4                               ; 0x4
	.long	1                               ; 0x1
	.size	__const._ZL38rocblas_trsm_small_left_device_sharedBILi64ELi32ELb1EddPKdPdEv13rocblas_fill_18rocblas_operation_17rocblas_diagonal_iiT3_T4_lilT5_lili.step_sizes, 12

	.type	__const._ZL30rocblas_trsm_small_left_deviceILi64ELi32ELb1EddPKdPdEv13rocblas_fill_18rocblas_operation_17rocblas_diagonal_iiT3_T4_lilT5_lili.step_sizes,@object ; @__const._ZL30rocblas_trsm_small_left_deviceILi64ELi32ELb1EddPKdPdEv13rocblas_fill_18rocblas_operation_17rocblas_diagonal_iiT3_T4_lilT5_lili.step_sizes
	.p2align	2, 0x0
__const._ZL30rocblas_trsm_small_left_deviceILi64ELi32ELb1EddPKdPdEv13rocblas_fill_18rocblas_operation_17rocblas_diagonal_iiT3_T4_lilT5_lili.step_sizes:
	.long	32                              ; 0x20
	.long	4                               ; 0x4
	.long	1                               ; 0x1
	.size	__const._ZL30rocblas_trsm_small_left_deviceILi64ELi32ELb1EddPKdPdEv13rocblas_fill_18rocblas_operation_17rocblas_diagonal_iiT3_T4_lilT5_lili.step_sizes, 12

	.type	__const._ZL38rocblas_trsm_small_left_device_sharedBILi4ELi4ELb0E19rocblas_complex_numIfES1_PKS1_PS1_Ev13rocblas_fill_18rocblas_operation_17rocblas_diagonal_iiT3_T4_lilT5_lili.step_sizes,@object ; @__const._ZL38rocblas_trsm_small_left_device_sharedBILi4ELi4ELb0E19rocblas_complex_numIfES1_PKS1_PS1_Ev13rocblas_fill_18rocblas_operation_17rocblas_diagonal_iiT3_T4_lilT5_lili.step_sizes
	.p2align	2, 0x0
__const._ZL38rocblas_trsm_small_left_device_sharedBILi4ELi4ELb0E19rocblas_complex_numIfES1_PKS1_PS1_Ev13rocblas_fill_18rocblas_operation_17rocblas_diagonal_iiT3_T4_lilT5_lili.step_sizes:
	.long	4                               ; 0x4
	.long	1                               ; 0x1
	;; [unrolled: 1-line block ×3, first 2 shown]
	.size	__const._ZL38rocblas_trsm_small_left_device_sharedBILi4ELi4ELb0E19rocblas_complex_numIfES1_PKS1_PS1_Ev13rocblas_fill_18rocblas_operation_17rocblas_diagonal_iiT3_T4_lilT5_lili.step_sizes, 12

	.type	__const._ZL30rocblas_trsm_small_left_deviceILi4ELi4ELb0E19rocblas_complex_numIfES1_PKS1_PS1_Ev13rocblas_fill_18rocblas_operation_17rocblas_diagonal_iiT3_T4_lilT5_lili.step_sizes,@object ; @__const._ZL30rocblas_trsm_small_left_deviceILi4ELi4ELb0E19rocblas_complex_numIfES1_PKS1_PS1_Ev13rocblas_fill_18rocblas_operation_17rocblas_diagonal_iiT3_T4_lilT5_lili.step_sizes
	.p2align	2, 0x0
__const._ZL30rocblas_trsm_small_left_deviceILi4ELi4ELb0E19rocblas_complex_numIfES1_PKS1_PS1_Ev13rocblas_fill_18rocblas_operation_17rocblas_diagonal_iiT3_T4_lilT5_lili.step_sizes:
	.long	4                               ; 0x4
	.long	1                               ; 0x1
	;; [unrolled: 1-line block ×3, first 2 shown]
	.size	__const._ZL30rocblas_trsm_small_left_deviceILi4ELi4ELb0E19rocblas_complex_numIfES1_PKS1_PS1_Ev13rocblas_fill_18rocblas_operation_17rocblas_diagonal_iiT3_T4_lilT5_lili.step_sizes, 12

	.type	__const._ZL38rocblas_trsm_small_left_device_sharedBILi4ELi4ELb1E19rocblas_complex_numIfES1_PKS1_PS1_Ev13rocblas_fill_18rocblas_operation_17rocblas_diagonal_iiT3_T4_lilT5_lili.step_sizes,@object ; @__const._ZL38rocblas_trsm_small_left_device_sharedBILi4ELi4ELb1E19rocblas_complex_numIfES1_PKS1_PS1_Ev13rocblas_fill_18rocblas_operation_17rocblas_diagonal_iiT3_T4_lilT5_lili.step_sizes
	.p2align	2, 0x0
__const._ZL38rocblas_trsm_small_left_device_sharedBILi4ELi4ELb1E19rocblas_complex_numIfES1_PKS1_PS1_Ev13rocblas_fill_18rocblas_operation_17rocblas_diagonal_iiT3_T4_lilT5_lili.step_sizes:
	.long	4                               ; 0x4
	.long	1                               ; 0x1
	.long	1                               ; 0x1
	.size	__const._ZL38rocblas_trsm_small_left_device_sharedBILi4ELi4ELb1E19rocblas_complex_numIfES1_PKS1_PS1_Ev13rocblas_fill_18rocblas_operation_17rocblas_diagonal_iiT3_T4_lilT5_lili.step_sizes, 12

	.type	__const._ZL30rocblas_trsm_small_left_deviceILi4ELi4ELb1E19rocblas_complex_numIfES1_PKS1_PS1_Ev13rocblas_fill_18rocblas_operation_17rocblas_diagonal_iiT3_T4_lilT5_lili.step_sizes,@object ; @__const._ZL30rocblas_trsm_small_left_deviceILi4ELi4ELb1E19rocblas_complex_numIfES1_PKS1_PS1_Ev13rocblas_fill_18rocblas_operation_17rocblas_diagonal_iiT3_T4_lilT5_lili.step_sizes
	.p2align	2, 0x0
__const._ZL30rocblas_trsm_small_left_deviceILi4ELi4ELb1E19rocblas_complex_numIfES1_PKS1_PS1_Ev13rocblas_fill_18rocblas_operation_17rocblas_diagonal_iiT3_T4_lilT5_lili.step_sizes:
	.long	4                               ; 0x4
	.long	1                               ; 0x1
	;; [unrolled: 1-line block ×3, first 2 shown]
	.size	__const._ZL30rocblas_trsm_small_left_deviceILi4ELi4ELb1E19rocblas_complex_numIfES1_PKS1_PS1_Ev13rocblas_fill_18rocblas_operation_17rocblas_diagonal_iiT3_T4_lilT5_lili.step_sizes, 12

	.type	__const._ZL38rocblas_trsm_small_left_device_sharedBILi8ELi8ELb0E19rocblas_complex_numIfES1_PKS1_PS1_Ev13rocblas_fill_18rocblas_operation_17rocblas_diagonal_iiT3_T4_lilT5_lili.step_sizes,@object ; @__const._ZL38rocblas_trsm_small_left_device_sharedBILi8ELi8ELb0E19rocblas_complex_numIfES1_PKS1_PS1_Ev13rocblas_fill_18rocblas_operation_17rocblas_diagonal_iiT3_T4_lilT5_lili.step_sizes
	.p2align	2, 0x0
__const._ZL38rocblas_trsm_small_left_device_sharedBILi8ELi8ELb0E19rocblas_complex_numIfES1_PKS1_PS1_Ev13rocblas_fill_18rocblas_operation_17rocblas_diagonal_iiT3_T4_lilT5_lili.step_sizes:
	.long	8                               ; 0x8
	.long	4                               ; 0x4
	;; [unrolled: 1-line block ×3, first 2 shown]
	.size	__const._ZL38rocblas_trsm_small_left_device_sharedBILi8ELi8ELb0E19rocblas_complex_numIfES1_PKS1_PS1_Ev13rocblas_fill_18rocblas_operation_17rocblas_diagonal_iiT3_T4_lilT5_lili.step_sizes, 12

	.type	__const._ZL30rocblas_trsm_small_left_deviceILi8ELi8ELb0E19rocblas_complex_numIfES1_PKS1_PS1_Ev13rocblas_fill_18rocblas_operation_17rocblas_diagonal_iiT3_T4_lilT5_lili.step_sizes,@object ; @__const._ZL30rocblas_trsm_small_left_deviceILi8ELi8ELb0E19rocblas_complex_numIfES1_PKS1_PS1_Ev13rocblas_fill_18rocblas_operation_17rocblas_diagonal_iiT3_T4_lilT5_lili.step_sizes
	.p2align	2, 0x0
__const._ZL30rocblas_trsm_small_left_deviceILi8ELi8ELb0E19rocblas_complex_numIfES1_PKS1_PS1_Ev13rocblas_fill_18rocblas_operation_17rocblas_diagonal_iiT3_T4_lilT5_lili.step_sizes:
	.long	8                               ; 0x8
	.long	4                               ; 0x4
	.long	1                               ; 0x1
	.size	__const._ZL30rocblas_trsm_small_left_deviceILi8ELi8ELb0E19rocblas_complex_numIfES1_PKS1_PS1_Ev13rocblas_fill_18rocblas_operation_17rocblas_diagonal_iiT3_T4_lilT5_lili.step_sizes, 12

	.type	__const._ZL38rocblas_trsm_small_left_device_sharedBILi8ELi8ELb1E19rocblas_complex_numIfES1_PKS1_PS1_Ev13rocblas_fill_18rocblas_operation_17rocblas_diagonal_iiT3_T4_lilT5_lili.step_sizes,@object ; @__const._ZL38rocblas_trsm_small_left_device_sharedBILi8ELi8ELb1E19rocblas_complex_numIfES1_PKS1_PS1_Ev13rocblas_fill_18rocblas_operation_17rocblas_diagonal_iiT3_T4_lilT5_lili.step_sizes
	.p2align	2, 0x0
__const._ZL38rocblas_trsm_small_left_device_sharedBILi8ELi8ELb1E19rocblas_complex_numIfES1_PKS1_PS1_Ev13rocblas_fill_18rocblas_operation_17rocblas_diagonal_iiT3_T4_lilT5_lili.step_sizes:
	.long	8                               ; 0x8
	.long	4                               ; 0x4
	;; [unrolled: 1-line block ×3, first 2 shown]
	.size	__const._ZL38rocblas_trsm_small_left_device_sharedBILi8ELi8ELb1E19rocblas_complex_numIfES1_PKS1_PS1_Ev13rocblas_fill_18rocblas_operation_17rocblas_diagonal_iiT3_T4_lilT5_lili.step_sizes, 12

	.type	__const._ZL30rocblas_trsm_small_left_deviceILi8ELi8ELb1E19rocblas_complex_numIfES1_PKS1_PS1_Ev13rocblas_fill_18rocblas_operation_17rocblas_diagonal_iiT3_T4_lilT5_lili.step_sizes,@object ; @__const._ZL30rocblas_trsm_small_left_deviceILi8ELi8ELb1E19rocblas_complex_numIfES1_PKS1_PS1_Ev13rocblas_fill_18rocblas_operation_17rocblas_diagonal_iiT3_T4_lilT5_lili.step_sizes
	.p2align	2, 0x0
__const._ZL30rocblas_trsm_small_left_deviceILi8ELi8ELb1E19rocblas_complex_numIfES1_PKS1_PS1_Ev13rocblas_fill_18rocblas_operation_17rocblas_diagonal_iiT3_T4_lilT5_lili.step_sizes:
	.long	8                               ; 0x8
	.long	4                               ; 0x4
	;; [unrolled: 1-line block ×3, first 2 shown]
	.size	__const._ZL30rocblas_trsm_small_left_deviceILi8ELi8ELb1E19rocblas_complex_numIfES1_PKS1_PS1_Ev13rocblas_fill_18rocblas_operation_17rocblas_diagonal_iiT3_T4_lilT5_lili.step_sizes, 12

	.type	__const._ZL38rocblas_trsm_small_left_device_sharedBILi12ELi12ELb0E19rocblas_complex_numIfES1_PKS1_PS1_Ev13rocblas_fill_18rocblas_operation_17rocblas_diagonal_iiT3_T4_lilT5_lili.step_sizes,@object ; @__const._ZL38rocblas_trsm_small_left_device_sharedBILi12ELi12ELb0E19rocblas_complex_numIfES1_PKS1_PS1_Ev13rocblas_fill_18rocblas_operation_17rocblas_diagonal_iiT3_T4_lilT5_lili.step_sizes
	.p2align	2, 0x0
__const._ZL38rocblas_trsm_small_left_device_sharedBILi12ELi12ELb0E19rocblas_complex_numIfES1_PKS1_PS1_Ev13rocblas_fill_18rocblas_operation_17rocblas_diagonal_iiT3_T4_lilT5_lili.step_sizes:
	.long	12                              ; 0xc
	.long	8                               ; 0x8
	.long	1                               ; 0x1
	.size	__const._ZL38rocblas_trsm_small_left_device_sharedBILi12ELi12ELb0E19rocblas_complex_numIfES1_PKS1_PS1_Ev13rocblas_fill_18rocblas_operation_17rocblas_diagonal_iiT3_T4_lilT5_lili.step_sizes, 12

	.type	__const._ZL30rocblas_trsm_small_left_deviceILi12ELi12ELb0E19rocblas_complex_numIfES1_PKS1_PS1_Ev13rocblas_fill_18rocblas_operation_17rocblas_diagonal_iiT3_T4_lilT5_lili.step_sizes,@object ; @__const._ZL30rocblas_trsm_small_left_deviceILi12ELi12ELb0E19rocblas_complex_numIfES1_PKS1_PS1_Ev13rocblas_fill_18rocblas_operation_17rocblas_diagonal_iiT3_T4_lilT5_lili.step_sizes
	.p2align	2, 0x0
__const._ZL30rocblas_trsm_small_left_deviceILi12ELi12ELb0E19rocblas_complex_numIfES1_PKS1_PS1_Ev13rocblas_fill_18rocblas_operation_17rocblas_diagonal_iiT3_T4_lilT5_lili.step_sizes:
	.long	12                              ; 0xc
	.long	8                               ; 0x8
	.long	1                               ; 0x1
	.size	__const._ZL30rocblas_trsm_small_left_deviceILi12ELi12ELb0E19rocblas_complex_numIfES1_PKS1_PS1_Ev13rocblas_fill_18rocblas_operation_17rocblas_diagonal_iiT3_T4_lilT5_lili.step_sizes, 12

	.type	__const._ZL38rocblas_trsm_small_left_device_sharedBILi12ELi12ELb1E19rocblas_complex_numIfES1_PKS1_PS1_Ev13rocblas_fill_18rocblas_operation_17rocblas_diagonal_iiT3_T4_lilT5_lili.step_sizes,@object ; @__const._ZL38rocblas_trsm_small_left_device_sharedBILi12ELi12ELb1E19rocblas_complex_numIfES1_PKS1_PS1_Ev13rocblas_fill_18rocblas_operation_17rocblas_diagonal_iiT3_T4_lilT5_lili.step_sizes
	.p2align	2, 0x0
__const._ZL38rocblas_trsm_small_left_device_sharedBILi12ELi12ELb1E19rocblas_complex_numIfES1_PKS1_PS1_Ev13rocblas_fill_18rocblas_operation_17rocblas_diagonal_iiT3_T4_lilT5_lili.step_sizes:
	.long	12                              ; 0xc
	.long	8                               ; 0x8
	.long	1                               ; 0x1
	.size	__const._ZL38rocblas_trsm_small_left_device_sharedBILi12ELi12ELb1E19rocblas_complex_numIfES1_PKS1_PS1_Ev13rocblas_fill_18rocblas_operation_17rocblas_diagonal_iiT3_T4_lilT5_lili.step_sizes, 12

	.type	__const._ZL30rocblas_trsm_small_left_deviceILi12ELi12ELb1E19rocblas_complex_numIfES1_PKS1_PS1_Ev13rocblas_fill_18rocblas_operation_17rocblas_diagonal_iiT3_T4_lilT5_lili.step_sizes,@object ; @__const._ZL30rocblas_trsm_small_left_deviceILi12ELi12ELb1E19rocblas_complex_numIfES1_PKS1_PS1_Ev13rocblas_fill_18rocblas_operation_17rocblas_diagonal_iiT3_T4_lilT5_lili.step_sizes
	.p2align	2, 0x0
__const._ZL30rocblas_trsm_small_left_deviceILi12ELi12ELb1E19rocblas_complex_numIfES1_PKS1_PS1_Ev13rocblas_fill_18rocblas_operation_17rocblas_diagonal_iiT3_T4_lilT5_lili.step_sizes:
	.long	12                              ; 0xc
	.long	8                               ; 0x8
	.long	1                               ; 0x1
	.size	__const._ZL30rocblas_trsm_small_left_deviceILi12ELi12ELb1E19rocblas_complex_numIfES1_PKS1_PS1_Ev13rocblas_fill_18rocblas_operation_17rocblas_diagonal_iiT3_T4_lilT5_lili.step_sizes, 12

	.type	__const._ZL38rocblas_trsm_small_left_device_sharedBILi16ELi16ELb0E19rocblas_complex_numIfES1_PKS1_PS1_Ev13rocblas_fill_18rocblas_operation_17rocblas_diagonal_iiT3_T4_lilT5_lili.step_sizes,@object ; @__const._ZL38rocblas_trsm_small_left_device_sharedBILi16ELi16ELb0E19rocblas_complex_numIfES1_PKS1_PS1_Ev13rocblas_fill_18rocblas_operation_17rocblas_diagonal_iiT3_T4_lilT5_lili.step_sizes
	.p2align	2, 0x0
__const._ZL38rocblas_trsm_small_left_device_sharedBILi16ELi16ELb0E19rocblas_complex_numIfES1_PKS1_PS1_Ev13rocblas_fill_18rocblas_operation_17rocblas_diagonal_iiT3_T4_lilT5_lili.step_sizes:
	.long	16                              ; 0x10
	.long	12                              ; 0xc
	.long	1                               ; 0x1
	.size	__const._ZL38rocblas_trsm_small_left_device_sharedBILi16ELi16ELb0E19rocblas_complex_numIfES1_PKS1_PS1_Ev13rocblas_fill_18rocblas_operation_17rocblas_diagonal_iiT3_T4_lilT5_lili.step_sizes, 12

	.type	__const._ZL30rocblas_trsm_small_left_deviceILi16ELi16ELb0E19rocblas_complex_numIfES1_PKS1_PS1_Ev13rocblas_fill_18rocblas_operation_17rocblas_diagonal_iiT3_T4_lilT5_lili.step_sizes,@object ; @__const._ZL30rocblas_trsm_small_left_deviceILi16ELi16ELb0E19rocblas_complex_numIfES1_PKS1_PS1_Ev13rocblas_fill_18rocblas_operation_17rocblas_diagonal_iiT3_T4_lilT5_lili.step_sizes
	.p2align	2, 0x0
__const._ZL30rocblas_trsm_small_left_deviceILi16ELi16ELb0E19rocblas_complex_numIfES1_PKS1_PS1_Ev13rocblas_fill_18rocblas_operation_17rocblas_diagonal_iiT3_T4_lilT5_lili.step_sizes:
	.long	16                              ; 0x10
	.long	12                              ; 0xc
	.long	1                               ; 0x1
	.size	__const._ZL30rocblas_trsm_small_left_deviceILi16ELi16ELb0E19rocblas_complex_numIfES1_PKS1_PS1_Ev13rocblas_fill_18rocblas_operation_17rocblas_diagonal_iiT3_T4_lilT5_lili.step_sizes, 12

	.type	__const._ZL38rocblas_trsm_small_left_device_sharedBILi16ELi16ELb1E19rocblas_complex_numIfES1_PKS1_PS1_Ev13rocblas_fill_18rocblas_operation_17rocblas_diagonal_iiT3_T4_lilT5_lili.step_sizes,@object ; @__const._ZL38rocblas_trsm_small_left_device_sharedBILi16ELi16ELb1E19rocblas_complex_numIfES1_PKS1_PS1_Ev13rocblas_fill_18rocblas_operation_17rocblas_diagonal_iiT3_T4_lilT5_lili.step_sizes
	.p2align	2, 0x0
__const._ZL38rocblas_trsm_small_left_device_sharedBILi16ELi16ELb1E19rocblas_complex_numIfES1_PKS1_PS1_Ev13rocblas_fill_18rocblas_operation_17rocblas_diagonal_iiT3_T4_lilT5_lili.step_sizes:
	.long	16                              ; 0x10
	.long	12                              ; 0xc
	.long	1                               ; 0x1
	.size	__const._ZL38rocblas_trsm_small_left_device_sharedBILi16ELi16ELb1E19rocblas_complex_numIfES1_PKS1_PS1_Ev13rocblas_fill_18rocblas_operation_17rocblas_diagonal_iiT3_T4_lilT5_lili.step_sizes, 12

	.type	__const._ZL30rocblas_trsm_small_left_deviceILi16ELi16ELb1E19rocblas_complex_numIfES1_PKS1_PS1_Ev13rocblas_fill_18rocblas_operation_17rocblas_diagonal_iiT3_T4_lilT5_lili.step_sizes,@object ; @__const._ZL30rocblas_trsm_small_left_deviceILi16ELi16ELb1E19rocblas_complex_numIfES1_PKS1_PS1_Ev13rocblas_fill_18rocblas_operation_17rocblas_diagonal_iiT3_T4_lilT5_lili.step_sizes
	.p2align	2, 0x0
__const._ZL30rocblas_trsm_small_left_deviceILi16ELi16ELb1E19rocblas_complex_numIfES1_PKS1_PS1_Ev13rocblas_fill_18rocblas_operation_17rocblas_diagonal_iiT3_T4_lilT5_lili.step_sizes:
	.long	16                              ; 0x10
	.long	12                              ; 0xc
	.long	1                               ; 0x1
	.size	__const._ZL30rocblas_trsm_small_left_deviceILi16ELi16ELb1E19rocblas_complex_numIfES1_PKS1_PS1_Ev13rocblas_fill_18rocblas_operation_17rocblas_diagonal_iiT3_T4_lilT5_lili.step_sizes, 12

	.type	__const._ZL38rocblas_trsm_small_left_device_sharedBILi20ELi20ELb0E19rocblas_complex_numIfES1_PKS1_PS1_Ev13rocblas_fill_18rocblas_operation_17rocblas_diagonal_iiT3_T4_lilT5_lili.step_sizes,@object ; @__const._ZL38rocblas_trsm_small_left_device_sharedBILi20ELi20ELb0E19rocblas_complex_numIfES1_PKS1_PS1_Ev13rocblas_fill_18rocblas_operation_17rocblas_diagonal_iiT3_T4_lilT5_lili.step_sizes
	.p2align	2, 0x0
__const._ZL38rocblas_trsm_small_left_device_sharedBILi20ELi20ELb0E19rocblas_complex_numIfES1_PKS1_PS1_Ev13rocblas_fill_18rocblas_operation_17rocblas_diagonal_iiT3_T4_lilT5_lili.step_sizes:
	.long	20                              ; 0x14
	.long	16                              ; 0x10
	.long	1                               ; 0x1
	.size	__const._ZL38rocblas_trsm_small_left_device_sharedBILi20ELi20ELb0E19rocblas_complex_numIfES1_PKS1_PS1_Ev13rocblas_fill_18rocblas_operation_17rocblas_diagonal_iiT3_T4_lilT5_lili.step_sizes, 12

	.type	__const._ZL30rocblas_trsm_small_left_deviceILi20ELi20ELb0E19rocblas_complex_numIfES1_PKS1_PS1_Ev13rocblas_fill_18rocblas_operation_17rocblas_diagonal_iiT3_T4_lilT5_lili.step_sizes,@object ; @__const._ZL30rocblas_trsm_small_left_deviceILi20ELi20ELb0E19rocblas_complex_numIfES1_PKS1_PS1_Ev13rocblas_fill_18rocblas_operation_17rocblas_diagonal_iiT3_T4_lilT5_lili.step_sizes
	.p2align	2, 0x0
__const._ZL30rocblas_trsm_small_left_deviceILi20ELi20ELb0E19rocblas_complex_numIfES1_PKS1_PS1_Ev13rocblas_fill_18rocblas_operation_17rocblas_diagonal_iiT3_T4_lilT5_lili.step_sizes:
	.long	20                              ; 0x14
	.long	16                              ; 0x10
	.long	1                               ; 0x1
	.size	__const._ZL30rocblas_trsm_small_left_deviceILi20ELi20ELb0E19rocblas_complex_numIfES1_PKS1_PS1_Ev13rocblas_fill_18rocblas_operation_17rocblas_diagonal_iiT3_T4_lilT5_lili.step_sizes, 12

	.type	__const._ZL38rocblas_trsm_small_left_device_sharedBILi20ELi20ELb1E19rocblas_complex_numIfES1_PKS1_PS1_Ev13rocblas_fill_18rocblas_operation_17rocblas_diagonal_iiT3_T4_lilT5_lili.step_sizes,@object ; @__const._ZL38rocblas_trsm_small_left_device_sharedBILi20ELi20ELb1E19rocblas_complex_numIfES1_PKS1_PS1_Ev13rocblas_fill_18rocblas_operation_17rocblas_diagonal_iiT3_T4_lilT5_lili.step_sizes
	.p2align	2, 0x0
__const._ZL38rocblas_trsm_small_left_device_sharedBILi20ELi20ELb1E19rocblas_complex_numIfES1_PKS1_PS1_Ev13rocblas_fill_18rocblas_operation_17rocblas_diagonal_iiT3_T4_lilT5_lili.step_sizes:
	.long	20                              ; 0x14
	.long	16                              ; 0x10
	.long	1                               ; 0x1
	.size	__const._ZL38rocblas_trsm_small_left_device_sharedBILi20ELi20ELb1E19rocblas_complex_numIfES1_PKS1_PS1_Ev13rocblas_fill_18rocblas_operation_17rocblas_diagonal_iiT3_T4_lilT5_lili.step_sizes, 12

	.type	__const._ZL30rocblas_trsm_small_left_deviceILi20ELi20ELb1E19rocblas_complex_numIfES1_PKS1_PS1_Ev13rocblas_fill_18rocblas_operation_17rocblas_diagonal_iiT3_T4_lilT5_lili.step_sizes,@object ; @__const._ZL30rocblas_trsm_small_left_deviceILi20ELi20ELb1E19rocblas_complex_numIfES1_PKS1_PS1_Ev13rocblas_fill_18rocblas_operation_17rocblas_diagonal_iiT3_T4_lilT5_lili.step_sizes
	.p2align	2, 0x0
__const._ZL30rocblas_trsm_small_left_deviceILi20ELi20ELb1E19rocblas_complex_numIfES1_PKS1_PS1_Ev13rocblas_fill_18rocblas_operation_17rocblas_diagonal_iiT3_T4_lilT5_lili.step_sizes:
	.long	20                              ; 0x14
	.long	16                              ; 0x10
	.long	1                               ; 0x1
	.size	__const._ZL30rocblas_trsm_small_left_deviceILi20ELi20ELb1E19rocblas_complex_numIfES1_PKS1_PS1_Ev13rocblas_fill_18rocblas_operation_17rocblas_diagonal_iiT3_T4_lilT5_lili.step_sizes, 12

	.type	__const._ZL38rocblas_trsm_small_left_device_sharedBILi24ELi24ELb0E19rocblas_complex_numIfES1_PKS1_PS1_Ev13rocblas_fill_18rocblas_operation_17rocblas_diagonal_iiT3_T4_lilT5_lili.step_sizes,@object ; @__const._ZL38rocblas_trsm_small_left_device_sharedBILi24ELi24ELb0E19rocblas_complex_numIfES1_PKS1_PS1_Ev13rocblas_fill_18rocblas_operation_17rocblas_diagonal_iiT3_T4_lilT5_lili.step_sizes
	.p2align	2, 0x0
__const._ZL38rocblas_trsm_small_left_device_sharedBILi24ELi24ELb0E19rocblas_complex_numIfES1_PKS1_PS1_Ev13rocblas_fill_18rocblas_operation_17rocblas_diagonal_iiT3_T4_lilT5_lili.step_sizes:
	.long	24                              ; 0x18
	.long	20                              ; 0x14
	.long	1                               ; 0x1
	.size	__const._ZL38rocblas_trsm_small_left_device_sharedBILi24ELi24ELb0E19rocblas_complex_numIfES1_PKS1_PS1_Ev13rocblas_fill_18rocblas_operation_17rocblas_diagonal_iiT3_T4_lilT5_lili.step_sizes, 12

	.type	__const._ZL30rocblas_trsm_small_left_deviceILi24ELi24ELb0E19rocblas_complex_numIfES1_PKS1_PS1_Ev13rocblas_fill_18rocblas_operation_17rocblas_diagonal_iiT3_T4_lilT5_lili.step_sizes,@object ; @__const._ZL30rocblas_trsm_small_left_deviceILi24ELi24ELb0E19rocblas_complex_numIfES1_PKS1_PS1_Ev13rocblas_fill_18rocblas_operation_17rocblas_diagonal_iiT3_T4_lilT5_lili.step_sizes
	.p2align	2, 0x0
__const._ZL30rocblas_trsm_small_left_deviceILi24ELi24ELb0E19rocblas_complex_numIfES1_PKS1_PS1_Ev13rocblas_fill_18rocblas_operation_17rocblas_diagonal_iiT3_T4_lilT5_lili.step_sizes:
	.long	24                              ; 0x18
	.long	20                              ; 0x14
	.long	1                               ; 0x1
	.size	__const._ZL30rocblas_trsm_small_left_deviceILi24ELi24ELb0E19rocblas_complex_numIfES1_PKS1_PS1_Ev13rocblas_fill_18rocblas_operation_17rocblas_diagonal_iiT3_T4_lilT5_lili.step_sizes, 12

	.type	__const._ZL38rocblas_trsm_small_left_device_sharedBILi24ELi24ELb1E19rocblas_complex_numIfES1_PKS1_PS1_Ev13rocblas_fill_18rocblas_operation_17rocblas_diagonal_iiT3_T4_lilT5_lili.step_sizes,@object ; @__const._ZL38rocblas_trsm_small_left_device_sharedBILi24ELi24ELb1E19rocblas_complex_numIfES1_PKS1_PS1_Ev13rocblas_fill_18rocblas_operation_17rocblas_diagonal_iiT3_T4_lilT5_lili.step_sizes
	.p2align	2, 0x0
__const._ZL38rocblas_trsm_small_left_device_sharedBILi24ELi24ELb1E19rocblas_complex_numIfES1_PKS1_PS1_Ev13rocblas_fill_18rocblas_operation_17rocblas_diagonal_iiT3_T4_lilT5_lili.step_sizes:
	.long	24                              ; 0x18
	.long	20                              ; 0x14
	.long	1                               ; 0x1
	.size	__const._ZL38rocblas_trsm_small_left_device_sharedBILi24ELi24ELb1E19rocblas_complex_numIfES1_PKS1_PS1_Ev13rocblas_fill_18rocblas_operation_17rocblas_diagonal_iiT3_T4_lilT5_lili.step_sizes, 12

	.type	__const._ZL30rocblas_trsm_small_left_deviceILi24ELi24ELb1E19rocblas_complex_numIfES1_PKS1_PS1_Ev13rocblas_fill_18rocblas_operation_17rocblas_diagonal_iiT3_T4_lilT5_lili.step_sizes,@object ; @__const._ZL30rocblas_trsm_small_left_deviceILi24ELi24ELb1E19rocblas_complex_numIfES1_PKS1_PS1_Ev13rocblas_fill_18rocblas_operation_17rocblas_diagonal_iiT3_T4_lilT5_lili.step_sizes
	.p2align	2, 0x0
__const._ZL30rocblas_trsm_small_left_deviceILi24ELi24ELb1E19rocblas_complex_numIfES1_PKS1_PS1_Ev13rocblas_fill_18rocblas_operation_17rocblas_diagonal_iiT3_T4_lilT5_lili.step_sizes:
	.long	24                              ; 0x18
	.long	20                              ; 0x14
	.long	1                               ; 0x1
	.size	__const._ZL30rocblas_trsm_small_left_deviceILi24ELi24ELb1E19rocblas_complex_numIfES1_PKS1_PS1_Ev13rocblas_fill_18rocblas_operation_17rocblas_diagonal_iiT3_T4_lilT5_lili.step_sizes, 12

	.type	__const._ZL38rocblas_trsm_small_left_device_sharedBILi28ELi28ELb0E19rocblas_complex_numIfES1_PKS1_PS1_Ev13rocblas_fill_18rocblas_operation_17rocblas_diagonal_iiT3_T4_lilT5_lili.step_sizes,@object ; @__const._ZL38rocblas_trsm_small_left_device_sharedBILi28ELi28ELb0E19rocblas_complex_numIfES1_PKS1_PS1_Ev13rocblas_fill_18rocblas_operation_17rocblas_diagonal_iiT3_T4_lilT5_lili.step_sizes
	.p2align	2, 0x0
__const._ZL38rocblas_trsm_small_left_device_sharedBILi28ELi28ELb0E19rocblas_complex_numIfES1_PKS1_PS1_Ev13rocblas_fill_18rocblas_operation_17rocblas_diagonal_iiT3_T4_lilT5_lili.step_sizes:
	.long	28                              ; 0x1c
	.long	24                              ; 0x18
	.long	1                               ; 0x1
	.size	__const._ZL38rocblas_trsm_small_left_device_sharedBILi28ELi28ELb0E19rocblas_complex_numIfES1_PKS1_PS1_Ev13rocblas_fill_18rocblas_operation_17rocblas_diagonal_iiT3_T4_lilT5_lili.step_sizes, 12

	.type	__const._ZL30rocblas_trsm_small_left_deviceILi28ELi28ELb0E19rocblas_complex_numIfES1_PKS1_PS1_Ev13rocblas_fill_18rocblas_operation_17rocblas_diagonal_iiT3_T4_lilT5_lili.step_sizes,@object ; @__const._ZL30rocblas_trsm_small_left_deviceILi28ELi28ELb0E19rocblas_complex_numIfES1_PKS1_PS1_Ev13rocblas_fill_18rocblas_operation_17rocblas_diagonal_iiT3_T4_lilT5_lili.step_sizes
	.p2align	2, 0x0
__const._ZL30rocblas_trsm_small_left_deviceILi28ELi28ELb0E19rocblas_complex_numIfES1_PKS1_PS1_Ev13rocblas_fill_18rocblas_operation_17rocblas_diagonal_iiT3_T4_lilT5_lili.step_sizes:
	.long	28                              ; 0x1c
	.long	24                              ; 0x18
	.long	1                               ; 0x1
	.size	__const._ZL30rocblas_trsm_small_left_deviceILi28ELi28ELb0E19rocblas_complex_numIfES1_PKS1_PS1_Ev13rocblas_fill_18rocblas_operation_17rocblas_diagonal_iiT3_T4_lilT5_lili.step_sizes, 12

	.type	__const._ZL38rocblas_trsm_small_left_device_sharedBILi28ELi28ELb1E19rocblas_complex_numIfES1_PKS1_PS1_Ev13rocblas_fill_18rocblas_operation_17rocblas_diagonal_iiT3_T4_lilT5_lili.step_sizes,@object ; @__const._ZL38rocblas_trsm_small_left_device_sharedBILi28ELi28ELb1E19rocblas_complex_numIfES1_PKS1_PS1_Ev13rocblas_fill_18rocblas_operation_17rocblas_diagonal_iiT3_T4_lilT5_lili.step_sizes
	.p2align	2, 0x0
__const._ZL38rocblas_trsm_small_left_device_sharedBILi28ELi28ELb1E19rocblas_complex_numIfES1_PKS1_PS1_Ev13rocblas_fill_18rocblas_operation_17rocblas_diagonal_iiT3_T4_lilT5_lili.step_sizes:
	.long	28                              ; 0x1c
	.long	24                              ; 0x18
	.long	1                               ; 0x1
	.size	__const._ZL38rocblas_trsm_small_left_device_sharedBILi28ELi28ELb1E19rocblas_complex_numIfES1_PKS1_PS1_Ev13rocblas_fill_18rocblas_operation_17rocblas_diagonal_iiT3_T4_lilT5_lili.step_sizes, 12

	.type	__const._ZL30rocblas_trsm_small_left_deviceILi28ELi28ELb1E19rocblas_complex_numIfES1_PKS1_PS1_Ev13rocblas_fill_18rocblas_operation_17rocblas_diagonal_iiT3_T4_lilT5_lili.step_sizes,@object ; @__const._ZL30rocblas_trsm_small_left_deviceILi28ELi28ELb1E19rocblas_complex_numIfES1_PKS1_PS1_Ev13rocblas_fill_18rocblas_operation_17rocblas_diagonal_iiT3_T4_lilT5_lili.step_sizes
	.p2align	2, 0x0
__const._ZL30rocblas_trsm_small_left_deviceILi28ELi28ELb1E19rocblas_complex_numIfES1_PKS1_PS1_Ev13rocblas_fill_18rocblas_operation_17rocblas_diagonal_iiT3_T4_lilT5_lili.step_sizes:
	.long	28                              ; 0x1c
	.long	24                              ; 0x18
	.long	1                               ; 0x1
	.size	__const._ZL30rocblas_trsm_small_left_deviceILi28ELi28ELb1E19rocblas_complex_numIfES1_PKS1_PS1_Ev13rocblas_fill_18rocblas_operation_17rocblas_diagonal_iiT3_T4_lilT5_lili.step_sizes, 12

	.type	__const._ZL38rocblas_trsm_small_left_device_sharedBILi32ELi32ELb0E19rocblas_complex_numIfES1_PKS1_PS1_Ev13rocblas_fill_18rocblas_operation_17rocblas_diagonal_iiT3_T4_lilT5_lili.step_sizes,@object ; @__const._ZL38rocblas_trsm_small_left_device_sharedBILi32ELi32ELb0E19rocblas_complex_numIfES1_PKS1_PS1_Ev13rocblas_fill_18rocblas_operation_17rocblas_diagonal_iiT3_T4_lilT5_lili.step_sizes
	.p2align	2, 0x0
__const._ZL38rocblas_trsm_small_left_device_sharedBILi32ELi32ELb0E19rocblas_complex_numIfES1_PKS1_PS1_Ev13rocblas_fill_18rocblas_operation_17rocblas_diagonal_iiT3_T4_lilT5_lili.step_sizes:
	.long	32                              ; 0x20
	.long	28                              ; 0x1c
	.long	1                               ; 0x1
	.size	__const._ZL38rocblas_trsm_small_left_device_sharedBILi32ELi32ELb0E19rocblas_complex_numIfES1_PKS1_PS1_Ev13rocblas_fill_18rocblas_operation_17rocblas_diagonal_iiT3_T4_lilT5_lili.step_sizes, 12

	.type	__const._ZL30rocblas_trsm_small_left_deviceILi32ELi32ELb0E19rocblas_complex_numIfES1_PKS1_PS1_Ev13rocblas_fill_18rocblas_operation_17rocblas_diagonal_iiT3_T4_lilT5_lili.step_sizes,@object ; @__const._ZL30rocblas_trsm_small_left_deviceILi32ELi32ELb0E19rocblas_complex_numIfES1_PKS1_PS1_Ev13rocblas_fill_18rocblas_operation_17rocblas_diagonal_iiT3_T4_lilT5_lili.step_sizes
	.p2align	2, 0x0
__const._ZL30rocblas_trsm_small_left_deviceILi32ELi32ELb0E19rocblas_complex_numIfES1_PKS1_PS1_Ev13rocblas_fill_18rocblas_operation_17rocblas_diagonal_iiT3_T4_lilT5_lili.step_sizes:
	.long	32                              ; 0x20
	.long	28                              ; 0x1c
	.long	1                               ; 0x1
	.size	__const._ZL30rocblas_trsm_small_left_deviceILi32ELi32ELb0E19rocblas_complex_numIfES1_PKS1_PS1_Ev13rocblas_fill_18rocblas_operation_17rocblas_diagonal_iiT3_T4_lilT5_lili.step_sizes, 12

	.type	__const._ZL38rocblas_trsm_small_left_device_sharedBILi32ELi32ELb1E19rocblas_complex_numIfES1_PKS1_PS1_Ev13rocblas_fill_18rocblas_operation_17rocblas_diagonal_iiT3_T4_lilT5_lili.step_sizes,@object ; @__const._ZL38rocblas_trsm_small_left_device_sharedBILi32ELi32ELb1E19rocblas_complex_numIfES1_PKS1_PS1_Ev13rocblas_fill_18rocblas_operation_17rocblas_diagonal_iiT3_T4_lilT5_lili.step_sizes
	.p2align	2, 0x0
__const._ZL38rocblas_trsm_small_left_device_sharedBILi32ELi32ELb1E19rocblas_complex_numIfES1_PKS1_PS1_Ev13rocblas_fill_18rocblas_operation_17rocblas_diagonal_iiT3_T4_lilT5_lili.step_sizes:
	.long	32                              ; 0x20
	.long	28                              ; 0x1c
	.long	1                               ; 0x1
	.size	__const._ZL38rocblas_trsm_small_left_device_sharedBILi32ELi32ELb1E19rocblas_complex_numIfES1_PKS1_PS1_Ev13rocblas_fill_18rocblas_operation_17rocblas_diagonal_iiT3_T4_lilT5_lili.step_sizes, 12

	.type	__const._ZL30rocblas_trsm_small_left_deviceILi32ELi32ELb1E19rocblas_complex_numIfES1_PKS1_PS1_Ev13rocblas_fill_18rocblas_operation_17rocblas_diagonal_iiT3_T4_lilT5_lili.step_sizes,@object ; @__const._ZL30rocblas_trsm_small_left_deviceILi32ELi32ELb1E19rocblas_complex_numIfES1_PKS1_PS1_Ev13rocblas_fill_18rocblas_operation_17rocblas_diagonal_iiT3_T4_lilT5_lili.step_sizes
	.p2align	2, 0x0
__const._ZL30rocblas_trsm_small_left_deviceILi32ELi32ELb1E19rocblas_complex_numIfES1_PKS1_PS1_Ev13rocblas_fill_18rocblas_operation_17rocblas_diagonal_iiT3_T4_lilT5_lili.step_sizes:
	.long	32                              ; 0x20
	.long	28                              ; 0x1c
	.long	1                               ; 0x1
	.size	__const._ZL30rocblas_trsm_small_left_deviceILi32ELi32ELb1E19rocblas_complex_numIfES1_PKS1_PS1_Ev13rocblas_fill_18rocblas_operation_17rocblas_diagonal_iiT3_T4_lilT5_lili.step_sizes, 12

	.type	__const._ZL38rocblas_trsm_small_left_device_sharedBILi64ELi32ELb0E19rocblas_complex_numIfES1_PKS1_PS1_Ev13rocblas_fill_18rocblas_operation_17rocblas_diagonal_iiT3_T4_lilT5_lili.step_sizes,@object ; @__const._ZL38rocblas_trsm_small_left_device_sharedBILi64ELi32ELb0E19rocblas_complex_numIfES1_PKS1_PS1_Ev13rocblas_fill_18rocblas_operation_17rocblas_diagonal_iiT3_T4_lilT5_lili.step_sizes
	.p2align	2, 0x0
__const._ZL38rocblas_trsm_small_left_device_sharedBILi64ELi32ELb0E19rocblas_complex_numIfES1_PKS1_PS1_Ev13rocblas_fill_18rocblas_operation_17rocblas_diagonal_iiT3_T4_lilT5_lili.step_sizes:
	.long	32                              ; 0x20
	.long	4                               ; 0x4
	.long	1                               ; 0x1
	.size	__const._ZL38rocblas_trsm_small_left_device_sharedBILi64ELi32ELb0E19rocblas_complex_numIfES1_PKS1_PS1_Ev13rocblas_fill_18rocblas_operation_17rocblas_diagonal_iiT3_T4_lilT5_lili.step_sizes, 12

	.type	__const._ZL30rocblas_trsm_small_left_deviceILi64ELi32ELb0E19rocblas_complex_numIfES1_PKS1_PS1_Ev13rocblas_fill_18rocblas_operation_17rocblas_diagonal_iiT3_T4_lilT5_lili.step_sizes,@object ; @__const._ZL30rocblas_trsm_small_left_deviceILi64ELi32ELb0E19rocblas_complex_numIfES1_PKS1_PS1_Ev13rocblas_fill_18rocblas_operation_17rocblas_diagonal_iiT3_T4_lilT5_lili.step_sizes
	.p2align	2, 0x0
__const._ZL30rocblas_trsm_small_left_deviceILi64ELi32ELb0E19rocblas_complex_numIfES1_PKS1_PS1_Ev13rocblas_fill_18rocblas_operation_17rocblas_diagonal_iiT3_T4_lilT5_lili.step_sizes:
	.long	32                              ; 0x20
	.long	4                               ; 0x4
	.long	1                               ; 0x1
	.size	__const._ZL30rocblas_trsm_small_left_deviceILi64ELi32ELb0E19rocblas_complex_numIfES1_PKS1_PS1_Ev13rocblas_fill_18rocblas_operation_17rocblas_diagonal_iiT3_T4_lilT5_lili.step_sizes, 12

	.type	__const._ZL38rocblas_trsm_small_left_device_sharedBILi64ELi32ELb1E19rocblas_complex_numIfES1_PKS1_PS1_Ev13rocblas_fill_18rocblas_operation_17rocblas_diagonal_iiT3_T4_lilT5_lili.step_sizes,@object ; @__const._ZL38rocblas_trsm_small_left_device_sharedBILi64ELi32ELb1E19rocblas_complex_numIfES1_PKS1_PS1_Ev13rocblas_fill_18rocblas_operation_17rocblas_diagonal_iiT3_T4_lilT5_lili.step_sizes
	.p2align	2, 0x0
__const._ZL38rocblas_trsm_small_left_device_sharedBILi64ELi32ELb1E19rocblas_complex_numIfES1_PKS1_PS1_Ev13rocblas_fill_18rocblas_operation_17rocblas_diagonal_iiT3_T4_lilT5_lili.step_sizes:
	.long	32                              ; 0x20
	.long	4                               ; 0x4
	.long	1                               ; 0x1
	.size	__const._ZL38rocblas_trsm_small_left_device_sharedBILi64ELi32ELb1E19rocblas_complex_numIfES1_PKS1_PS1_Ev13rocblas_fill_18rocblas_operation_17rocblas_diagonal_iiT3_T4_lilT5_lili.step_sizes, 12

	.type	__const._ZL30rocblas_trsm_small_left_deviceILi64ELi32ELb1E19rocblas_complex_numIfES1_PKS1_PS1_Ev13rocblas_fill_18rocblas_operation_17rocblas_diagonal_iiT3_T4_lilT5_lili.step_sizes,@object ; @__const._ZL30rocblas_trsm_small_left_deviceILi64ELi32ELb1E19rocblas_complex_numIfES1_PKS1_PS1_Ev13rocblas_fill_18rocblas_operation_17rocblas_diagonal_iiT3_T4_lilT5_lili.step_sizes
	.p2align	2, 0x0
__const._ZL30rocblas_trsm_small_left_deviceILi64ELi32ELb1E19rocblas_complex_numIfES1_PKS1_PS1_Ev13rocblas_fill_18rocblas_operation_17rocblas_diagonal_iiT3_T4_lilT5_lili.step_sizes:
	.long	32                              ; 0x20
	.long	4                               ; 0x4
	.long	1                               ; 0x1
	.size	__const._ZL30rocblas_trsm_small_left_deviceILi64ELi32ELb1E19rocblas_complex_numIfES1_PKS1_PS1_Ev13rocblas_fill_18rocblas_operation_17rocblas_diagonal_iiT3_T4_lilT5_lili.step_sizes, 12

	.type	__const._ZL38rocblas_trsm_small_left_device_sharedBILi4ELi4ELb0E19rocblas_complex_numIdES1_PKS1_PS1_Ev13rocblas_fill_18rocblas_operation_17rocblas_diagonal_iiT3_T4_lilT5_lili.step_sizes,@object ; @__const._ZL38rocblas_trsm_small_left_device_sharedBILi4ELi4ELb0E19rocblas_complex_numIdES1_PKS1_PS1_Ev13rocblas_fill_18rocblas_operation_17rocblas_diagonal_iiT3_T4_lilT5_lili.step_sizes
	.p2align	2, 0x0
__const._ZL38rocblas_trsm_small_left_device_sharedBILi4ELi4ELb0E19rocblas_complex_numIdES1_PKS1_PS1_Ev13rocblas_fill_18rocblas_operation_17rocblas_diagonal_iiT3_T4_lilT5_lili.step_sizes:
	.long	4                               ; 0x4
	.long	1                               ; 0x1
	;; [unrolled: 1-line block ×3, first 2 shown]
	.size	__const._ZL38rocblas_trsm_small_left_device_sharedBILi4ELi4ELb0E19rocblas_complex_numIdES1_PKS1_PS1_Ev13rocblas_fill_18rocblas_operation_17rocblas_diagonal_iiT3_T4_lilT5_lili.step_sizes, 12

	.type	__const._ZL30rocblas_trsm_small_left_deviceILi4ELi4ELb0E19rocblas_complex_numIdES1_PKS1_PS1_Ev13rocblas_fill_18rocblas_operation_17rocblas_diagonal_iiT3_T4_lilT5_lili.step_sizes,@object ; @__const._ZL30rocblas_trsm_small_left_deviceILi4ELi4ELb0E19rocblas_complex_numIdES1_PKS1_PS1_Ev13rocblas_fill_18rocblas_operation_17rocblas_diagonal_iiT3_T4_lilT5_lili.step_sizes
	.p2align	2, 0x0
__const._ZL30rocblas_trsm_small_left_deviceILi4ELi4ELb0E19rocblas_complex_numIdES1_PKS1_PS1_Ev13rocblas_fill_18rocblas_operation_17rocblas_diagonal_iiT3_T4_lilT5_lili.step_sizes:
	.long	4                               ; 0x4
	.long	1                               ; 0x1
	;; [unrolled: 1-line block ×3, first 2 shown]
	.size	__const._ZL30rocblas_trsm_small_left_deviceILi4ELi4ELb0E19rocblas_complex_numIdES1_PKS1_PS1_Ev13rocblas_fill_18rocblas_operation_17rocblas_diagonal_iiT3_T4_lilT5_lili.step_sizes, 12

	.type	__const._ZL38rocblas_trsm_small_left_device_sharedBILi4ELi4ELb1E19rocblas_complex_numIdES1_PKS1_PS1_Ev13rocblas_fill_18rocblas_operation_17rocblas_diagonal_iiT3_T4_lilT5_lili.step_sizes,@object ; @__const._ZL38rocblas_trsm_small_left_device_sharedBILi4ELi4ELb1E19rocblas_complex_numIdES1_PKS1_PS1_Ev13rocblas_fill_18rocblas_operation_17rocblas_diagonal_iiT3_T4_lilT5_lili.step_sizes
	.p2align	2, 0x0
__const._ZL38rocblas_trsm_small_left_device_sharedBILi4ELi4ELb1E19rocblas_complex_numIdES1_PKS1_PS1_Ev13rocblas_fill_18rocblas_operation_17rocblas_diagonal_iiT3_T4_lilT5_lili.step_sizes:
	.long	4                               ; 0x4
	.long	1                               ; 0x1
	;; [unrolled: 1-line block ×3, first 2 shown]
	.size	__const._ZL38rocblas_trsm_small_left_device_sharedBILi4ELi4ELb1E19rocblas_complex_numIdES1_PKS1_PS1_Ev13rocblas_fill_18rocblas_operation_17rocblas_diagonal_iiT3_T4_lilT5_lili.step_sizes, 12

	.type	__const._ZL30rocblas_trsm_small_left_deviceILi4ELi4ELb1E19rocblas_complex_numIdES1_PKS1_PS1_Ev13rocblas_fill_18rocblas_operation_17rocblas_diagonal_iiT3_T4_lilT5_lili.step_sizes,@object ; @__const._ZL30rocblas_trsm_small_left_deviceILi4ELi4ELb1E19rocblas_complex_numIdES1_PKS1_PS1_Ev13rocblas_fill_18rocblas_operation_17rocblas_diagonal_iiT3_T4_lilT5_lili.step_sizes
	.p2align	2, 0x0
__const._ZL30rocblas_trsm_small_left_deviceILi4ELi4ELb1E19rocblas_complex_numIdES1_PKS1_PS1_Ev13rocblas_fill_18rocblas_operation_17rocblas_diagonal_iiT3_T4_lilT5_lili.step_sizes:
	.long	4                               ; 0x4
	.long	1                               ; 0x1
	;; [unrolled: 1-line block ×3, first 2 shown]
	.size	__const._ZL30rocblas_trsm_small_left_deviceILi4ELi4ELb1E19rocblas_complex_numIdES1_PKS1_PS1_Ev13rocblas_fill_18rocblas_operation_17rocblas_diagonal_iiT3_T4_lilT5_lili.step_sizes, 12

	.type	__const._ZL38rocblas_trsm_small_left_device_sharedBILi8ELi8ELb0E19rocblas_complex_numIdES1_PKS1_PS1_Ev13rocblas_fill_18rocblas_operation_17rocblas_diagonal_iiT3_T4_lilT5_lili.step_sizes,@object ; @__const._ZL38rocblas_trsm_small_left_device_sharedBILi8ELi8ELb0E19rocblas_complex_numIdES1_PKS1_PS1_Ev13rocblas_fill_18rocblas_operation_17rocblas_diagonal_iiT3_T4_lilT5_lili.step_sizes
	.p2align	2, 0x0
__const._ZL38rocblas_trsm_small_left_device_sharedBILi8ELi8ELb0E19rocblas_complex_numIdES1_PKS1_PS1_Ev13rocblas_fill_18rocblas_operation_17rocblas_diagonal_iiT3_T4_lilT5_lili.step_sizes:
	.long	8                               ; 0x8
	.long	4                               ; 0x4
	;; [unrolled: 1-line block ×3, first 2 shown]
	.size	__const._ZL38rocblas_trsm_small_left_device_sharedBILi8ELi8ELb0E19rocblas_complex_numIdES1_PKS1_PS1_Ev13rocblas_fill_18rocblas_operation_17rocblas_diagonal_iiT3_T4_lilT5_lili.step_sizes, 12

	.type	__const._ZL30rocblas_trsm_small_left_deviceILi8ELi8ELb0E19rocblas_complex_numIdES1_PKS1_PS1_Ev13rocblas_fill_18rocblas_operation_17rocblas_diagonal_iiT3_T4_lilT5_lili.step_sizes,@object ; @__const._ZL30rocblas_trsm_small_left_deviceILi8ELi8ELb0E19rocblas_complex_numIdES1_PKS1_PS1_Ev13rocblas_fill_18rocblas_operation_17rocblas_diagonal_iiT3_T4_lilT5_lili.step_sizes
	.p2align	2, 0x0
__const._ZL30rocblas_trsm_small_left_deviceILi8ELi8ELb0E19rocblas_complex_numIdES1_PKS1_PS1_Ev13rocblas_fill_18rocblas_operation_17rocblas_diagonal_iiT3_T4_lilT5_lili.step_sizes:
	.long	8                               ; 0x8
	.long	4                               ; 0x4
	.long	1                               ; 0x1
	.size	__const._ZL30rocblas_trsm_small_left_deviceILi8ELi8ELb0E19rocblas_complex_numIdES1_PKS1_PS1_Ev13rocblas_fill_18rocblas_operation_17rocblas_diagonal_iiT3_T4_lilT5_lili.step_sizes, 12

	.type	__const._ZL38rocblas_trsm_small_left_device_sharedBILi8ELi8ELb1E19rocblas_complex_numIdES1_PKS1_PS1_Ev13rocblas_fill_18rocblas_operation_17rocblas_diagonal_iiT3_T4_lilT5_lili.step_sizes,@object ; @__const._ZL38rocblas_trsm_small_left_device_sharedBILi8ELi8ELb1E19rocblas_complex_numIdES1_PKS1_PS1_Ev13rocblas_fill_18rocblas_operation_17rocblas_diagonal_iiT3_T4_lilT5_lili.step_sizes
	.p2align	2, 0x0
__const._ZL38rocblas_trsm_small_left_device_sharedBILi8ELi8ELb1E19rocblas_complex_numIdES1_PKS1_PS1_Ev13rocblas_fill_18rocblas_operation_17rocblas_diagonal_iiT3_T4_lilT5_lili.step_sizes:
	.long	8                               ; 0x8
	.long	4                               ; 0x4
	;; [unrolled: 1-line block ×3, first 2 shown]
	.size	__const._ZL38rocblas_trsm_small_left_device_sharedBILi8ELi8ELb1E19rocblas_complex_numIdES1_PKS1_PS1_Ev13rocblas_fill_18rocblas_operation_17rocblas_diagonal_iiT3_T4_lilT5_lili.step_sizes, 12

	.type	__const._ZL30rocblas_trsm_small_left_deviceILi8ELi8ELb1E19rocblas_complex_numIdES1_PKS1_PS1_Ev13rocblas_fill_18rocblas_operation_17rocblas_diagonal_iiT3_T4_lilT5_lili.step_sizes,@object ; @__const._ZL30rocblas_trsm_small_left_deviceILi8ELi8ELb1E19rocblas_complex_numIdES1_PKS1_PS1_Ev13rocblas_fill_18rocblas_operation_17rocblas_diagonal_iiT3_T4_lilT5_lili.step_sizes
	.p2align	2, 0x0
__const._ZL30rocblas_trsm_small_left_deviceILi8ELi8ELb1E19rocblas_complex_numIdES1_PKS1_PS1_Ev13rocblas_fill_18rocblas_operation_17rocblas_diagonal_iiT3_T4_lilT5_lili.step_sizes:
	.long	8                               ; 0x8
	.long	4                               ; 0x4
	;; [unrolled: 1-line block ×3, first 2 shown]
	.size	__const._ZL30rocblas_trsm_small_left_deviceILi8ELi8ELb1E19rocblas_complex_numIdES1_PKS1_PS1_Ev13rocblas_fill_18rocblas_operation_17rocblas_diagonal_iiT3_T4_lilT5_lili.step_sizes, 12

	.type	__const._ZL38rocblas_trsm_small_left_device_sharedBILi12ELi12ELb0E19rocblas_complex_numIdES1_PKS1_PS1_Ev13rocblas_fill_18rocblas_operation_17rocblas_diagonal_iiT3_T4_lilT5_lili.step_sizes,@object ; @__const._ZL38rocblas_trsm_small_left_device_sharedBILi12ELi12ELb0E19rocblas_complex_numIdES1_PKS1_PS1_Ev13rocblas_fill_18rocblas_operation_17rocblas_diagonal_iiT3_T4_lilT5_lili.step_sizes
	.p2align	2, 0x0
__const._ZL38rocblas_trsm_small_left_device_sharedBILi12ELi12ELb0E19rocblas_complex_numIdES1_PKS1_PS1_Ev13rocblas_fill_18rocblas_operation_17rocblas_diagonal_iiT3_T4_lilT5_lili.step_sizes:
	.long	12                              ; 0xc
	.long	8                               ; 0x8
	.long	1                               ; 0x1
	.size	__const._ZL38rocblas_trsm_small_left_device_sharedBILi12ELi12ELb0E19rocblas_complex_numIdES1_PKS1_PS1_Ev13rocblas_fill_18rocblas_operation_17rocblas_diagonal_iiT3_T4_lilT5_lili.step_sizes, 12

	.type	__const._ZL30rocblas_trsm_small_left_deviceILi12ELi12ELb0E19rocblas_complex_numIdES1_PKS1_PS1_Ev13rocblas_fill_18rocblas_operation_17rocblas_diagonal_iiT3_T4_lilT5_lili.step_sizes,@object ; @__const._ZL30rocblas_trsm_small_left_deviceILi12ELi12ELb0E19rocblas_complex_numIdES1_PKS1_PS1_Ev13rocblas_fill_18rocblas_operation_17rocblas_diagonal_iiT3_T4_lilT5_lili.step_sizes
	.p2align	2, 0x0
__const._ZL30rocblas_trsm_small_left_deviceILi12ELi12ELb0E19rocblas_complex_numIdES1_PKS1_PS1_Ev13rocblas_fill_18rocblas_operation_17rocblas_diagonal_iiT3_T4_lilT5_lili.step_sizes:
	.long	12                              ; 0xc
	.long	8                               ; 0x8
	.long	1                               ; 0x1
	.size	__const._ZL30rocblas_trsm_small_left_deviceILi12ELi12ELb0E19rocblas_complex_numIdES1_PKS1_PS1_Ev13rocblas_fill_18rocblas_operation_17rocblas_diagonal_iiT3_T4_lilT5_lili.step_sizes, 12

	.type	__const._ZL38rocblas_trsm_small_left_device_sharedBILi12ELi12ELb1E19rocblas_complex_numIdES1_PKS1_PS1_Ev13rocblas_fill_18rocblas_operation_17rocblas_diagonal_iiT3_T4_lilT5_lili.step_sizes,@object ; @__const._ZL38rocblas_trsm_small_left_device_sharedBILi12ELi12ELb1E19rocblas_complex_numIdES1_PKS1_PS1_Ev13rocblas_fill_18rocblas_operation_17rocblas_diagonal_iiT3_T4_lilT5_lili.step_sizes
	.p2align	2, 0x0
__const._ZL38rocblas_trsm_small_left_device_sharedBILi12ELi12ELb1E19rocblas_complex_numIdES1_PKS1_PS1_Ev13rocblas_fill_18rocblas_operation_17rocblas_diagonal_iiT3_T4_lilT5_lili.step_sizes:
	.long	12                              ; 0xc
	.long	8                               ; 0x8
	.long	1                               ; 0x1
	.size	__const._ZL38rocblas_trsm_small_left_device_sharedBILi12ELi12ELb1E19rocblas_complex_numIdES1_PKS1_PS1_Ev13rocblas_fill_18rocblas_operation_17rocblas_diagonal_iiT3_T4_lilT5_lili.step_sizes, 12

	.type	__const._ZL30rocblas_trsm_small_left_deviceILi12ELi12ELb1E19rocblas_complex_numIdES1_PKS1_PS1_Ev13rocblas_fill_18rocblas_operation_17rocblas_diagonal_iiT3_T4_lilT5_lili.step_sizes,@object ; @__const._ZL30rocblas_trsm_small_left_deviceILi12ELi12ELb1E19rocblas_complex_numIdES1_PKS1_PS1_Ev13rocblas_fill_18rocblas_operation_17rocblas_diagonal_iiT3_T4_lilT5_lili.step_sizes
	.p2align	2, 0x0
__const._ZL30rocblas_trsm_small_left_deviceILi12ELi12ELb1E19rocblas_complex_numIdES1_PKS1_PS1_Ev13rocblas_fill_18rocblas_operation_17rocblas_diagonal_iiT3_T4_lilT5_lili.step_sizes:
	.long	12                              ; 0xc
	.long	8                               ; 0x8
	.long	1                               ; 0x1
	.size	__const._ZL30rocblas_trsm_small_left_deviceILi12ELi12ELb1E19rocblas_complex_numIdES1_PKS1_PS1_Ev13rocblas_fill_18rocblas_operation_17rocblas_diagonal_iiT3_T4_lilT5_lili.step_sizes, 12

	.type	__const._ZL38rocblas_trsm_small_left_device_sharedBILi16ELi16ELb0E19rocblas_complex_numIdES1_PKS1_PS1_Ev13rocblas_fill_18rocblas_operation_17rocblas_diagonal_iiT3_T4_lilT5_lili.step_sizes,@object ; @__const._ZL38rocblas_trsm_small_left_device_sharedBILi16ELi16ELb0E19rocblas_complex_numIdES1_PKS1_PS1_Ev13rocblas_fill_18rocblas_operation_17rocblas_diagonal_iiT3_T4_lilT5_lili.step_sizes
	.p2align	2, 0x0
__const._ZL38rocblas_trsm_small_left_device_sharedBILi16ELi16ELb0E19rocblas_complex_numIdES1_PKS1_PS1_Ev13rocblas_fill_18rocblas_operation_17rocblas_diagonal_iiT3_T4_lilT5_lili.step_sizes:
	.long	16                              ; 0x10
	.long	12                              ; 0xc
	.long	1                               ; 0x1
	.size	__const._ZL38rocblas_trsm_small_left_device_sharedBILi16ELi16ELb0E19rocblas_complex_numIdES1_PKS1_PS1_Ev13rocblas_fill_18rocblas_operation_17rocblas_diagonal_iiT3_T4_lilT5_lili.step_sizes, 12

	.type	__const._ZL30rocblas_trsm_small_left_deviceILi16ELi16ELb0E19rocblas_complex_numIdES1_PKS1_PS1_Ev13rocblas_fill_18rocblas_operation_17rocblas_diagonal_iiT3_T4_lilT5_lili.step_sizes,@object ; @__const._ZL30rocblas_trsm_small_left_deviceILi16ELi16ELb0E19rocblas_complex_numIdES1_PKS1_PS1_Ev13rocblas_fill_18rocblas_operation_17rocblas_diagonal_iiT3_T4_lilT5_lili.step_sizes
	.p2align	2, 0x0
__const._ZL30rocblas_trsm_small_left_deviceILi16ELi16ELb0E19rocblas_complex_numIdES1_PKS1_PS1_Ev13rocblas_fill_18rocblas_operation_17rocblas_diagonal_iiT3_T4_lilT5_lili.step_sizes:
	.long	16                              ; 0x10
	.long	12                              ; 0xc
	.long	1                               ; 0x1
	.size	__const._ZL30rocblas_trsm_small_left_deviceILi16ELi16ELb0E19rocblas_complex_numIdES1_PKS1_PS1_Ev13rocblas_fill_18rocblas_operation_17rocblas_diagonal_iiT3_T4_lilT5_lili.step_sizes, 12

	.type	__const._ZL38rocblas_trsm_small_left_device_sharedBILi16ELi16ELb1E19rocblas_complex_numIdES1_PKS1_PS1_Ev13rocblas_fill_18rocblas_operation_17rocblas_diagonal_iiT3_T4_lilT5_lili.step_sizes,@object ; @__const._ZL38rocblas_trsm_small_left_device_sharedBILi16ELi16ELb1E19rocblas_complex_numIdES1_PKS1_PS1_Ev13rocblas_fill_18rocblas_operation_17rocblas_diagonal_iiT3_T4_lilT5_lili.step_sizes
	.p2align	2, 0x0
__const._ZL38rocblas_trsm_small_left_device_sharedBILi16ELi16ELb1E19rocblas_complex_numIdES1_PKS1_PS1_Ev13rocblas_fill_18rocblas_operation_17rocblas_diagonal_iiT3_T4_lilT5_lili.step_sizes:
	.long	16                              ; 0x10
	.long	12                              ; 0xc
	.long	1                               ; 0x1
	.size	__const._ZL38rocblas_trsm_small_left_device_sharedBILi16ELi16ELb1E19rocblas_complex_numIdES1_PKS1_PS1_Ev13rocblas_fill_18rocblas_operation_17rocblas_diagonal_iiT3_T4_lilT5_lili.step_sizes, 12

	.type	__const._ZL30rocblas_trsm_small_left_deviceILi16ELi16ELb1E19rocblas_complex_numIdES1_PKS1_PS1_Ev13rocblas_fill_18rocblas_operation_17rocblas_diagonal_iiT3_T4_lilT5_lili.step_sizes,@object ; @__const._ZL30rocblas_trsm_small_left_deviceILi16ELi16ELb1E19rocblas_complex_numIdES1_PKS1_PS1_Ev13rocblas_fill_18rocblas_operation_17rocblas_diagonal_iiT3_T4_lilT5_lili.step_sizes
	.p2align	2, 0x0
__const._ZL30rocblas_trsm_small_left_deviceILi16ELi16ELb1E19rocblas_complex_numIdES1_PKS1_PS1_Ev13rocblas_fill_18rocblas_operation_17rocblas_diagonal_iiT3_T4_lilT5_lili.step_sizes:
	.long	16                              ; 0x10
	.long	12                              ; 0xc
	.long	1                               ; 0x1
	.size	__const._ZL30rocblas_trsm_small_left_deviceILi16ELi16ELb1E19rocblas_complex_numIdES1_PKS1_PS1_Ev13rocblas_fill_18rocblas_operation_17rocblas_diagonal_iiT3_T4_lilT5_lili.step_sizes, 12

	.type	__const._ZL38rocblas_trsm_small_left_device_sharedBILi20ELi20ELb0E19rocblas_complex_numIdES1_PKS1_PS1_Ev13rocblas_fill_18rocblas_operation_17rocblas_diagonal_iiT3_T4_lilT5_lili.step_sizes,@object ; @__const._ZL38rocblas_trsm_small_left_device_sharedBILi20ELi20ELb0E19rocblas_complex_numIdES1_PKS1_PS1_Ev13rocblas_fill_18rocblas_operation_17rocblas_diagonal_iiT3_T4_lilT5_lili.step_sizes
	.p2align	2, 0x0
__const._ZL38rocblas_trsm_small_left_device_sharedBILi20ELi20ELb0E19rocblas_complex_numIdES1_PKS1_PS1_Ev13rocblas_fill_18rocblas_operation_17rocblas_diagonal_iiT3_T4_lilT5_lili.step_sizes:
	.long	20                              ; 0x14
	.long	16                              ; 0x10
	.long	1                               ; 0x1
	.size	__const._ZL38rocblas_trsm_small_left_device_sharedBILi20ELi20ELb0E19rocblas_complex_numIdES1_PKS1_PS1_Ev13rocblas_fill_18rocblas_operation_17rocblas_diagonal_iiT3_T4_lilT5_lili.step_sizes, 12

	.type	__const._ZL30rocblas_trsm_small_left_deviceILi20ELi20ELb0E19rocblas_complex_numIdES1_PKS1_PS1_Ev13rocblas_fill_18rocblas_operation_17rocblas_diagonal_iiT3_T4_lilT5_lili.step_sizes,@object ; @__const._ZL30rocblas_trsm_small_left_deviceILi20ELi20ELb0E19rocblas_complex_numIdES1_PKS1_PS1_Ev13rocblas_fill_18rocblas_operation_17rocblas_diagonal_iiT3_T4_lilT5_lili.step_sizes
	.p2align	2, 0x0
__const._ZL30rocblas_trsm_small_left_deviceILi20ELi20ELb0E19rocblas_complex_numIdES1_PKS1_PS1_Ev13rocblas_fill_18rocblas_operation_17rocblas_diagonal_iiT3_T4_lilT5_lili.step_sizes:
	.long	20                              ; 0x14
	.long	16                              ; 0x10
	.long	1                               ; 0x1
	.size	__const._ZL30rocblas_trsm_small_left_deviceILi20ELi20ELb0E19rocblas_complex_numIdES1_PKS1_PS1_Ev13rocblas_fill_18rocblas_operation_17rocblas_diagonal_iiT3_T4_lilT5_lili.step_sizes, 12

	.type	__const._ZL38rocblas_trsm_small_left_device_sharedBILi20ELi20ELb1E19rocblas_complex_numIdES1_PKS1_PS1_Ev13rocblas_fill_18rocblas_operation_17rocblas_diagonal_iiT3_T4_lilT5_lili.step_sizes,@object ; @__const._ZL38rocblas_trsm_small_left_device_sharedBILi20ELi20ELb1E19rocblas_complex_numIdES1_PKS1_PS1_Ev13rocblas_fill_18rocblas_operation_17rocblas_diagonal_iiT3_T4_lilT5_lili.step_sizes
	.p2align	2, 0x0
__const._ZL38rocblas_trsm_small_left_device_sharedBILi20ELi20ELb1E19rocblas_complex_numIdES1_PKS1_PS1_Ev13rocblas_fill_18rocblas_operation_17rocblas_diagonal_iiT3_T4_lilT5_lili.step_sizes:
	.long	20                              ; 0x14
	.long	16                              ; 0x10
	.long	1                               ; 0x1
	.size	__const._ZL38rocblas_trsm_small_left_device_sharedBILi20ELi20ELb1E19rocblas_complex_numIdES1_PKS1_PS1_Ev13rocblas_fill_18rocblas_operation_17rocblas_diagonal_iiT3_T4_lilT5_lili.step_sizes, 12

	.type	__const._ZL30rocblas_trsm_small_left_deviceILi20ELi20ELb1E19rocblas_complex_numIdES1_PKS1_PS1_Ev13rocblas_fill_18rocblas_operation_17rocblas_diagonal_iiT3_T4_lilT5_lili.step_sizes,@object ; @__const._ZL30rocblas_trsm_small_left_deviceILi20ELi20ELb1E19rocblas_complex_numIdES1_PKS1_PS1_Ev13rocblas_fill_18rocblas_operation_17rocblas_diagonal_iiT3_T4_lilT5_lili.step_sizes
	.p2align	2, 0x0
__const._ZL30rocblas_trsm_small_left_deviceILi20ELi20ELb1E19rocblas_complex_numIdES1_PKS1_PS1_Ev13rocblas_fill_18rocblas_operation_17rocblas_diagonal_iiT3_T4_lilT5_lili.step_sizes:
	.long	20                              ; 0x14
	.long	16                              ; 0x10
	.long	1                               ; 0x1
	.size	__const._ZL30rocblas_trsm_small_left_deviceILi20ELi20ELb1E19rocblas_complex_numIdES1_PKS1_PS1_Ev13rocblas_fill_18rocblas_operation_17rocblas_diagonal_iiT3_T4_lilT5_lili.step_sizes, 12

	.type	__const._ZL38rocblas_trsm_small_left_device_sharedBILi24ELi24ELb0E19rocblas_complex_numIdES1_PKS1_PS1_Ev13rocblas_fill_18rocblas_operation_17rocblas_diagonal_iiT3_T4_lilT5_lili.step_sizes,@object ; @__const._ZL38rocblas_trsm_small_left_device_sharedBILi24ELi24ELb0E19rocblas_complex_numIdES1_PKS1_PS1_Ev13rocblas_fill_18rocblas_operation_17rocblas_diagonal_iiT3_T4_lilT5_lili.step_sizes
	.p2align	2, 0x0
__const._ZL38rocblas_trsm_small_left_device_sharedBILi24ELi24ELb0E19rocblas_complex_numIdES1_PKS1_PS1_Ev13rocblas_fill_18rocblas_operation_17rocblas_diagonal_iiT3_T4_lilT5_lili.step_sizes:
	.long	24                              ; 0x18
	.long	20                              ; 0x14
	.long	1                               ; 0x1
	.size	__const._ZL38rocblas_trsm_small_left_device_sharedBILi24ELi24ELb0E19rocblas_complex_numIdES1_PKS1_PS1_Ev13rocblas_fill_18rocblas_operation_17rocblas_diagonal_iiT3_T4_lilT5_lili.step_sizes, 12

	.type	__const._ZL30rocblas_trsm_small_left_deviceILi24ELi24ELb0E19rocblas_complex_numIdES1_PKS1_PS1_Ev13rocblas_fill_18rocblas_operation_17rocblas_diagonal_iiT3_T4_lilT5_lili.step_sizes,@object ; @__const._ZL30rocblas_trsm_small_left_deviceILi24ELi24ELb0E19rocblas_complex_numIdES1_PKS1_PS1_Ev13rocblas_fill_18rocblas_operation_17rocblas_diagonal_iiT3_T4_lilT5_lili.step_sizes
	.p2align	2, 0x0
__const._ZL30rocblas_trsm_small_left_deviceILi24ELi24ELb0E19rocblas_complex_numIdES1_PKS1_PS1_Ev13rocblas_fill_18rocblas_operation_17rocblas_diagonal_iiT3_T4_lilT5_lili.step_sizes:
	.long	24                              ; 0x18
	.long	20                              ; 0x14
	.long	1                               ; 0x1
	.size	__const._ZL30rocblas_trsm_small_left_deviceILi24ELi24ELb0E19rocblas_complex_numIdES1_PKS1_PS1_Ev13rocblas_fill_18rocblas_operation_17rocblas_diagonal_iiT3_T4_lilT5_lili.step_sizes, 12

	.type	__const._ZL38rocblas_trsm_small_left_device_sharedBILi24ELi24ELb1E19rocblas_complex_numIdES1_PKS1_PS1_Ev13rocblas_fill_18rocblas_operation_17rocblas_diagonal_iiT3_T4_lilT5_lili.step_sizes,@object ; @__const._ZL38rocblas_trsm_small_left_device_sharedBILi24ELi24ELb1E19rocblas_complex_numIdES1_PKS1_PS1_Ev13rocblas_fill_18rocblas_operation_17rocblas_diagonal_iiT3_T4_lilT5_lili.step_sizes
	.p2align	2, 0x0
__const._ZL38rocblas_trsm_small_left_device_sharedBILi24ELi24ELb1E19rocblas_complex_numIdES1_PKS1_PS1_Ev13rocblas_fill_18rocblas_operation_17rocblas_diagonal_iiT3_T4_lilT5_lili.step_sizes:
	.long	24                              ; 0x18
	.long	20                              ; 0x14
	.long	1                               ; 0x1
	.size	__const._ZL38rocblas_trsm_small_left_device_sharedBILi24ELi24ELb1E19rocblas_complex_numIdES1_PKS1_PS1_Ev13rocblas_fill_18rocblas_operation_17rocblas_diagonal_iiT3_T4_lilT5_lili.step_sizes, 12

	.type	__const._ZL30rocblas_trsm_small_left_deviceILi24ELi24ELb1E19rocblas_complex_numIdES1_PKS1_PS1_Ev13rocblas_fill_18rocblas_operation_17rocblas_diagonal_iiT3_T4_lilT5_lili.step_sizes,@object ; @__const._ZL30rocblas_trsm_small_left_deviceILi24ELi24ELb1E19rocblas_complex_numIdES1_PKS1_PS1_Ev13rocblas_fill_18rocblas_operation_17rocblas_diagonal_iiT3_T4_lilT5_lili.step_sizes
	.p2align	2, 0x0
__const._ZL30rocblas_trsm_small_left_deviceILi24ELi24ELb1E19rocblas_complex_numIdES1_PKS1_PS1_Ev13rocblas_fill_18rocblas_operation_17rocblas_diagonal_iiT3_T4_lilT5_lili.step_sizes:
	.long	24                              ; 0x18
	.long	20                              ; 0x14
	.long	1                               ; 0x1
	.size	__const._ZL30rocblas_trsm_small_left_deviceILi24ELi24ELb1E19rocblas_complex_numIdES1_PKS1_PS1_Ev13rocblas_fill_18rocblas_operation_17rocblas_diagonal_iiT3_T4_lilT5_lili.step_sizes, 12

	.type	__const._ZL38rocblas_trsm_small_left_device_sharedBILi28ELi28ELb0E19rocblas_complex_numIdES1_PKS1_PS1_Ev13rocblas_fill_18rocblas_operation_17rocblas_diagonal_iiT3_T4_lilT5_lili.step_sizes,@object ; @__const._ZL38rocblas_trsm_small_left_device_sharedBILi28ELi28ELb0E19rocblas_complex_numIdES1_PKS1_PS1_Ev13rocblas_fill_18rocblas_operation_17rocblas_diagonal_iiT3_T4_lilT5_lili.step_sizes
	.p2align	2, 0x0
__const._ZL38rocblas_trsm_small_left_device_sharedBILi28ELi28ELb0E19rocblas_complex_numIdES1_PKS1_PS1_Ev13rocblas_fill_18rocblas_operation_17rocblas_diagonal_iiT3_T4_lilT5_lili.step_sizes:
	.long	28                              ; 0x1c
	.long	24                              ; 0x18
	.long	1                               ; 0x1
	.size	__const._ZL38rocblas_trsm_small_left_device_sharedBILi28ELi28ELb0E19rocblas_complex_numIdES1_PKS1_PS1_Ev13rocblas_fill_18rocblas_operation_17rocblas_diagonal_iiT3_T4_lilT5_lili.step_sizes, 12

	.type	__const._ZL30rocblas_trsm_small_left_deviceILi28ELi28ELb0E19rocblas_complex_numIdES1_PKS1_PS1_Ev13rocblas_fill_18rocblas_operation_17rocblas_diagonal_iiT3_T4_lilT5_lili.step_sizes,@object ; @__const._ZL30rocblas_trsm_small_left_deviceILi28ELi28ELb0E19rocblas_complex_numIdES1_PKS1_PS1_Ev13rocblas_fill_18rocblas_operation_17rocblas_diagonal_iiT3_T4_lilT5_lili.step_sizes
	.p2align	2, 0x0
__const._ZL30rocblas_trsm_small_left_deviceILi28ELi28ELb0E19rocblas_complex_numIdES1_PKS1_PS1_Ev13rocblas_fill_18rocblas_operation_17rocblas_diagonal_iiT3_T4_lilT5_lili.step_sizes:
	.long	28                              ; 0x1c
	.long	24                              ; 0x18
	.long	1                               ; 0x1
	.size	__const._ZL30rocblas_trsm_small_left_deviceILi28ELi28ELb0E19rocblas_complex_numIdES1_PKS1_PS1_Ev13rocblas_fill_18rocblas_operation_17rocblas_diagonal_iiT3_T4_lilT5_lili.step_sizes, 12

	.type	__const._ZL38rocblas_trsm_small_left_device_sharedBILi28ELi28ELb1E19rocblas_complex_numIdES1_PKS1_PS1_Ev13rocblas_fill_18rocblas_operation_17rocblas_diagonal_iiT3_T4_lilT5_lili.step_sizes,@object ; @__const._ZL38rocblas_trsm_small_left_device_sharedBILi28ELi28ELb1E19rocblas_complex_numIdES1_PKS1_PS1_Ev13rocblas_fill_18rocblas_operation_17rocblas_diagonal_iiT3_T4_lilT5_lili.step_sizes
	.p2align	2, 0x0
__const._ZL38rocblas_trsm_small_left_device_sharedBILi28ELi28ELb1E19rocblas_complex_numIdES1_PKS1_PS1_Ev13rocblas_fill_18rocblas_operation_17rocblas_diagonal_iiT3_T4_lilT5_lili.step_sizes:
	.long	28                              ; 0x1c
	.long	24                              ; 0x18
	.long	1                               ; 0x1
	.size	__const._ZL38rocblas_trsm_small_left_device_sharedBILi28ELi28ELb1E19rocblas_complex_numIdES1_PKS1_PS1_Ev13rocblas_fill_18rocblas_operation_17rocblas_diagonal_iiT3_T4_lilT5_lili.step_sizes, 12

	.type	__const._ZL30rocblas_trsm_small_left_deviceILi28ELi28ELb1E19rocblas_complex_numIdES1_PKS1_PS1_Ev13rocblas_fill_18rocblas_operation_17rocblas_diagonal_iiT3_T4_lilT5_lili.step_sizes,@object ; @__const._ZL30rocblas_trsm_small_left_deviceILi28ELi28ELb1E19rocblas_complex_numIdES1_PKS1_PS1_Ev13rocblas_fill_18rocblas_operation_17rocblas_diagonal_iiT3_T4_lilT5_lili.step_sizes
	.p2align	2, 0x0
__const._ZL30rocblas_trsm_small_left_deviceILi28ELi28ELb1E19rocblas_complex_numIdES1_PKS1_PS1_Ev13rocblas_fill_18rocblas_operation_17rocblas_diagonal_iiT3_T4_lilT5_lili.step_sizes:
	.long	28                              ; 0x1c
	.long	24                              ; 0x18
	.long	1                               ; 0x1
	.size	__const._ZL30rocblas_trsm_small_left_deviceILi28ELi28ELb1E19rocblas_complex_numIdES1_PKS1_PS1_Ev13rocblas_fill_18rocblas_operation_17rocblas_diagonal_iiT3_T4_lilT5_lili.step_sizes, 12

	.type	__const._ZL38rocblas_trsm_small_left_device_sharedBILi32ELi32ELb0E19rocblas_complex_numIdES1_PKS1_PS1_Ev13rocblas_fill_18rocblas_operation_17rocblas_diagonal_iiT3_T4_lilT5_lili.step_sizes,@object ; @__const._ZL38rocblas_trsm_small_left_device_sharedBILi32ELi32ELb0E19rocblas_complex_numIdES1_PKS1_PS1_Ev13rocblas_fill_18rocblas_operation_17rocblas_diagonal_iiT3_T4_lilT5_lili.step_sizes
	.p2align	2, 0x0
__const._ZL38rocblas_trsm_small_left_device_sharedBILi32ELi32ELb0E19rocblas_complex_numIdES1_PKS1_PS1_Ev13rocblas_fill_18rocblas_operation_17rocblas_diagonal_iiT3_T4_lilT5_lili.step_sizes:
	.long	32                              ; 0x20
	.long	28                              ; 0x1c
	.long	1                               ; 0x1
	.size	__const._ZL38rocblas_trsm_small_left_device_sharedBILi32ELi32ELb0E19rocblas_complex_numIdES1_PKS1_PS1_Ev13rocblas_fill_18rocblas_operation_17rocblas_diagonal_iiT3_T4_lilT5_lili.step_sizes, 12

	.type	__const._ZL30rocblas_trsm_small_left_deviceILi32ELi32ELb0E19rocblas_complex_numIdES1_PKS1_PS1_Ev13rocblas_fill_18rocblas_operation_17rocblas_diagonal_iiT3_T4_lilT5_lili.step_sizes,@object ; @__const._ZL30rocblas_trsm_small_left_deviceILi32ELi32ELb0E19rocblas_complex_numIdES1_PKS1_PS1_Ev13rocblas_fill_18rocblas_operation_17rocblas_diagonal_iiT3_T4_lilT5_lili.step_sizes
	.p2align	2, 0x0
__const._ZL30rocblas_trsm_small_left_deviceILi32ELi32ELb0E19rocblas_complex_numIdES1_PKS1_PS1_Ev13rocblas_fill_18rocblas_operation_17rocblas_diagonal_iiT3_T4_lilT5_lili.step_sizes:
	.long	32                              ; 0x20
	.long	28                              ; 0x1c
	.long	1                               ; 0x1
	.size	__const._ZL30rocblas_trsm_small_left_deviceILi32ELi32ELb0E19rocblas_complex_numIdES1_PKS1_PS1_Ev13rocblas_fill_18rocblas_operation_17rocblas_diagonal_iiT3_T4_lilT5_lili.step_sizes, 12

	.type	__const._ZL38rocblas_trsm_small_left_device_sharedBILi32ELi32ELb1E19rocblas_complex_numIdES1_PKS1_PS1_Ev13rocblas_fill_18rocblas_operation_17rocblas_diagonal_iiT3_T4_lilT5_lili.step_sizes,@object ; @__const._ZL38rocblas_trsm_small_left_device_sharedBILi32ELi32ELb1E19rocblas_complex_numIdES1_PKS1_PS1_Ev13rocblas_fill_18rocblas_operation_17rocblas_diagonal_iiT3_T4_lilT5_lili.step_sizes
	.p2align	2, 0x0
__const._ZL38rocblas_trsm_small_left_device_sharedBILi32ELi32ELb1E19rocblas_complex_numIdES1_PKS1_PS1_Ev13rocblas_fill_18rocblas_operation_17rocblas_diagonal_iiT3_T4_lilT5_lili.step_sizes:
	.long	32                              ; 0x20
	.long	28                              ; 0x1c
	.long	1                               ; 0x1
	.size	__const._ZL38rocblas_trsm_small_left_device_sharedBILi32ELi32ELb1E19rocblas_complex_numIdES1_PKS1_PS1_Ev13rocblas_fill_18rocblas_operation_17rocblas_diagonal_iiT3_T4_lilT5_lili.step_sizes, 12

	.type	__const._ZL30rocblas_trsm_small_left_deviceILi32ELi32ELb1E19rocblas_complex_numIdES1_PKS1_PS1_Ev13rocblas_fill_18rocblas_operation_17rocblas_diagonal_iiT3_T4_lilT5_lili.step_sizes,@object ; @__const._ZL30rocblas_trsm_small_left_deviceILi32ELi32ELb1E19rocblas_complex_numIdES1_PKS1_PS1_Ev13rocblas_fill_18rocblas_operation_17rocblas_diagonal_iiT3_T4_lilT5_lili.step_sizes
	.p2align	2, 0x0
__const._ZL30rocblas_trsm_small_left_deviceILi32ELi32ELb1E19rocblas_complex_numIdES1_PKS1_PS1_Ev13rocblas_fill_18rocblas_operation_17rocblas_diagonal_iiT3_T4_lilT5_lili.step_sizes:
	.long	32                              ; 0x20
	.long	28                              ; 0x1c
	.long	1                               ; 0x1
	.size	__const._ZL30rocblas_trsm_small_left_deviceILi32ELi32ELb1E19rocblas_complex_numIdES1_PKS1_PS1_Ev13rocblas_fill_18rocblas_operation_17rocblas_diagonal_iiT3_T4_lilT5_lili.step_sizes, 12

	.type	__hip_cuid_a59fca6664db929d,@object ; @__hip_cuid_a59fca6664db929d
	.section	.bss,"aw",@nobits
	.globl	__hip_cuid_a59fca6664db929d
__hip_cuid_a59fca6664db929d:
	.byte	0                               ; 0x0
	.size	__hip_cuid_a59fca6664db929d, 1

	.ident	"AMD clang version 22.0.0git (https://github.com/RadeonOpenCompute/llvm-project roc-7.2.4 26084 f58b06dce1f9c15707c5f808fd002e18c2accf7e)"
	.section	".note.GNU-stack","",@progbits
	.addrsig
	.addrsig_sym __hip_cuid_a59fca6664db929d
	.amdgpu_metadata
---
amdhsa.kernels:
  - .args:
      - .offset:         0
        .size:           8
        .value_kind:     by_value
      - .offset:         8
        .size:           8
        .value_kind:     by_value
      - .offset:         16
        .size:           4
        .value_kind:     by_value
      - .address_space:  global
        .offset:         24
        .size:           8
        .value_kind:     global_buffer
      - .offset:         32
        .size:           8
        .value_kind:     by_value
      - .offset:         40
        .size:           8
        .value_kind:     by_value
      - .offset:         48
        .size:           4
        .value_kind:     by_value
      - .offset:         56
        .size:           8
        .value_kind:     by_value
      - .offset:         64
        .size:           4
        .value_kind:     by_value
    .group_segment_fixed_size: 0
    .kernarg_segment_align: 8
    .kernarg_segment_size: 68
    .language:       OpenCL C
    .language_version:
      - 2
      - 0
    .max_flat_workgroup_size: 1024
    .name:           _ZL23rocblas_set_matrix_trsmILi128ELi8EfPfEvlliT2_llT1_li
    .private_segment_fixed_size: 0
    .sgpr_count:     20
    .sgpr_spill_count: 0
    .symbol:         _ZL23rocblas_set_matrix_trsmILi128ELi8EfPfEvlliT2_llT1_li.kd
    .uniform_work_group_size: 1
    .uses_dynamic_stack: false
    .vgpr_count:     6
    .vgpr_spill_count: 0
    .wavefront_size: 32
  - .args:
      - .offset:         0
        .size:           4
        .value_kind:     by_value
      - .offset:         4
        .size:           4
        .value_kind:     by_value
      - .offset:         8
        .size:           4
        .value_kind:     by_value
      - .offset:         12
        .size:           4
        .value_kind:     by_value
      - .offset:         16
        .size:           4
        .value_kind:     by_value
      - .offset:         20
        .size:           4
        .value_kind:     by_value
      - .address_space:  global
        .offset:         24
        .size:           8
        .value_kind:     global_buffer
      - .offset:         32
        .size:           8
        .value_kind:     by_value
      - .offset:         40
        .size:           4
        .value_kind:     by_value
      - .offset:         48
        .size:           8
        .value_kind:     by_value
      - .address_space:  global
        .offset:         56
        .size:           8
        .value_kind:     global_buffer
      - .offset:         64
        .size:           8
        .value_kind:     by_value
      - .offset:         72
        .size:           4
        .value_kind:     by_value
      - .offset:         80
        .size:           8
        .value_kind:     by_value
      - .offset:         88
        .size:           4
        .value_kind:     by_value
      - .offset:         96
        .size:           4
        .value_kind:     hidden_block_count_x
      - .offset:         100
        .size:           4
        .value_kind:     hidden_block_count_y
      - .offset:         104
        .size:           4
        .value_kind:     hidden_block_count_z
      - .offset:         108
        .size:           2
        .value_kind:     hidden_group_size_x
      - .offset:         110
        .size:           2
        .value_kind:     hidden_group_size_y
      - .offset:         112
        .size:           2
        .value_kind:     hidden_group_size_z
      - .offset:         114
        .size:           2
        .value_kind:     hidden_remainder_x
      - .offset:         116
        .size:           2
        .value_kind:     hidden_remainder_y
      - .offset:         118
        .size:           2
        .value_kind:     hidden_remainder_z
      - .offset:         136
        .size:           8
        .value_kind:     hidden_global_offset_x
      - .offset:         144
        .size:           8
        .value_kind:     hidden_global_offset_y
      - .offset:         152
        .size:           8
        .value_kind:     hidden_global_offset_z
      - .offset:         160
        .size:           2
        .value_kind:     hidden_grid_dims
    .group_segment_fixed_size: 128
    .kernarg_segment_align: 8
    .kernarg_segment_size: 352
    .language:       OpenCL C
    .language_version:
      - 2
      - 0
    .max_flat_workgroup_size: 4
    .name:           _ZL38rocblas_trsm_small_left_device_sharedBILi4ELi4ELb0EffPKfPfEv13rocblas_fill_18rocblas_operation_17rocblas_diagonal_iiT3_T4_lilT5_lili
    .private_segment_fixed_size: 0
    .sgpr_count:     46
    .sgpr_spill_count: 0
    .symbol:         _ZL38rocblas_trsm_small_left_device_sharedBILi4ELi4ELb0EffPKfPfEv13rocblas_fill_18rocblas_operation_17rocblas_diagonal_iiT3_T4_lilT5_lili.kd
    .uniform_work_group_size: 1
    .uses_dynamic_stack: false
    .vgpr_count:     21
    .vgpr_spill_count: 0
    .wavefront_size: 32
  - .args:
      - .offset:         0
        .size:           4
        .value_kind:     by_value
      - .offset:         4
        .size:           4
        .value_kind:     by_value
      - .offset:         8
        .size:           4
        .value_kind:     by_value
      - .offset:         12
        .size:           4
        .value_kind:     by_value
      - .offset:         16
        .size:           4
        .value_kind:     by_value
      - .offset:         20
        .size:           4
        .value_kind:     by_value
      - .address_space:  global
        .offset:         24
        .size:           8
        .value_kind:     global_buffer
      - .offset:         32
        .size:           8
        .value_kind:     by_value
      - .offset:         40
        .size:           4
        .value_kind:     by_value
      - .offset:         48
        .size:           8
        .value_kind:     by_value
      - .address_space:  global
        .offset:         56
        .size:           8
        .value_kind:     global_buffer
      - .offset:         64
        .size:           8
        .value_kind:     by_value
      - .offset:         72
        .size:           4
        .value_kind:     by_value
      - .offset:         80
        .size:           8
        .value_kind:     by_value
      - .offset:         88
        .size:           4
        .value_kind:     by_value
      - .offset:         96
        .size:           4
        .value_kind:     hidden_block_count_x
      - .offset:         100
        .size:           4
        .value_kind:     hidden_block_count_y
      - .offset:         104
        .size:           4
        .value_kind:     hidden_block_count_z
      - .offset:         108
        .size:           2
        .value_kind:     hidden_group_size_x
      - .offset:         110
        .size:           2
        .value_kind:     hidden_group_size_y
      - .offset:         112
        .size:           2
        .value_kind:     hidden_group_size_z
      - .offset:         114
        .size:           2
        .value_kind:     hidden_remainder_x
      - .offset:         116
        .size:           2
        .value_kind:     hidden_remainder_y
      - .offset:         118
        .size:           2
        .value_kind:     hidden_remainder_z
      - .offset:         136
        .size:           8
        .value_kind:     hidden_global_offset_x
      - .offset:         144
        .size:           8
        .value_kind:     hidden_global_offset_y
      - .offset:         152
        .size:           8
        .value_kind:     hidden_global_offset_z
      - .offset:         160
        .size:           2
        .value_kind:     hidden_grid_dims
    .group_segment_fixed_size: 64
    .kernarg_segment_align: 8
    .kernarg_segment_size: 352
    .language:       OpenCL C
    .language_version:
      - 2
      - 0
    .max_flat_workgroup_size: 4
    .name:           _ZL30rocblas_trsm_small_left_deviceILi4ELi4ELb0EffPKfPfEv13rocblas_fill_18rocblas_operation_17rocblas_diagonal_iiT3_T4_lilT5_lili
    .private_segment_fixed_size: 0
    .sgpr_count:     53
    .sgpr_spill_count: 0
    .symbol:         _ZL30rocblas_trsm_small_left_deviceILi4ELi4ELb0EffPKfPfEv13rocblas_fill_18rocblas_operation_17rocblas_diagonal_iiT3_T4_lilT5_lili.kd
    .uniform_work_group_size: 1
    .uses_dynamic_stack: false
    .vgpr_count:     23
    .vgpr_spill_count: 0
    .wavefront_size: 32
  - .args:
      - .offset:         0
        .size:           4
        .value_kind:     by_value
      - .offset:         4
        .size:           4
        .value_kind:     by_value
      - .offset:         8
        .size:           4
        .value_kind:     by_value
      - .offset:         12
        .size:           4
        .value_kind:     by_value
      - .offset:         16
        .size:           4
        .value_kind:     by_value
      - .offset:         20
        .size:           4
        .value_kind:     by_value
      - .address_space:  global
        .offset:         24
        .size:           8
        .value_kind:     global_buffer
      - .offset:         32
        .size:           8
        .value_kind:     by_value
      - .offset:         40
        .size:           4
        .value_kind:     by_value
      - .offset:         48
        .size:           8
        .value_kind:     by_value
      - .address_space:  global
        .offset:         56
        .size:           8
        .value_kind:     global_buffer
      - .offset:         64
        .size:           8
        .value_kind:     by_value
      - .offset:         72
        .size:           4
        .value_kind:     by_value
      - .offset:         80
        .size:           8
        .value_kind:     by_value
      - .offset:         88
        .size:           4
        .value_kind:     by_value
      - .offset:         96
        .size:           4
        .value_kind:     hidden_block_count_x
      - .offset:         100
        .size:           4
        .value_kind:     hidden_block_count_y
      - .offset:         104
        .size:           4
        .value_kind:     hidden_block_count_z
      - .offset:         108
        .size:           2
        .value_kind:     hidden_group_size_x
      - .offset:         110
        .size:           2
        .value_kind:     hidden_group_size_y
      - .offset:         112
        .size:           2
        .value_kind:     hidden_group_size_z
      - .offset:         114
        .size:           2
        .value_kind:     hidden_remainder_x
      - .offset:         116
        .size:           2
        .value_kind:     hidden_remainder_y
      - .offset:         118
        .size:           2
        .value_kind:     hidden_remainder_z
      - .offset:         136
        .size:           8
        .value_kind:     hidden_global_offset_x
      - .offset:         144
        .size:           8
        .value_kind:     hidden_global_offset_y
      - .offset:         152
        .size:           8
        .value_kind:     hidden_global_offset_z
      - .offset:         160
        .size:           2
        .value_kind:     hidden_grid_dims
    .group_segment_fixed_size: 128
    .kernarg_segment_align: 8
    .kernarg_segment_size: 352
    .language:       OpenCL C
    .language_version:
      - 2
      - 0
    .max_flat_workgroup_size: 4
    .name:           _ZL38rocblas_trsm_small_left_device_sharedBILi4ELi4ELb1EffPKfPfEv13rocblas_fill_18rocblas_operation_17rocblas_diagonal_iiT3_T4_lilT5_lili
    .private_segment_fixed_size: 0
    .sgpr_count:     46
    .sgpr_spill_count: 0
    .symbol:         _ZL38rocblas_trsm_small_left_device_sharedBILi4ELi4ELb1EffPKfPfEv13rocblas_fill_18rocblas_operation_17rocblas_diagonal_iiT3_T4_lilT5_lili.kd
    .uniform_work_group_size: 1
    .uses_dynamic_stack: false
    .vgpr_count:     21
    .vgpr_spill_count: 0
    .wavefront_size: 32
  - .args:
      - .offset:         0
        .size:           4
        .value_kind:     by_value
      - .offset:         4
        .size:           4
        .value_kind:     by_value
      - .offset:         8
        .size:           4
        .value_kind:     by_value
      - .offset:         12
        .size:           4
        .value_kind:     by_value
      - .offset:         16
        .size:           4
        .value_kind:     by_value
      - .offset:         20
        .size:           4
        .value_kind:     by_value
      - .address_space:  global
        .offset:         24
        .size:           8
        .value_kind:     global_buffer
      - .offset:         32
        .size:           8
        .value_kind:     by_value
      - .offset:         40
        .size:           4
        .value_kind:     by_value
      - .offset:         48
        .size:           8
        .value_kind:     by_value
      - .address_space:  global
        .offset:         56
        .size:           8
        .value_kind:     global_buffer
      - .offset:         64
        .size:           8
        .value_kind:     by_value
      - .offset:         72
        .size:           4
        .value_kind:     by_value
      - .offset:         80
        .size:           8
        .value_kind:     by_value
      - .offset:         88
        .size:           4
        .value_kind:     by_value
      - .offset:         96
        .size:           4
        .value_kind:     hidden_block_count_x
      - .offset:         100
        .size:           4
        .value_kind:     hidden_block_count_y
      - .offset:         104
        .size:           4
        .value_kind:     hidden_block_count_z
      - .offset:         108
        .size:           2
        .value_kind:     hidden_group_size_x
      - .offset:         110
        .size:           2
        .value_kind:     hidden_group_size_y
      - .offset:         112
        .size:           2
        .value_kind:     hidden_group_size_z
      - .offset:         114
        .size:           2
        .value_kind:     hidden_remainder_x
      - .offset:         116
        .size:           2
        .value_kind:     hidden_remainder_y
      - .offset:         118
        .size:           2
        .value_kind:     hidden_remainder_z
      - .offset:         136
        .size:           8
        .value_kind:     hidden_global_offset_x
      - .offset:         144
        .size:           8
        .value_kind:     hidden_global_offset_y
      - .offset:         152
        .size:           8
        .value_kind:     hidden_global_offset_z
      - .offset:         160
        .size:           2
        .value_kind:     hidden_grid_dims
    .group_segment_fixed_size: 64
    .kernarg_segment_align: 8
    .kernarg_segment_size: 352
    .language:       OpenCL C
    .language_version:
      - 2
      - 0
    .max_flat_workgroup_size: 4
    .name:           _ZL30rocblas_trsm_small_left_deviceILi4ELi4ELb1EffPKfPfEv13rocblas_fill_18rocblas_operation_17rocblas_diagonal_iiT3_T4_lilT5_lili
    .private_segment_fixed_size: 0
    .sgpr_count:     50
    .sgpr_spill_count: 0
    .symbol:         _ZL30rocblas_trsm_small_left_deviceILi4ELi4ELb1EffPKfPfEv13rocblas_fill_18rocblas_operation_17rocblas_diagonal_iiT3_T4_lilT5_lili.kd
    .uniform_work_group_size: 1
    .uses_dynamic_stack: false
    .vgpr_count:     21
    .vgpr_spill_count: 0
    .wavefront_size: 32
  - .args:
      - .offset:         0
        .size:           4
        .value_kind:     by_value
      - .offset:         4
        .size:           4
        .value_kind:     by_value
      - .offset:         8
        .size:           4
        .value_kind:     by_value
      - .offset:         12
        .size:           4
        .value_kind:     by_value
      - .offset:         16
        .size:           4
        .value_kind:     by_value
      - .offset:         20
        .size:           4
        .value_kind:     by_value
      - .address_space:  global
        .offset:         24
        .size:           8
        .value_kind:     global_buffer
      - .offset:         32
        .size:           8
        .value_kind:     by_value
      - .offset:         40
        .size:           4
        .value_kind:     by_value
      - .offset:         48
        .size:           8
        .value_kind:     by_value
      - .address_space:  global
        .offset:         56
        .size:           8
        .value_kind:     global_buffer
      - .offset:         64
        .size:           8
        .value_kind:     by_value
      - .offset:         72
        .size:           4
        .value_kind:     by_value
      - .offset:         80
        .size:           8
        .value_kind:     by_value
      - .offset:         88
        .size:           4
        .value_kind:     by_value
      - .offset:         96
        .size:           4
        .value_kind:     hidden_block_count_x
      - .offset:         100
        .size:           4
        .value_kind:     hidden_block_count_y
      - .offset:         104
        .size:           4
        .value_kind:     hidden_block_count_z
      - .offset:         108
        .size:           2
        .value_kind:     hidden_group_size_x
      - .offset:         110
        .size:           2
        .value_kind:     hidden_group_size_y
      - .offset:         112
        .size:           2
        .value_kind:     hidden_group_size_z
      - .offset:         114
        .size:           2
        .value_kind:     hidden_remainder_x
      - .offset:         116
        .size:           2
        .value_kind:     hidden_remainder_y
      - .offset:         118
        .size:           2
        .value_kind:     hidden_remainder_z
      - .offset:         136
        .size:           8
        .value_kind:     hidden_global_offset_x
      - .offset:         144
        .size:           8
        .value_kind:     hidden_global_offset_y
      - .offset:         152
        .size:           8
        .value_kind:     hidden_global_offset_z
      - .offset:         160
        .size:           2
        .value_kind:     hidden_grid_dims
    .group_segment_fixed_size: 128
    .kernarg_segment_align: 8
    .kernarg_segment_size: 352
    .language:       OpenCL C
    .language_version:
      - 2
      - 0
    .max_flat_workgroup_size: 4
    .name:           _ZL31rocblas_trsm_small_right_deviceIffPKfPfLi4EEv13rocblas_fill_18rocblas_operation_17rocblas_diagonal_iiT0_T1_lilT2_lili
    .private_segment_fixed_size: 0
    .sgpr_count:     60
    .sgpr_spill_count: 0
    .symbol:         _ZL31rocblas_trsm_small_right_deviceIffPKfPfLi4EEv13rocblas_fill_18rocblas_operation_17rocblas_diagonal_iiT0_T1_lilT2_lili.kd
    .uniform_work_group_size: 1
    .uses_dynamic_stack: false
    .vgpr_count:     32
    .vgpr_spill_count: 0
    .wavefront_size: 32
  - .args:
      - .offset:         0
        .size:           4
        .value_kind:     by_value
      - .offset:         4
        .size:           4
        .value_kind:     by_value
      - .offset:         8
        .size:           4
        .value_kind:     by_value
      - .offset:         12
        .size:           4
        .value_kind:     by_value
      - .offset:         16
        .size:           4
        .value_kind:     by_value
      - .offset:         20
        .size:           4
        .value_kind:     by_value
      - .address_space:  global
        .offset:         24
        .size:           8
        .value_kind:     global_buffer
      - .offset:         32
        .size:           8
        .value_kind:     by_value
      - .offset:         40
        .size:           4
        .value_kind:     by_value
      - .offset:         48
        .size:           8
        .value_kind:     by_value
      - .address_space:  global
        .offset:         56
        .size:           8
        .value_kind:     global_buffer
      - .offset:         64
        .size:           8
        .value_kind:     by_value
      - .offset:         72
        .size:           4
        .value_kind:     by_value
      - .offset:         80
        .size:           8
        .value_kind:     by_value
      - .offset:         88
        .size:           4
        .value_kind:     by_value
      - .offset:         96
        .size:           4
        .value_kind:     hidden_block_count_x
      - .offset:         100
        .size:           4
        .value_kind:     hidden_block_count_y
      - .offset:         104
        .size:           4
        .value_kind:     hidden_block_count_z
      - .offset:         108
        .size:           2
        .value_kind:     hidden_group_size_x
      - .offset:         110
        .size:           2
        .value_kind:     hidden_group_size_y
      - .offset:         112
        .size:           2
        .value_kind:     hidden_group_size_z
      - .offset:         114
        .size:           2
        .value_kind:     hidden_remainder_x
      - .offset:         116
        .size:           2
        .value_kind:     hidden_remainder_y
      - .offset:         118
        .size:           2
        .value_kind:     hidden_remainder_z
      - .offset:         136
        .size:           8
        .value_kind:     hidden_global_offset_x
      - .offset:         144
        .size:           8
        .value_kind:     hidden_global_offset_y
      - .offset:         152
        .size:           8
        .value_kind:     hidden_global_offset_z
      - .offset:         160
        .size:           2
        .value_kind:     hidden_grid_dims
    .group_segment_fixed_size: 512
    .kernarg_segment_align: 8
    .kernarg_segment_size: 352
    .language:       OpenCL C
    .language_version:
      - 2
      - 0
    .max_flat_workgroup_size: 8
    .name:           _ZL38rocblas_trsm_small_left_device_sharedBILi8ELi8ELb0EffPKfPfEv13rocblas_fill_18rocblas_operation_17rocblas_diagonal_iiT3_T4_lilT5_lili
    .private_segment_fixed_size: 0
    .sgpr_count:     43
    .sgpr_spill_count: 0
    .symbol:         _ZL38rocblas_trsm_small_left_device_sharedBILi8ELi8ELb0EffPKfPfEv13rocblas_fill_18rocblas_operation_17rocblas_diagonal_iiT3_T4_lilT5_lili.kd
    .uniform_work_group_size: 1
    .uses_dynamic_stack: false
    .vgpr_count:     29
    .vgpr_spill_count: 0
    .wavefront_size: 32
  - .args:
      - .offset:         0
        .size:           4
        .value_kind:     by_value
      - .offset:         4
        .size:           4
        .value_kind:     by_value
      - .offset:         8
        .size:           4
        .value_kind:     by_value
      - .offset:         12
        .size:           4
        .value_kind:     by_value
      - .offset:         16
        .size:           4
        .value_kind:     by_value
      - .offset:         20
        .size:           4
        .value_kind:     by_value
      - .address_space:  global
        .offset:         24
        .size:           8
        .value_kind:     global_buffer
      - .offset:         32
        .size:           8
        .value_kind:     by_value
      - .offset:         40
        .size:           4
        .value_kind:     by_value
      - .offset:         48
        .size:           8
        .value_kind:     by_value
      - .address_space:  global
        .offset:         56
        .size:           8
        .value_kind:     global_buffer
      - .offset:         64
        .size:           8
        .value_kind:     by_value
      - .offset:         72
        .size:           4
        .value_kind:     by_value
      - .offset:         80
        .size:           8
        .value_kind:     by_value
      - .offset:         88
        .size:           4
        .value_kind:     by_value
      - .offset:         96
        .size:           4
        .value_kind:     hidden_block_count_x
      - .offset:         100
        .size:           4
        .value_kind:     hidden_block_count_y
      - .offset:         104
        .size:           4
        .value_kind:     hidden_block_count_z
      - .offset:         108
        .size:           2
        .value_kind:     hidden_group_size_x
      - .offset:         110
        .size:           2
        .value_kind:     hidden_group_size_y
      - .offset:         112
        .size:           2
        .value_kind:     hidden_group_size_z
      - .offset:         114
        .size:           2
        .value_kind:     hidden_remainder_x
      - .offset:         116
        .size:           2
        .value_kind:     hidden_remainder_y
      - .offset:         118
        .size:           2
        .value_kind:     hidden_remainder_z
      - .offset:         136
        .size:           8
        .value_kind:     hidden_global_offset_x
      - .offset:         144
        .size:           8
        .value_kind:     hidden_global_offset_y
      - .offset:         152
        .size:           8
        .value_kind:     hidden_global_offset_z
      - .offset:         160
        .size:           2
        .value_kind:     hidden_grid_dims
    .group_segment_fixed_size: 256
    .kernarg_segment_align: 8
    .kernarg_segment_size: 352
    .language:       OpenCL C
    .language_version:
      - 2
      - 0
    .max_flat_workgroup_size: 8
    .name:           _ZL30rocblas_trsm_small_left_deviceILi8ELi8ELb0EffPKfPfEv13rocblas_fill_18rocblas_operation_17rocblas_diagonal_iiT3_T4_lilT5_lili
    .private_segment_fixed_size: 0
    .sgpr_count:     49
    .sgpr_spill_count: 0
    .symbol:         _ZL30rocblas_trsm_small_left_deviceILi8ELi8ELb0EffPKfPfEv13rocblas_fill_18rocblas_operation_17rocblas_diagonal_iiT3_T4_lilT5_lili.kd
    .uniform_work_group_size: 1
    .uses_dynamic_stack: false
    .vgpr_count:     31
    .vgpr_spill_count: 0
    .wavefront_size: 32
  - .args:
      - .offset:         0
        .size:           4
        .value_kind:     by_value
      - .offset:         4
        .size:           4
        .value_kind:     by_value
      - .offset:         8
        .size:           4
        .value_kind:     by_value
      - .offset:         12
        .size:           4
        .value_kind:     by_value
      - .offset:         16
        .size:           4
        .value_kind:     by_value
      - .offset:         20
        .size:           4
        .value_kind:     by_value
      - .address_space:  global
        .offset:         24
        .size:           8
        .value_kind:     global_buffer
      - .offset:         32
        .size:           8
        .value_kind:     by_value
      - .offset:         40
        .size:           4
        .value_kind:     by_value
      - .offset:         48
        .size:           8
        .value_kind:     by_value
      - .address_space:  global
        .offset:         56
        .size:           8
        .value_kind:     global_buffer
      - .offset:         64
        .size:           8
        .value_kind:     by_value
      - .offset:         72
        .size:           4
        .value_kind:     by_value
      - .offset:         80
        .size:           8
        .value_kind:     by_value
      - .offset:         88
        .size:           4
        .value_kind:     by_value
      - .offset:         96
        .size:           4
        .value_kind:     hidden_block_count_x
      - .offset:         100
        .size:           4
        .value_kind:     hidden_block_count_y
      - .offset:         104
        .size:           4
        .value_kind:     hidden_block_count_z
      - .offset:         108
        .size:           2
        .value_kind:     hidden_group_size_x
      - .offset:         110
        .size:           2
        .value_kind:     hidden_group_size_y
      - .offset:         112
        .size:           2
        .value_kind:     hidden_group_size_z
      - .offset:         114
        .size:           2
        .value_kind:     hidden_remainder_x
      - .offset:         116
        .size:           2
        .value_kind:     hidden_remainder_y
      - .offset:         118
        .size:           2
        .value_kind:     hidden_remainder_z
      - .offset:         136
        .size:           8
        .value_kind:     hidden_global_offset_x
      - .offset:         144
        .size:           8
        .value_kind:     hidden_global_offset_y
      - .offset:         152
        .size:           8
        .value_kind:     hidden_global_offset_z
      - .offset:         160
        .size:           2
        .value_kind:     hidden_grid_dims
    .group_segment_fixed_size: 512
    .kernarg_segment_align: 8
    .kernarg_segment_size: 352
    .language:       OpenCL C
    .language_version:
      - 2
      - 0
    .max_flat_workgroup_size: 8
    .name:           _ZL38rocblas_trsm_small_left_device_sharedBILi8ELi8ELb1EffPKfPfEv13rocblas_fill_18rocblas_operation_17rocblas_diagonal_iiT3_T4_lilT5_lili
    .private_segment_fixed_size: 0
    .sgpr_count:     43
    .sgpr_spill_count: 0
    .symbol:         _ZL38rocblas_trsm_small_left_device_sharedBILi8ELi8ELb1EffPKfPfEv13rocblas_fill_18rocblas_operation_17rocblas_diagonal_iiT3_T4_lilT5_lili.kd
    .uniform_work_group_size: 1
    .uses_dynamic_stack: false
    .vgpr_count:     29
    .vgpr_spill_count: 0
    .wavefront_size: 32
  - .args:
      - .offset:         0
        .size:           4
        .value_kind:     by_value
      - .offset:         4
        .size:           4
        .value_kind:     by_value
      - .offset:         8
        .size:           4
        .value_kind:     by_value
      - .offset:         12
        .size:           4
        .value_kind:     by_value
      - .offset:         16
        .size:           4
        .value_kind:     by_value
      - .offset:         20
        .size:           4
        .value_kind:     by_value
      - .address_space:  global
        .offset:         24
        .size:           8
        .value_kind:     global_buffer
      - .offset:         32
        .size:           8
        .value_kind:     by_value
      - .offset:         40
        .size:           4
        .value_kind:     by_value
      - .offset:         48
        .size:           8
        .value_kind:     by_value
      - .address_space:  global
        .offset:         56
        .size:           8
        .value_kind:     global_buffer
      - .offset:         64
        .size:           8
        .value_kind:     by_value
      - .offset:         72
        .size:           4
        .value_kind:     by_value
      - .offset:         80
        .size:           8
        .value_kind:     by_value
      - .offset:         88
        .size:           4
        .value_kind:     by_value
      - .offset:         96
        .size:           4
        .value_kind:     hidden_block_count_x
      - .offset:         100
        .size:           4
        .value_kind:     hidden_block_count_y
      - .offset:         104
        .size:           4
        .value_kind:     hidden_block_count_z
      - .offset:         108
        .size:           2
        .value_kind:     hidden_group_size_x
      - .offset:         110
        .size:           2
        .value_kind:     hidden_group_size_y
      - .offset:         112
        .size:           2
        .value_kind:     hidden_group_size_z
      - .offset:         114
        .size:           2
        .value_kind:     hidden_remainder_x
      - .offset:         116
        .size:           2
        .value_kind:     hidden_remainder_y
      - .offset:         118
        .size:           2
        .value_kind:     hidden_remainder_z
      - .offset:         136
        .size:           8
        .value_kind:     hidden_global_offset_x
      - .offset:         144
        .size:           8
        .value_kind:     hidden_global_offset_y
      - .offset:         152
        .size:           8
        .value_kind:     hidden_global_offset_z
      - .offset:         160
        .size:           2
        .value_kind:     hidden_grid_dims
    .group_segment_fixed_size: 256
    .kernarg_segment_align: 8
    .kernarg_segment_size: 352
    .language:       OpenCL C
    .language_version:
      - 2
      - 0
    .max_flat_workgroup_size: 8
    .name:           _ZL30rocblas_trsm_small_left_deviceILi8ELi8ELb1EffPKfPfEv13rocblas_fill_18rocblas_operation_17rocblas_diagonal_iiT3_T4_lilT5_lili
    .private_segment_fixed_size: 0
    .sgpr_count:     50
    .sgpr_spill_count: 0
    .symbol:         _ZL30rocblas_trsm_small_left_deviceILi8ELi8ELb1EffPKfPfEv13rocblas_fill_18rocblas_operation_17rocblas_diagonal_iiT3_T4_lilT5_lili.kd
    .uniform_work_group_size: 1
    .uses_dynamic_stack: false
    .vgpr_count:     29
    .vgpr_spill_count: 0
    .wavefront_size: 32
  - .args:
      - .offset:         0
        .size:           4
        .value_kind:     by_value
      - .offset:         4
        .size:           4
        .value_kind:     by_value
      - .offset:         8
        .size:           4
        .value_kind:     by_value
      - .offset:         12
        .size:           4
        .value_kind:     by_value
      - .offset:         16
        .size:           4
        .value_kind:     by_value
      - .offset:         20
        .size:           4
        .value_kind:     by_value
      - .address_space:  global
        .offset:         24
        .size:           8
        .value_kind:     global_buffer
      - .offset:         32
        .size:           8
        .value_kind:     by_value
      - .offset:         40
        .size:           4
        .value_kind:     by_value
      - .offset:         48
        .size:           8
        .value_kind:     by_value
      - .address_space:  global
        .offset:         56
        .size:           8
        .value_kind:     global_buffer
      - .offset:         64
        .size:           8
        .value_kind:     by_value
      - .offset:         72
        .size:           4
        .value_kind:     by_value
      - .offset:         80
        .size:           8
        .value_kind:     by_value
      - .offset:         88
        .size:           4
        .value_kind:     by_value
      - .offset:         96
        .size:           4
        .value_kind:     hidden_block_count_x
      - .offset:         100
        .size:           4
        .value_kind:     hidden_block_count_y
      - .offset:         104
        .size:           4
        .value_kind:     hidden_block_count_z
      - .offset:         108
        .size:           2
        .value_kind:     hidden_group_size_x
      - .offset:         110
        .size:           2
        .value_kind:     hidden_group_size_y
      - .offset:         112
        .size:           2
        .value_kind:     hidden_group_size_z
      - .offset:         114
        .size:           2
        .value_kind:     hidden_remainder_x
      - .offset:         116
        .size:           2
        .value_kind:     hidden_remainder_y
      - .offset:         118
        .size:           2
        .value_kind:     hidden_remainder_z
      - .offset:         136
        .size:           8
        .value_kind:     hidden_global_offset_x
      - .offset:         144
        .size:           8
        .value_kind:     hidden_global_offset_y
      - .offset:         152
        .size:           8
        .value_kind:     hidden_global_offset_z
      - .offset:         160
        .size:           2
        .value_kind:     hidden_grid_dims
    .group_segment_fixed_size: 512
    .kernarg_segment_align: 8
    .kernarg_segment_size: 352
    .language:       OpenCL C
    .language_version:
      - 2
      - 0
    .max_flat_workgroup_size: 8
    .name:           _ZL31rocblas_trsm_small_right_deviceIffPKfPfLi8EEv13rocblas_fill_18rocblas_operation_17rocblas_diagonal_iiT0_T1_lilT2_lili
    .private_segment_fixed_size: 0
    .sgpr_count:     49
    .sgpr_spill_count: 0
    .symbol:         _ZL31rocblas_trsm_small_right_deviceIffPKfPfLi8EEv13rocblas_fill_18rocblas_operation_17rocblas_diagonal_iiT0_T1_lilT2_lili.kd
    .uniform_work_group_size: 1
    .uses_dynamic_stack: false
    .vgpr_count:     32
    .vgpr_spill_count: 0
    .wavefront_size: 32
  - .args:
      - .offset:         0
        .size:           4
        .value_kind:     by_value
      - .offset:         4
        .size:           4
        .value_kind:     by_value
      - .offset:         8
        .size:           4
        .value_kind:     by_value
      - .offset:         12
        .size:           4
        .value_kind:     by_value
      - .offset:         16
        .size:           4
        .value_kind:     by_value
      - .offset:         20
        .size:           4
        .value_kind:     by_value
      - .address_space:  global
        .offset:         24
        .size:           8
        .value_kind:     global_buffer
      - .offset:         32
        .size:           8
        .value_kind:     by_value
      - .offset:         40
        .size:           4
        .value_kind:     by_value
      - .offset:         48
        .size:           8
        .value_kind:     by_value
      - .address_space:  global
        .offset:         56
        .size:           8
        .value_kind:     global_buffer
      - .offset:         64
        .size:           8
        .value_kind:     by_value
      - .offset:         72
        .size:           4
        .value_kind:     by_value
      - .offset:         80
        .size:           8
        .value_kind:     by_value
      - .offset:         88
        .size:           4
        .value_kind:     by_value
      - .offset:         96
        .size:           4
        .value_kind:     hidden_block_count_x
      - .offset:         100
        .size:           4
        .value_kind:     hidden_block_count_y
      - .offset:         104
        .size:           4
        .value_kind:     hidden_block_count_z
      - .offset:         108
        .size:           2
        .value_kind:     hidden_group_size_x
      - .offset:         110
        .size:           2
        .value_kind:     hidden_group_size_y
      - .offset:         112
        .size:           2
        .value_kind:     hidden_group_size_z
      - .offset:         114
        .size:           2
        .value_kind:     hidden_remainder_x
      - .offset:         116
        .size:           2
        .value_kind:     hidden_remainder_y
      - .offset:         118
        .size:           2
        .value_kind:     hidden_remainder_z
      - .offset:         136
        .size:           8
        .value_kind:     hidden_global_offset_x
      - .offset:         144
        .size:           8
        .value_kind:     hidden_global_offset_y
      - .offset:         152
        .size:           8
        .value_kind:     hidden_global_offset_z
      - .offset:         160
        .size:           2
        .value_kind:     hidden_grid_dims
    .group_segment_fixed_size: 1152
    .kernarg_segment_align: 8
    .kernarg_segment_size: 352
    .language:       OpenCL C
    .language_version:
      - 2
      - 0
    .max_flat_workgroup_size: 12
    .name:           _ZL38rocblas_trsm_small_left_device_sharedBILi12ELi12ELb0EffPKfPfEv13rocblas_fill_18rocblas_operation_17rocblas_diagonal_iiT3_T4_lilT5_lili
    .private_segment_fixed_size: 0
    .sgpr_count:     43
    .sgpr_spill_count: 0
    .symbol:         _ZL38rocblas_trsm_small_left_device_sharedBILi12ELi12ELb0EffPKfPfEv13rocblas_fill_18rocblas_operation_17rocblas_diagonal_iiT3_T4_lilT5_lili.kd
    .uniform_work_group_size: 1
    .uses_dynamic_stack: false
    .vgpr_count:     37
    .vgpr_spill_count: 0
    .wavefront_size: 32
  - .args:
      - .offset:         0
        .size:           4
        .value_kind:     by_value
      - .offset:         4
        .size:           4
        .value_kind:     by_value
      - .offset:         8
        .size:           4
        .value_kind:     by_value
      - .offset:         12
        .size:           4
        .value_kind:     by_value
      - .offset:         16
        .size:           4
        .value_kind:     by_value
      - .offset:         20
        .size:           4
        .value_kind:     by_value
      - .address_space:  global
        .offset:         24
        .size:           8
        .value_kind:     global_buffer
      - .offset:         32
        .size:           8
        .value_kind:     by_value
      - .offset:         40
        .size:           4
        .value_kind:     by_value
      - .offset:         48
        .size:           8
        .value_kind:     by_value
      - .address_space:  global
        .offset:         56
        .size:           8
        .value_kind:     global_buffer
      - .offset:         64
        .size:           8
        .value_kind:     by_value
      - .offset:         72
        .size:           4
        .value_kind:     by_value
      - .offset:         80
        .size:           8
        .value_kind:     by_value
      - .offset:         88
        .size:           4
        .value_kind:     by_value
      - .offset:         96
        .size:           4
        .value_kind:     hidden_block_count_x
      - .offset:         100
        .size:           4
        .value_kind:     hidden_block_count_y
      - .offset:         104
        .size:           4
        .value_kind:     hidden_block_count_z
      - .offset:         108
        .size:           2
        .value_kind:     hidden_group_size_x
      - .offset:         110
        .size:           2
        .value_kind:     hidden_group_size_y
      - .offset:         112
        .size:           2
        .value_kind:     hidden_group_size_z
      - .offset:         114
        .size:           2
        .value_kind:     hidden_remainder_x
      - .offset:         116
        .size:           2
        .value_kind:     hidden_remainder_y
      - .offset:         118
        .size:           2
        .value_kind:     hidden_remainder_z
      - .offset:         136
        .size:           8
        .value_kind:     hidden_global_offset_x
      - .offset:         144
        .size:           8
        .value_kind:     hidden_global_offset_y
      - .offset:         152
        .size:           8
        .value_kind:     hidden_global_offset_z
      - .offset:         160
        .size:           2
        .value_kind:     hidden_grid_dims
    .group_segment_fixed_size: 576
    .kernarg_segment_align: 8
    .kernarg_segment_size: 352
    .language:       OpenCL C
    .language_version:
      - 2
      - 0
    .max_flat_workgroup_size: 12
    .name:           _ZL30rocblas_trsm_small_left_deviceILi12ELi12ELb0EffPKfPfEv13rocblas_fill_18rocblas_operation_17rocblas_diagonal_iiT3_T4_lilT5_lili
    .private_segment_fixed_size: 0
    .sgpr_count:     49
    .sgpr_spill_count: 0
    .symbol:         _ZL30rocblas_trsm_small_left_deviceILi12ELi12ELb0EffPKfPfEv13rocblas_fill_18rocblas_operation_17rocblas_diagonal_iiT3_T4_lilT5_lili.kd
    .uniform_work_group_size: 1
    .uses_dynamic_stack: false
    .vgpr_count:     39
    .vgpr_spill_count: 0
    .wavefront_size: 32
  - .args:
      - .offset:         0
        .size:           4
        .value_kind:     by_value
      - .offset:         4
        .size:           4
        .value_kind:     by_value
      - .offset:         8
        .size:           4
        .value_kind:     by_value
      - .offset:         12
        .size:           4
        .value_kind:     by_value
      - .offset:         16
        .size:           4
        .value_kind:     by_value
      - .offset:         20
        .size:           4
        .value_kind:     by_value
      - .address_space:  global
        .offset:         24
        .size:           8
        .value_kind:     global_buffer
      - .offset:         32
        .size:           8
        .value_kind:     by_value
      - .offset:         40
        .size:           4
        .value_kind:     by_value
      - .offset:         48
        .size:           8
        .value_kind:     by_value
      - .address_space:  global
        .offset:         56
        .size:           8
        .value_kind:     global_buffer
      - .offset:         64
        .size:           8
        .value_kind:     by_value
      - .offset:         72
        .size:           4
        .value_kind:     by_value
      - .offset:         80
        .size:           8
        .value_kind:     by_value
      - .offset:         88
        .size:           4
        .value_kind:     by_value
      - .offset:         96
        .size:           4
        .value_kind:     hidden_block_count_x
      - .offset:         100
        .size:           4
        .value_kind:     hidden_block_count_y
      - .offset:         104
        .size:           4
        .value_kind:     hidden_block_count_z
      - .offset:         108
        .size:           2
        .value_kind:     hidden_group_size_x
      - .offset:         110
        .size:           2
        .value_kind:     hidden_group_size_y
      - .offset:         112
        .size:           2
        .value_kind:     hidden_group_size_z
      - .offset:         114
        .size:           2
        .value_kind:     hidden_remainder_x
      - .offset:         116
        .size:           2
        .value_kind:     hidden_remainder_y
      - .offset:         118
        .size:           2
        .value_kind:     hidden_remainder_z
      - .offset:         136
        .size:           8
        .value_kind:     hidden_global_offset_x
      - .offset:         144
        .size:           8
        .value_kind:     hidden_global_offset_y
      - .offset:         152
        .size:           8
        .value_kind:     hidden_global_offset_z
      - .offset:         160
        .size:           2
        .value_kind:     hidden_grid_dims
    .group_segment_fixed_size: 1152
    .kernarg_segment_align: 8
    .kernarg_segment_size: 352
    .language:       OpenCL C
    .language_version:
      - 2
      - 0
    .max_flat_workgroup_size: 12
    .name:           _ZL38rocblas_trsm_small_left_device_sharedBILi12ELi12ELb1EffPKfPfEv13rocblas_fill_18rocblas_operation_17rocblas_diagonal_iiT3_T4_lilT5_lili
    .private_segment_fixed_size: 0
    .sgpr_count:     43
    .sgpr_spill_count: 0
    .symbol:         _ZL38rocblas_trsm_small_left_device_sharedBILi12ELi12ELb1EffPKfPfEv13rocblas_fill_18rocblas_operation_17rocblas_diagonal_iiT3_T4_lilT5_lili.kd
    .uniform_work_group_size: 1
    .uses_dynamic_stack: false
    .vgpr_count:     37
    .vgpr_spill_count: 0
    .wavefront_size: 32
  - .args:
      - .offset:         0
        .size:           4
        .value_kind:     by_value
      - .offset:         4
        .size:           4
        .value_kind:     by_value
      - .offset:         8
        .size:           4
        .value_kind:     by_value
      - .offset:         12
        .size:           4
        .value_kind:     by_value
      - .offset:         16
        .size:           4
        .value_kind:     by_value
      - .offset:         20
        .size:           4
        .value_kind:     by_value
      - .address_space:  global
        .offset:         24
        .size:           8
        .value_kind:     global_buffer
      - .offset:         32
        .size:           8
        .value_kind:     by_value
      - .offset:         40
        .size:           4
        .value_kind:     by_value
      - .offset:         48
        .size:           8
        .value_kind:     by_value
      - .address_space:  global
        .offset:         56
        .size:           8
        .value_kind:     global_buffer
      - .offset:         64
        .size:           8
        .value_kind:     by_value
      - .offset:         72
        .size:           4
        .value_kind:     by_value
      - .offset:         80
        .size:           8
        .value_kind:     by_value
      - .offset:         88
        .size:           4
        .value_kind:     by_value
      - .offset:         96
        .size:           4
        .value_kind:     hidden_block_count_x
      - .offset:         100
        .size:           4
        .value_kind:     hidden_block_count_y
      - .offset:         104
        .size:           4
        .value_kind:     hidden_block_count_z
      - .offset:         108
        .size:           2
        .value_kind:     hidden_group_size_x
      - .offset:         110
        .size:           2
        .value_kind:     hidden_group_size_y
      - .offset:         112
        .size:           2
        .value_kind:     hidden_group_size_z
      - .offset:         114
        .size:           2
        .value_kind:     hidden_remainder_x
      - .offset:         116
        .size:           2
        .value_kind:     hidden_remainder_y
      - .offset:         118
        .size:           2
        .value_kind:     hidden_remainder_z
      - .offset:         136
        .size:           8
        .value_kind:     hidden_global_offset_x
      - .offset:         144
        .size:           8
        .value_kind:     hidden_global_offset_y
      - .offset:         152
        .size:           8
        .value_kind:     hidden_global_offset_z
      - .offset:         160
        .size:           2
        .value_kind:     hidden_grid_dims
    .group_segment_fixed_size: 576
    .kernarg_segment_align: 8
    .kernarg_segment_size: 352
    .language:       OpenCL C
    .language_version:
      - 2
      - 0
    .max_flat_workgroup_size: 12
    .name:           _ZL30rocblas_trsm_small_left_deviceILi12ELi12ELb1EffPKfPfEv13rocblas_fill_18rocblas_operation_17rocblas_diagonal_iiT3_T4_lilT5_lili
    .private_segment_fixed_size: 0
    .sgpr_count:     50
    .sgpr_spill_count: 0
    .symbol:         _ZL30rocblas_trsm_small_left_deviceILi12ELi12ELb1EffPKfPfEv13rocblas_fill_18rocblas_operation_17rocblas_diagonal_iiT3_T4_lilT5_lili.kd
    .uniform_work_group_size: 1
    .uses_dynamic_stack: false
    .vgpr_count:     37
    .vgpr_spill_count: 0
    .wavefront_size: 32
  - .args:
      - .offset:         0
        .size:           4
        .value_kind:     by_value
      - .offset:         4
        .size:           4
        .value_kind:     by_value
      - .offset:         8
        .size:           4
        .value_kind:     by_value
      - .offset:         12
        .size:           4
        .value_kind:     by_value
      - .offset:         16
        .size:           4
        .value_kind:     by_value
      - .offset:         20
        .size:           4
        .value_kind:     by_value
      - .address_space:  global
        .offset:         24
        .size:           8
        .value_kind:     global_buffer
      - .offset:         32
        .size:           8
        .value_kind:     by_value
      - .offset:         40
        .size:           4
        .value_kind:     by_value
      - .offset:         48
        .size:           8
        .value_kind:     by_value
      - .address_space:  global
        .offset:         56
        .size:           8
        .value_kind:     global_buffer
      - .offset:         64
        .size:           8
        .value_kind:     by_value
      - .offset:         72
        .size:           4
        .value_kind:     by_value
      - .offset:         80
        .size:           8
        .value_kind:     by_value
      - .offset:         88
        .size:           4
        .value_kind:     by_value
      - .offset:         96
        .size:           4
        .value_kind:     hidden_block_count_x
      - .offset:         100
        .size:           4
        .value_kind:     hidden_block_count_y
      - .offset:         104
        .size:           4
        .value_kind:     hidden_block_count_z
      - .offset:         108
        .size:           2
        .value_kind:     hidden_group_size_x
      - .offset:         110
        .size:           2
        .value_kind:     hidden_group_size_y
      - .offset:         112
        .size:           2
        .value_kind:     hidden_group_size_z
      - .offset:         114
        .size:           2
        .value_kind:     hidden_remainder_x
      - .offset:         116
        .size:           2
        .value_kind:     hidden_remainder_y
      - .offset:         118
        .size:           2
        .value_kind:     hidden_remainder_z
      - .offset:         136
        .size:           8
        .value_kind:     hidden_global_offset_x
      - .offset:         144
        .size:           8
        .value_kind:     hidden_global_offset_y
      - .offset:         152
        .size:           8
        .value_kind:     hidden_global_offset_z
      - .offset:         160
        .size:           2
        .value_kind:     hidden_grid_dims
    .group_segment_fixed_size: 1152
    .kernarg_segment_align: 8
    .kernarg_segment_size: 352
    .language:       OpenCL C
    .language_version:
      - 2
      - 0
    .max_flat_workgroup_size: 12
    .name:           _ZL31rocblas_trsm_small_right_deviceIffPKfPfLi12EEv13rocblas_fill_18rocblas_operation_17rocblas_diagonal_iiT0_T1_lilT2_lili
    .private_segment_fixed_size: 0
    .sgpr_count:     49
    .sgpr_spill_count: 0
    .symbol:         _ZL31rocblas_trsm_small_right_deviceIffPKfPfLi12EEv13rocblas_fill_18rocblas_operation_17rocblas_diagonal_iiT0_T1_lilT2_lili.kd
    .uniform_work_group_size: 1
    .uses_dynamic_stack: false
    .vgpr_count:     32
    .vgpr_spill_count: 0
    .wavefront_size: 32
  - .args:
      - .offset:         0
        .size:           4
        .value_kind:     by_value
      - .offset:         4
        .size:           4
        .value_kind:     by_value
      - .offset:         8
        .size:           4
        .value_kind:     by_value
      - .offset:         12
        .size:           4
        .value_kind:     by_value
      - .offset:         16
        .size:           4
        .value_kind:     by_value
      - .offset:         20
        .size:           4
        .value_kind:     by_value
      - .address_space:  global
        .offset:         24
        .size:           8
        .value_kind:     global_buffer
      - .offset:         32
        .size:           8
        .value_kind:     by_value
      - .offset:         40
        .size:           4
        .value_kind:     by_value
      - .offset:         48
        .size:           8
        .value_kind:     by_value
      - .address_space:  global
        .offset:         56
        .size:           8
        .value_kind:     global_buffer
      - .offset:         64
        .size:           8
        .value_kind:     by_value
      - .offset:         72
        .size:           4
        .value_kind:     by_value
      - .offset:         80
        .size:           8
        .value_kind:     by_value
      - .offset:         88
        .size:           4
        .value_kind:     by_value
      - .offset:         96
        .size:           4
        .value_kind:     hidden_block_count_x
      - .offset:         100
        .size:           4
        .value_kind:     hidden_block_count_y
      - .offset:         104
        .size:           4
        .value_kind:     hidden_block_count_z
      - .offset:         108
        .size:           2
        .value_kind:     hidden_group_size_x
      - .offset:         110
        .size:           2
        .value_kind:     hidden_group_size_y
      - .offset:         112
        .size:           2
        .value_kind:     hidden_group_size_z
      - .offset:         114
        .size:           2
        .value_kind:     hidden_remainder_x
      - .offset:         116
        .size:           2
        .value_kind:     hidden_remainder_y
      - .offset:         118
        .size:           2
        .value_kind:     hidden_remainder_z
      - .offset:         136
        .size:           8
        .value_kind:     hidden_global_offset_x
      - .offset:         144
        .size:           8
        .value_kind:     hidden_global_offset_y
      - .offset:         152
        .size:           8
        .value_kind:     hidden_global_offset_z
      - .offset:         160
        .size:           2
        .value_kind:     hidden_grid_dims
    .group_segment_fixed_size: 2048
    .kernarg_segment_align: 8
    .kernarg_segment_size: 352
    .language:       OpenCL C
    .language_version:
      - 2
      - 0
    .max_flat_workgroup_size: 16
    .name:           _ZL38rocblas_trsm_small_left_device_sharedBILi16ELi16ELb0EffPKfPfEv13rocblas_fill_18rocblas_operation_17rocblas_diagonal_iiT3_T4_lilT5_lili
    .private_segment_fixed_size: 0
    .sgpr_count:     49
    .sgpr_spill_count: 0
    .symbol:         _ZL38rocblas_trsm_small_left_device_sharedBILi16ELi16ELb0EffPKfPfEv13rocblas_fill_18rocblas_operation_17rocblas_diagonal_iiT3_T4_lilT5_lili.kd
    .uniform_work_group_size: 1
    .uses_dynamic_stack: false
    .vgpr_count:     45
    .vgpr_spill_count: 0
    .wavefront_size: 32
  - .args:
      - .offset:         0
        .size:           4
        .value_kind:     by_value
      - .offset:         4
        .size:           4
        .value_kind:     by_value
      - .offset:         8
        .size:           4
        .value_kind:     by_value
      - .offset:         12
        .size:           4
        .value_kind:     by_value
      - .offset:         16
        .size:           4
        .value_kind:     by_value
      - .offset:         20
        .size:           4
        .value_kind:     by_value
      - .address_space:  global
        .offset:         24
        .size:           8
        .value_kind:     global_buffer
      - .offset:         32
        .size:           8
        .value_kind:     by_value
      - .offset:         40
        .size:           4
        .value_kind:     by_value
      - .offset:         48
        .size:           8
        .value_kind:     by_value
      - .address_space:  global
        .offset:         56
        .size:           8
        .value_kind:     global_buffer
      - .offset:         64
        .size:           8
        .value_kind:     by_value
      - .offset:         72
        .size:           4
        .value_kind:     by_value
      - .offset:         80
        .size:           8
        .value_kind:     by_value
      - .offset:         88
        .size:           4
        .value_kind:     by_value
      - .offset:         96
        .size:           4
        .value_kind:     hidden_block_count_x
      - .offset:         100
        .size:           4
        .value_kind:     hidden_block_count_y
      - .offset:         104
        .size:           4
        .value_kind:     hidden_block_count_z
      - .offset:         108
        .size:           2
        .value_kind:     hidden_group_size_x
      - .offset:         110
        .size:           2
        .value_kind:     hidden_group_size_y
      - .offset:         112
        .size:           2
        .value_kind:     hidden_group_size_z
      - .offset:         114
        .size:           2
        .value_kind:     hidden_remainder_x
      - .offset:         116
        .size:           2
        .value_kind:     hidden_remainder_y
      - .offset:         118
        .size:           2
        .value_kind:     hidden_remainder_z
      - .offset:         136
        .size:           8
        .value_kind:     hidden_global_offset_x
      - .offset:         144
        .size:           8
        .value_kind:     hidden_global_offset_y
      - .offset:         152
        .size:           8
        .value_kind:     hidden_global_offset_z
      - .offset:         160
        .size:           2
        .value_kind:     hidden_grid_dims
    .group_segment_fixed_size: 1024
    .kernarg_segment_align: 8
    .kernarg_segment_size: 352
    .language:       OpenCL C
    .language_version:
      - 2
      - 0
    .max_flat_workgroup_size: 16
    .name:           _ZL30rocblas_trsm_small_left_deviceILi16ELi16ELb0EffPKfPfEv13rocblas_fill_18rocblas_operation_17rocblas_diagonal_iiT3_T4_lilT5_lili
    .private_segment_fixed_size: 0
    .sgpr_count:     49
    .sgpr_spill_count: 0
    .symbol:         _ZL30rocblas_trsm_small_left_deviceILi16ELi16ELb0EffPKfPfEv13rocblas_fill_18rocblas_operation_17rocblas_diagonal_iiT3_T4_lilT5_lili.kd
    .uniform_work_group_size: 1
    .uses_dynamic_stack: false
    .vgpr_count:     47
    .vgpr_spill_count: 0
    .wavefront_size: 32
  - .args:
      - .offset:         0
        .size:           4
        .value_kind:     by_value
      - .offset:         4
        .size:           4
        .value_kind:     by_value
      - .offset:         8
        .size:           4
        .value_kind:     by_value
      - .offset:         12
        .size:           4
        .value_kind:     by_value
      - .offset:         16
        .size:           4
        .value_kind:     by_value
      - .offset:         20
        .size:           4
        .value_kind:     by_value
      - .address_space:  global
        .offset:         24
        .size:           8
        .value_kind:     global_buffer
      - .offset:         32
        .size:           8
        .value_kind:     by_value
      - .offset:         40
        .size:           4
        .value_kind:     by_value
      - .offset:         48
        .size:           8
        .value_kind:     by_value
      - .address_space:  global
        .offset:         56
        .size:           8
        .value_kind:     global_buffer
      - .offset:         64
        .size:           8
        .value_kind:     by_value
      - .offset:         72
        .size:           4
        .value_kind:     by_value
      - .offset:         80
        .size:           8
        .value_kind:     by_value
      - .offset:         88
        .size:           4
        .value_kind:     by_value
      - .offset:         96
        .size:           4
        .value_kind:     hidden_block_count_x
      - .offset:         100
        .size:           4
        .value_kind:     hidden_block_count_y
      - .offset:         104
        .size:           4
        .value_kind:     hidden_block_count_z
      - .offset:         108
        .size:           2
        .value_kind:     hidden_group_size_x
      - .offset:         110
        .size:           2
        .value_kind:     hidden_group_size_y
      - .offset:         112
        .size:           2
        .value_kind:     hidden_group_size_z
      - .offset:         114
        .size:           2
        .value_kind:     hidden_remainder_x
      - .offset:         116
        .size:           2
        .value_kind:     hidden_remainder_y
      - .offset:         118
        .size:           2
        .value_kind:     hidden_remainder_z
      - .offset:         136
        .size:           8
        .value_kind:     hidden_global_offset_x
      - .offset:         144
        .size:           8
        .value_kind:     hidden_global_offset_y
      - .offset:         152
        .size:           8
        .value_kind:     hidden_global_offset_z
      - .offset:         160
        .size:           2
        .value_kind:     hidden_grid_dims
    .group_segment_fixed_size: 2048
    .kernarg_segment_align: 8
    .kernarg_segment_size: 352
    .language:       OpenCL C
    .language_version:
      - 2
      - 0
    .max_flat_workgroup_size: 16
    .name:           _ZL38rocblas_trsm_small_left_device_sharedBILi16ELi16ELb1EffPKfPfEv13rocblas_fill_18rocblas_operation_17rocblas_diagonal_iiT3_T4_lilT5_lili
    .private_segment_fixed_size: 0
    .sgpr_count:     49
    .sgpr_spill_count: 0
    .symbol:         _ZL38rocblas_trsm_small_left_device_sharedBILi16ELi16ELb1EffPKfPfEv13rocblas_fill_18rocblas_operation_17rocblas_diagonal_iiT3_T4_lilT5_lili.kd
    .uniform_work_group_size: 1
    .uses_dynamic_stack: false
    .vgpr_count:     45
    .vgpr_spill_count: 0
    .wavefront_size: 32
  - .args:
      - .offset:         0
        .size:           4
        .value_kind:     by_value
      - .offset:         4
        .size:           4
        .value_kind:     by_value
      - .offset:         8
        .size:           4
        .value_kind:     by_value
      - .offset:         12
        .size:           4
        .value_kind:     by_value
      - .offset:         16
        .size:           4
        .value_kind:     by_value
      - .offset:         20
        .size:           4
        .value_kind:     by_value
      - .address_space:  global
        .offset:         24
        .size:           8
        .value_kind:     global_buffer
      - .offset:         32
        .size:           8
        .value_kind:     by_value
      - .offset:         40
        .size:           4
        .value_kind:     by_value
      - .offset:         48
        .size:           8
        .value_kind:     by_value
      - .address_space:  global
        .offset:         56
        .size:           8
        .value_kind:     global_buffer
      - .offset:         64
        .size:           8
        .value_kind:     by_value
      - .offset:         72
        .size:           4
        .value_kind:     by_value
      - .offset:         80
        .size:           8
        .value_kind:     by_value
      - .offset:         88
        .size:           4
        .value_kind:     by_value
      - .offset:         96
        .size:           4
        .value_kind:     hidden_block_count_x
      - .offset:         100
        .size:           4
        .value_kind:     hidden_block_count_y
      - .offset:         104
        .size:           4
        .value_kind:     hidden_block_count_z
      - .offset:         108
        .size:           2
        .value_kind:     hidden_group_size_x
      - .offset:         110
        .size:           2
        .value_kind:     hidden_group_size_y
      - .offset:         112
        .size:           2
        .value_kind:     hidden_group_size_z
      - .offset:         114
        .size:           2
        .value_kind:     hidden_remainder_x
      - .offset:         116
        .size:           2
        .value_kind:     hidden_remainder_y
      - .offset:         118
        .size:           2
        .value_kind:     hidden_remainder_z
      - .offset:         136
        .size:           8
        .value_kind:     hidden_global_offset_x
      - .offset:         144
        .size:           8
        .value_kind:     hidden_global_offset_y
      - .offset:         152
        .size:           8
        .value_kind:     hidden_global_offset_z
      - .offset:         160
        .size:           2
        .value_kind:     hidden_grid_dims
    .group_segment_fixed_size: 1024
    .kernarg_segment_align: 8
    .kernarg_segment_size: 352
    .language:       OpenCL C
    .language_version:
      - 2
      - 0
    .max_flat_workgroup_size: 16
    .name:           _ZL30rocblas_trsm_small_left_deviceILi16ELi16ELb1EffPKfPfEv13rocblas_fill_18rocblas_operation_17rocblas_diagonal_iiT3_T4_lilT5_lili
    .private_segment_fixed_size: 0
    .sgpr_count:     50
    .sgpr_spill_count: 0
    .symbol:         _ZL30rocblas_trsm_small_left_deviceILi16ELi16ELb1EffPKfPfEv13rocblas_fill_18rocblas_operation_17rocblas_diagonal_iiT3_T4_lilT5_lili.kd
    .uniform_work_group_size: 1
    .uses_dynamic_stack: false
    .vgpr_count:     45
    .vgpr_spill_count: 0
    .wavefront_size: 32
  - .args:
      - .offset:         0
        .size:           4
        .value_kind:     by_value
      - .offset:         4
        .size:           4
        .value_kind:     by_value
      - .offset:         8
        .size:           4
        .value_kind:     by_value
      - .offset:         12
        .size:           4
        .value_kind:     by_value
      - .offset:         16
        .size:           4
        .value_kind:     by_value
      - .offset:         20
        .size:           4
        .value_kind:     by_value
      - .address_space:  global
        .offset:         24
        .size:           8
        .value_kind:     global_buffer
      - .offset:         32
        .size:           8
        .value_kind:     by_value
      - .offset:         40
        .size:           4
        .value_kind:     by_value
      - .offset:         48
        .size:           8
        .value_kind:     by_value
      - .address_space:  global
        .offset:         56
        .size:           8
        .value_kind:     global_buffer
      - .offset:         64
        .size:           8
        .value_kind:     by_value
      - .offset:         72
        .size:           4
        .value_kind:     by_value
      - .offset:         80
        .size:           8
        .value_kind:     by_value
      - .offset:         88
        .size:           4
        .value_kind:     by_value
      - .offset:         96
        .size:           4
        .value_kind:     hidden_block_count_x
      - .offset:         100
        .size:           4
        .value_kind:     hidden_block_count_y
      - .offset:         104
        .size:           4
        .value_kind:     hidden_block_count_z
      - .offset:         108
        .size:           2
        .value_kind:     hidden_group_size_x
      - .offset:         110
        .size:           2
        .value_kind:     hidden_group_size_y
      - .offset:         112
        .size:           2
        .value_kind:     hidden_group_size_z
      - .offset:         114
        .size:           2
        .value_kind:     hidden_remainder_x
      - .offset:         116
        .size:           2
        .value_kind:     hidden_remainder_y
      - .offset:         118
        .size:           2
        .value_kind:     hidden_remainder_z
      - .offset:         136
        .size:           8
        .value_kind:     hidden_global_offset_x
      - .offset:         144
        .size:           8
        .value_kind:     hidden_global_offset_y
      - .offset:         152
        .size:           8
        .value_kind:     hidden_global_offset_z
      - .offset:         160
        .size:           2
        .value_kind:     hidden_grid_dims
    .group_segment_fixed_size: 2048
    .kernarg_segment_align: 8
    .kernarg_segment_size: 352
    .language:       OpenCL C
    .language_version:
      - 2
      - 0
    .max_flat_workgroup_size: 16
    .name:           _ZL31rocblas_trsm_small_right_deviceIffPKfPfLi16EEv13rocblas_fill_18rocblas_operation_17rocblas_diagonal_iiT0_T1_lilT2_lili
    .private_segment_fixed_size: 0
    .sgpr_count:     49
    .sgpr_spill_count: 0
    .symbol:         _ZL31rocblas_trsm_small_right_deviceIffPKfPfLi16EEv13rocblas_fill_18rocblas_operation_17rocblas_diagonal_iiT0_T1_lilT2_lili.kd
    .uniform_work_group_size: 1
    .uses_dynamic_stack: false
    .vgpr_count:     32
    .vgpr_spill_count: 0
    .wavefront_size: 32
  - .args:
      - .offset:         0
        .size:           4
        .value_kind:     by_value
      - .offset:         4
        .size:           4
        .value_kind:     by_value
      - .offset:         8
        .size:           4
        .value_kind:     by_value
      - .offset:         12
        .size:           4
        .value_kind:     by_value
      - .offset:         16
        .size:           4
        .value_kind:     by_value
      - .offset:         20
        .size:           4
        .value_kind:     by_value
      - .address_space:  global
        .offset:         24
        .size:           8
        .value_kind:     global_buffer
      - .offset:         32
        .size:           8
        .value_kind:     by_value
      - .offset:         40
        .size:           4
        .value_kind:     by_value
      - .offset:         48
        .size:           8
        .value_kind:     by_value
      - .address_space:  global
        .offset:         56
        .size:           8
        .value_kind:     global_buffer
      - .offset:         64
        .size:           8
        .value_kind:     by_value
      - .offset:         72
        .size:           4
        .value_kind:     by_value
      - .offset:         80
        .size:           8
        .value_kind:     by_value
      - .offset:         88
        .size:           4
        .value_kind:     by_value
      - .offset:         96
        .size:           4
        .value_kind:     hidden_block_count_x
      - .offset:         100
        .size:           4
        .value_kind:     hidden_block_count_y
      - .offset:         104
        .size:           4
        .value_kind:     hidden_block_count_z
      - .offset:         108
        .size:           2
        .value_kind:     hidden_group_size_x
      - .offset:         110
        .size:           2
        .value_kind:     hidden_group_size_y
      - .offset:         112
        .size:           2
        .value_kind:     hidden_group_size_z
      - .offset:         114
        .size:           2
        .value_kind:     hidden_remainder_x
      - .offset:         116
        .size:           2
        .value_kind:     hidden_remainder_y
      - .offset:         118
        .size:           2
        .value_kind:     hidden_remainder_z
      - .offset:         136
        .size:           8
        .value_kind:     hidden_global_offset_x
      - .offset:         144
        .size:           8
        .value_kind:     hidden_global_offset_y
      - .offset:         152
        .size:           8
        .value_kind:     hidden_global_offset_z
      - .offset:         160
        .size:           2
        .value_kind:     hidden_grid_dims
    .group_segment_fixed_size: 3200
    .kernarg_segment_align: 8
    .kernarg_segment_size: 352
    .language:       OpenCL C
    .language_version:
      - 2
      - 0
    .max_flat_workgroup_size: 20
    .name:           _ZL38rocblas_trsm_small_left_device_sharedBILi20ELi20ELb0EffPKfPfEv13rocblas_fill_18rocblas_operation_17rocblas_diagonal_iiT3_T4_lilT5_lili
    .private_segment_fixed_size: 0
    .sgpr_count:     49
    .sgpr_spill_count: 0
    .symbol:         _ZL38rocblas_trsm_small_left_device_sharedBILi20ELi20ELb0EffPKfPfEv13rocblas_fill_18rocblas_operation_17rocblas_diagonal_iiT3_T4_lilT5_lili.kd
    .uniform_work_group_size: 1
    .uses_dynamic_stack: false
    .vgpr_count:     77
    .vgpr_spill_count: 0
    .wavefront_size: 32
  - .args:
      - .offset:         0
        .size:           4
        .value_kind:     by_value
      - .offset:         4
        .size:           4
        .value_kind:     by_value
      - .offset:         8
        .size:           4
        .value_kind:     by_value
      - .offset:         12
        .size:           4
        .value_kind:     by_value
      - .offset:         16
        .size:           4
        .value_kind:     by_value
      - .offset:         20
        .size:           4
        .value_kind:     by_value
      - .address_space:  global
        .offset:         24
        .size:           8
        .value_kind:     global_buffer
      - .offset:         32
        .size:           8
        .value_kind:     by_value
      - .offset:         40
        .size:           4
        .value_kind:     by_value
      - .offset:         48
        .size:           8
        .value_kind:     by_value
      - .address_space:  global
        .offset:         56
        .size:           8
        .value_kind:     global_buffer
      - .offset:         64
        .size:           8
        .value_kind:     by_value
      - .offset:         72
        .size:           4
        .value_kind:     by_value
      - .offset:         80
        .size:           8
        .value_kind:     by_value
      - .offset:         88
        .size:           4
        .value_kind:     by_value
      - .offset:         96
        .size:           4
        .value_kind:     hidden_block_count_x
      - .offset:         100
        .size:           4
        .value_kind:     hidden_block_count_y
      - .offset:         104
        .size:           4
        .value_kind:     hidden_block_count_z
      - .offset:         108
        .size:           2
        .value_kind:     hidden_group_size_x
      - .offset:         110
        .size:           2
        .value_kind:     hidden_group_size_y
      - .offset:         112
        .size:           2
        .value_kind:     hidden_group_size_z
      - .offset:         114
        .size:           2
        .value_kind:     hidden_remainder_x
      - .offset:         116
        .size:           2
        .value_kind:     hidden_remainder_y
      - .offset:         118
        .size:           2
        .value_kind:     hidden_remainder_z
      - .offset:         136
        .size:           8
        .value_kind:     hidden_global_offset_x
      - .offset:         144
        .size:           8
        .value_kind:     hidden_global_offset_y
      - .offset:         152
        .size:           8
        .value_kind:     hidden_global_offset_z
      - .offset:         160
        .size:           2
        .value_kind:     hidden_grid_dims
    .group_segment_fixed_size: 1600
    .kernarg_segment_align: 8
    .kernarg_segment_size: 352
    .language:       OpenCL C
    .language_version:
      - 2
      - 0
    .max_flat_workgroup_size: 20
    .name:           _ZL30rocblas_trsm_small_left_deviceILi20ELi20ELb0EffPKfPfEv13rocblas_fill_18rocblas_operation_17rocblas_diagonal_iiT3_T4_lilT5_lili
    .private_segment_fixed_size: 0
    .sgpr_count:     49
    .sgpr_spill_count: 0
    .symbol:         _ZL30rocblas_trsm_small_left_deviceILi20ELi20ELb0EffPKfPfEv13rocblas_fill_18rocblas_operation_17rocblas_diagonal_iiT3_T4_lilT5_lili.kd
    .uniform_work_group_size: 1
    .uses_dynamic_stack: false
    .vgpr_count:     79
    .vgpr_spill_count: 0
    .wavefront_size: 32
  - .args:
      - .offset:         0
        .size:           4
        .value_kind:     by_value
      - .offset:         4
        .size:           4
        .value_kind:     by_value
      - .offset:         8
        .size:           4
        .value_kind:     by_value
      - .offset:         12
        .size:           4
        .value_kind:     by_value
      - .offset:         16
        .size:           4
        .value_kind:     by_value
      - .offset:         20
        .size:           4
        .value_kind:     by_value
      - .address_space:  global
        .offset:         24
        .size:           8
        .value_kind:     global_buffer
      - .offset:         32
        .size:           8
        .value_kind:     by_value
      - .offset:         40
        .size:           4
        .value_kind:     by_value
      - .offset:         48
        .size:           8
        .value_kind:     by_value
      - .address_space:  global
        .offset:         56
        .size:           8
        .value_kind:     global_buffer
      - .offset:         64
        .size:           8
        .value_kind:     by_value
      - .offset:         72
        .size:           4
        .value_kind:     by_value
      - .offset:         80
        .size:           8
        .value_kind:     by_value
      - .offset:         88
        .size:           4
        .value_kind:     by_value
      - .offset:         96
        .size:           4
        .value_kind:     hidden_block_count_x
      - .offset:         100
        .size:           4
        .value_kind:     hidden_block_count_y
      - .offset:         104
        .size:           4
        .value_kind:     hidden_block_count_z
      - .offset:         108
        .size:           2
        .value_kind:     hidden_group_size_x
      - .offset:         110
        .size:           2
        .value_kind:     hidden_group_size_y
      - .offset:         112
        .size:           2
        .value_kind:     hidden_group_size_z
      - .offset:         114
        .size:           2
        .value_kind:     hidden_remainder_x
      - .offset:         116
        .size:           2
        .value_kind:     hidden_remainder_y
      - .offset:         118
        .size:           2
        .value_kind:     hidden_remainder_z
      - .offset:         136
        .size:           8
        .value_kind:     hidden_global_offset_x
      - .offset:         144
        .size:           8
        .value_kind:     hidden_global_offset_y
      - .offset:         152
        .size:           8
        .value_kind:     hidden_global_offset_z
      - .offset:         160
        .size:           2
        .value_kind:     hidden_grid_dims
    .group_segment_fixed_size: 3200
    .kernarg_segment_align: 8
    .kernarg_segment_size: 352
    .language:       OpenCL C
    .language_version:
      - 2
      - 0
    .max_flat_workgroup_size: 20
    .name:           _ZL38rocblas_trsm_small_left_device_sharedBILi20ELi20ELb1EffPKfPfEv13rocblas_fill_18rocblas_operation_17rocblas_diagonal_iiT3_T4_lilT5_lili
    .private_segment_fixed_size: 0
    .sgpr_count:     49
    .sgpr_spill_count: 0
    .symbol:         _ZL38rocblas_trsm_small_left_device_sharedBILi20ELi20ELb1EffPKfPfEv13rocblas_fill_18rocblas_operation_17rocblas_diagonal_iiT3_T4_lilT5_lili.kd
    .uniform_work_group_size: 1
    .uses_dynamic_stack: false
    .vgpr_count:     77
    .vgpr_spill_count: 0
    .wavefront_size: 32
  - .args:
      - .offset:         0
        .size:           4
        .value_kind:     by_value
      - .offset:         4
        .size:           4
        .value_kind:     by_value
      - .offset:         8
        .size:           4
        .value_kind:     by_value
      - .offset:         12
        .size:           4
        .value_kind:     by_value
      - .offset:         16
        .size:           4
        .value_kind:     by_value
      - .offset:         20
        .size:           4
        .value_kind:     by_value
      - .address_space:  global
        .offset:         24
        .size:           8
        .value_kind:     global_buffer
      - .offset:         32
        .size:           8
        .value_kind:     by_value
      - .offset:         40
        .size:           4
        .value_kind:     by_value
      - .offset:         48
        .size:           8
        .value_kind:     by_value
      - .address_space:  global
        .offset:         56
        .size:           8
        .value_kind:     global_buffer
      - .offset:         64
        .size:           8
        .value_kind:     by_value
      - .offset:         72
        .size:           4
        .value_kind:     by_value
      - .offset:         80
        .size:           8
        .value_kind:     by_value
      - .offset:         88
        .size:           4
        .value_kind:     by_value
      - .offset:         96
        .size:           4
        .value_kind:     hidden_block_count_x
      - .offset:         100
        .size:           4
        .value_kind:     hidden_block_count_y
      - .offset:         104
        .size:           4
        .value_kind:     hidden_block_count_z
      - .offset:         108
        .size:           2
        .value_kind:     hidden_group_size_x
      - .offset:         110
        .size:           2
        .value_kind:     hidden_group_size_y
      - .offset:         112
        .size:           2
        .value_kind:     hidden_group_size_z
      - .offset:         114
        .size:           2
        .value_kind:     hidden_remainder_x
      - .offset:         116
        .size:           2
        .value_kind:     hidden_remainder_y
      - .offset:         118
        .size:           2
        .value_kind:     hidden_remainder_z
      - .offset:         136
        .size:           8
        .value_kind:     hidden_global_offset_x
      - .offset:         144
        .size:           8
        .value_kind:     hidden_global_offset_y
      - .offset:         152
        .size:           8
        .value_kind:     hidden_global_offset_z
      - .offset:         160
        .size:           2
        .value_kind:     hidden_grid_dims
    .group_segment_fixed_size: 1600
    .kernarg_segment_align: 8
    .kernarg_segment_size: 352
    .language:       OpenCL C
    .language_version:
      - 2
      - 0
    .max_flat_workgroup_size: 20
    .name:           _ZL30rocblas_trsm_small_left_deviceILi20ELi20ELb1EffPKfPfEv13rocblas_fill_18rocblas_operation_17rocblas_diagonal_iiT3_T4_lilT5_lili
    .private_segment_fixed_size: 0
    .sgpr_count:     50
    .sgpr_spill_count: 0
    .symbol:         _ZL30rocblas_trsm_small_left_deviceILi20ELi20ELb1EffPKfPfEv13rocblas_fill_18rocblas_operation_17rocblas_diagonal_iiT3_T4_lilT5_lili.kd
    .uniform_work_group_size: 1
    .uses_dynamic_stack: false
    .vgpr_count:     77
    .vgpr_spill_count: 0
    .wavefront_size: 32
  - .args:
      - .offset:         0
        .size:           4
        .value_kind:     by_value
      - .offset:         4
        .size:           4
        .value_kind:     by_value
      - .offset:         8
        .size:           4
        .value_kind:     by_value
      - .offset:         12
        .size:           4
        .value_kind:     by_value
      - .offset:         16
        .size:           4
        .value_kind:     by_value
      - .offset:         20
        .size:           4
        .value_kind:     by_value
      - .address_space:  global
        .offset:         24
        .size:           8
        .value_kind:     global_buffer
      - .offset:         32
        .size:           8
        .value_kind:     by_value
      - .offset:         40
        .size:           4
        .value_kind:     by_value
      - .offset:         48
        .size:           8
        .value_kind:     by_value
      - .address_space:  global
        .offset:         56
        .size:           8
        .value_kind:     global_buffer
      - .offset:         64
        .size:           8
        .value_kind:     by_value
      - .offset:         72
        .size:           4
        .value_kind:     by_value
      - .offset:         80
        .size:           8
        .value_kind:     by_value
      - .offset:         88
        .size:           4
        .value_kind:     by_value
      - .offset:         96
        .size:           4
        .value_kind:     hidden_block_count_x
      - .offset:         100
        .size:           4
        .value_kind:     hidden_block_count_y
      - .offset:         104
        .size:           4
        .value_kind:     hidden_block_count_z
      - .offset:         108
        .size:           2
        .value_kind:     hidden_group_size_x
      - .offset:         110
        .size:           2
        .value_kind:     hidden_group_size_y
      - .offset:         112
        .size:           2
        .value_kind:     hidden_group_size_z
      - .offset:         114
        .size:           2
        .value_kind:     hidden_remainder_x
      - .offset:         116
        .size:           2
        .value_kind:     hidden_remainder_y
      - .offset:         118
        .size:           2
        .value_kind:     hidden_remainder_z
      - .offset:         136
        .size:           8
        .value_kind:     hidden_global_offset_x
      - .offset:         144
        .size:           8
        .value_kind:     hidden_global_offset_y
      - .offset:         152
        .size:           8
        .value_kind:     hidden_global_offset_z
      - .offset:         160
        .size:           2
        .value_kind:     hidden_grid_dims
    .group_segment_fixed_size: 3200
    .kernarg_segment_align: 8
    .kernarg_segment_size: 352
    .language:       OpenCL C
    .language_version:
      - 2
      - 0
    .max_flat_workgroup_size: 20
    .name:           _ZL31rocblas_trsm_small_right_deviceIffPKfPfLi20EEv13rocblas_fill_18rocblas_operation_17rocblas_diagonal_iiT0_T1_lilT2_lili
    .private_segment_fixed_size: 0
    .sgpr_count:     49
    .sgpr_spill_count: 0
    .symbol:         _ZL31rocblas_trsm_small_right_deviceIffPKfPfLi20EEv13rocblas_fill_18rocblas_operation_17rocblas_diagonal_iiT0_T1_lilT2_lili.kd
    .uniform_work_group_size: 1
    .uses_dynamic_stack: false
    .vgpr_count:     32
    .vgpr_spill_count: 0
    .wavefront_size: 32
  - .args:
      - .offset:         0
        .size:           4
        .value_kind:     by_value
      - .offset:         4
        .size:           4
        .value_kind:     by_value
      - .offset:         8
        .size:           4
        .value_kind:     by_value
      - .offset:         12
        .size:           4
        .value_kind:     by_value
      - .offset:         16
        .size:           4
        .value_kind:     by_value
      - .offset:         20
        .size:           4
        .value_kind:     by_value
      - .address_space:  global
        .offset:         24
        .size:           8
        .value_kind:     global_buffer
      - .offset:         32
        .size:           8
        .value_kind:     by_value
      - .offset:         40
        .size:           4
        .value_kind:     by_value
      - .offset:         48
        .size:           8
        .value_kind:     by_value
      - .address_space:  global
        .offset:         56
        .size:           8
        .value_kind:     global_buffer
      - .offset:         64
        .size:           8
        .value_kind:     by_value
      - .offset:         72
        .size:           4
        .value_kind:     by_value
      - .offset:         80
        .size:           8
        .value_kind:     by_value
      - .offset:         88
        .size:           4
        .value_kind:     by_value
      - .offset:         96
        .size:           4
        .value_kind:     hidden_block_count_x
      - .offset:         100
        .size:           4
        .value_kind:     hidden_block_count_y
      - .offset:         104
        .size:           4
        .value_kind:     hidden_block_count_z
      - .offset:         108
        .size:           2
        .value_kind:     hidden_group_size_x
      - .offset:         110
        .size:           2
        .value_kind:     hidden_group_size_y
      - .offset:         112
        .size:           2
        .value_kind:     hidden_group_size_z
      - .offset:         114
        .size:           2
        .value_kind:     hidden_remainder_x
      - .offset:         116
        .size:           2
        .value_kind:     hidden_remainder_y
      - .offset:         118
        .size:           2
        .value_kind:     hidden_remainder_z
      - .offset:         136
        .size:           8
        .value_kind:     hidden_global_offset_x
      - .offset:         144
        .size:           8
        .value_kind:     hidden_global_offset_y
      - .offset:         152
        .size:           8
        .value_kind:     hidden_global_offset_z
      - .offset:         160
        .size:           2
        .value_kind:     hidden_grid_dims
    .group_segment_fixed_size: 4608
    .kernarg_segment_align: 8
    .kernarg_segment_size: 352
    .language:       OpenCL C
    .language_version:
      - 2
      - 0
    .max_flat_workgroup_size: 24
    .name:           _ZL38rocblas_trsm_small_left_device_sharedBILi24ELi24ELb0EffPKfPfEv13rocblas_fill_18rocblas_operation_17rocblas_diagonal_iiT3_T4_lilT5_lili
    .private_segment_fixed_size: 0
    .sgpr_count:     49
    .sgpr_spill_count: 0
    .symbol:         _ZL38rocblas_trsm_small_left_device_sharedBILi24ELi24ELb0EffPKfPfEv13rocblas_fill_18rocblas_operation_17rocblas_diagonal_iiT3_T4_lilT5_lili.kd
    .uniform_work_group_size: 1
    .uses_dynamic_stack: false
    .vgpr_count:     77
    .vgpr_spill_count: 0
    .wavefront_size: 32
  - .args:
      - .offset:         0
        .size:           4
        .value_kind:     by_value
      - .offset:         4
        .size:           4
        .value_kind:     by_value
      - .offset:         8
        .size:           4
        .value_kind:     by_value
      - .offset:         12
        .size:           4
        .value_kind:     by_value
      - .offset:         16
        .size:           4
        .value_kind:     by_value
      - .offset:         20
        .size:           4
        .value_kind:     by_value
      - .address_space:  global
        .offset:         24
        .size:           8
        .value_kind:     global_buffer
      - .offset:         32
        .size:           8
        .value_kind:     by_value
      - .offset:         40
        .size:           4
        .value_kind:     by_value
      - .offset:         48
        .size:           8
        .value_kind:     by_value
      - .address_space:  global
        .offset:         56
        .size:           8
        .value_kind:     global_buffer
      - .offset:         64
        .size:           8
        .value_kind:     by_value
      - .offset:         72
        .size:           4
        .value_kind:     by_value
      - .offset:         80
        .size:           8
        .value_kind:     by_value
      - .offset:         88
        .size:           4
        .value_kind:     by_value
      - .offset:         96
        .size:           4
        .value_kind:     hidden_block_count_x
      - .offset:         100
        .size:           4
        .value_kind:     hidden_block_count_y
      - .offset:         104
        .size:           4
        .value_kind:     hidden_block_count_z
      - .offset:         108
        .size:           2
        .value_kind:     hidden_group_size_x
      - .offset:         110
        .size:           2
        .value_kind:     hidden_group_size_y
      - .offset:         112
        .size:           2
        .value_kind:     hidden_group_size_z
      - .offset:         114
        .size:           2
        .value_kind:     hidden_remainder_x
      - .offset:         116
        .size:           2
        .value_kind:     hidden_remainder_y
      - .offset:         118
        .size:           2
        .value_kind:     hidden_remainder_z
      - .offset:         136
        .size:           8
        .value_kind:     hidden_global_offset_x
      - .offset:         144
        .size:           8
        .value_kind:     hidden_global_offset_y
      - .offset:         152
        .size:           8
        .value_kind:     hidden_global_offset_z
      - .offset:         160
        .size:           2
        .value_kind:     hidden_grid_dims
    .group_segment_fixed_size: 2304
    .kernarg_segment_align: 8
    .kernarg_segment_size: 352
    .language:       OpenCL C
    .language_version:
      - 2
      - 0
    .max_flat_workgroup_size: 24
    .name:           _ZL30rocblas_trsm_small_left_deviceILi24ELi24ELb0EffPKfPfEv13rocblas_fill_18rocblas_operation_17rocblas_diagonal_iiT3_T4_lilT5_lili
    .private_segment_fixed_size: 0
    .sgpr_count:     49
    .sgpr_spill_count: 0
    .symbol:         _ZL30rocblas_trsm_small_left_deviceILi24ELi24ELb0EffPKfPfEv13rocblas_fill_18rocblas_operation_17rocblas_diagonal_iiT3_T4_lilT5_lili.kd
    .uniform_work_group_size: 1
    .uses_dynamic_stack: false
    .vgpr_count:     79
    .vgpr_spill_count: 0
    .wavefront_size: 32
  - .args:
      - .offset:         0
        .size:           4
        .value_kind:     by_value
      - .offset:         4
        .size:           4
        .value_kind:     by_value
      - .offset:         8
        .size:           4
        .value_kind:     by_value
      - .offset:         12
        .size:           4
        .value_kind:     by_value
      - .offset:         16
        .size:           4
        .value_kind:     by_value
      - .offset:         20
        .size:           4
        .value_kind:     by_value
      - .address_space:  global
        .offset:         24
        .size:           8
        .value_kind:     global_buffer
      - .offset:         32
        .size:           8
        .value_kind:     by_value
      - .offset:         40
        .size:           4
        .value_kind:     by_value
      - .offset:         48
        .size:           8
        .value_kind:     by_value
      - .address_space:  global
        .offset:         56
        .size:           8
        .value_kind:     global_buffer
      - .offset:         64
        .size:           8
        .value_kind:     by_value
      - .offset:         72
        .size:           4
        .value_kind:     by_value
      - .offset:         80
        .size:           8
        .value_kind:     by_value
      - .offset:         88
        .size:           4
        .value_kind:     by_value
      - .offset:         96
        .size:           4
        .value_kind:     hidden_block_count_x
      - .offset:         100
        .size:           4
        .value_kind:     hidden_block_count_y
      - .offset:         104
        .size:           4
        .value_kind:     hidden_block_count_z
      - .offset:         108
        .size:           2
        .value_kind:     hidden_group_size_x
      - .offset:         110
        .size:           2
        .value_kind:     hidden_group_size_y
      - .offset:         112
        .size:           2
        .value_kind:     hidden_group_size_z
      - .offset:         114
        .size:           2
        .value_kind:     hidden_remainder_x
      - .offset:         116
        .size:           2
        .value_kind:     hidden_remainder_y
      - .offset:         118
        .size:           2
        .value_kind:     hidden_remainder_z
      - .offset:         136
        .size:           8
        .value_kind:     hidden_global_offset_x
      - .offset:         144
        .size:           8
        .value_kind:     hidden_global_offset_y
      - .offset:         152
        .size:           8
        .value_kind:     hidden_global_offset_z
      - .offset:         160
        .size:           2
        .value_kind:     hidden_grid_dims
    .group_segment_fixed_size: 4608
    .kernarg_segment_align: 8
    .kernarg_segment_size: 352
    .language:       OpenCL C
    .language_version:
      - 2
      - 0
    .max_flat_workgroup_size: 24
    .name:           _ZL38rocblas_trsm_small_left_device_sharedBILi24ELi24ELb1EffPKfPfEv13rocblas_fill_18rocblas_operation_17rocblas_diagonal_iiT3_T4_lilT5_lili
    .private_segment_fixed_size: 0
    .sgpr_count:     49
    .sgpr_spill_count: 0
    .symbol:         _ZL38rocblas_trsm_small_left_device_sharedBILi24ELi24ELb1EffPKfPfEv13rocblas_fill_18rocblas_operation_17rocblas_diagonal_iiT3_T4_lilT5_lili.kd
    .uniform_work_group_size: 1
    .uses_dynamic_stack: false
    .vgpr_count:     77
    .vgpr_spill_count: 0
    .wavefront_size: 32
  - .args:
      - .offset:         0
        .size:           4
        .value_kind:     by_value
      - .offset:         4
        .size:           4
        .value_kind:     by_value
      - .offset:         8
        .size:           4
        .value_kind:     by_value
      - .offset:         12
        .size:           4
        .value_kind:     by_value
      - .offset:         16
        .size:           4
        .value_kind:     by_value
      - .offset:         20
        .size:           4
        .value_kind:     by_value
      - .address_space:  global
        .offset:         24
        .size:           8
        .value_kind:     global_buffer
      - .offset:         32
        .size:           8
        .value_kind:     by_value
      - .offset:         40
        .size:           4
        .value_kind:     by_value
      - .offset:         48
        .size:           8
        .value_kind:     by_value
      - .address_space:  global
        .offset:         56
        .size:           8
        .value_kind:     global_buffer
      - .offset:         64
        .size:           8
        .value_kind:     by_value
      - .offset:         72
        .size:           4
        .value_kind:     by_value
      - .offset:         80
        .size:           8
        .value_kind:     by_value
      - .offset:         88
        .size:           4
        .value_kind:     by_value
      - .offset:         96
        .size:           4
        .value_kind:     hidden_block_count_x
      - .offset:         100
        .size:           4
        .value_kind:     hidden_block_count_y
      - .offset:         104
        .size:           4
        .value_kind:     hidden_block_count_z
      - .offset:         108
        .size:           2
        .value_kind:     hidden_group_size_x
      - .offset:         110
        .size:           2
        .value_kind:     hidden_group_size_y
      - .offset:         112
        .size:           2
        .value_kind:     hidden_group_size_z
      - .offset:         114
        .size:           2
        .value_kind:     hidden_remainder_x
      - .offset:         116
        .size:           2
        .value_kind:     hidden_remainder_y
      - .offset:         118
        .size:           2
        .value_kind:     hidden_remainder_z
      - .offset:         136
        .size:           8
        .value_kind:     hidden_global_offset_x
      - .offset:         144
        .size:           8
        .value_kind:     hidden_global_offset_y
      - .offset:         152
        .size:           8
        .value_kind:     hidden_global_offset_z
      - .offset:         160
        .size:           2
        .value_kind:     hidden_grid_dims
    .group_segment_fixed_size: 2304
    .kernarg_segment_align: 8
    .kernarg_segment_size: 352
    .language:       OpenCL C
    .language_version:
      - 2
      - 0
    .max_flat_workgroup_size: 24
    .name:           _ZL30rocblas_trsm_small_left_deviceILi24ELi24ELb1EffPKfPfEv13rocblas_fill_18rocblas_operation_17rocblas_diagonal_iiT3_T4_lilT5_lili
    .private_segment_fixed_size: 0
    .sgpr_count:     50
    .sgpr_spill_count: 0
    .symbol:         _ZL30rocblas_trsm_small_left_deviceILi24ELi24ELb1EffPKfPfEv13rocblas_fill_18rocblas_operation_17rocblas_diagonal_iiT3_T4_lilT5_lili.kd
    .uniform_work_group_size: 1
    .uses_dynamic_stack: false
    .vgpr_count:     77
    .vgpr_spill_count: 0
    .wavefront_size: 32
  - .args:
      - .offset:         0
        .size:           4
        .value_kind:     by_value
      - .offset:         4
        .size:           4
        .value_kind:     by_value
      - .offset:         8
        .size:           4
        .value_kind:     by_value
      - .offset:         12
        .size:           4
        .value_kind:     by_value
      - .offset:         16
        .size:           4
        .value_kind:     by_value
      - .offset:         20
        .size:           4
        .value_kind:     by_value
      - .address_space:  global
        .offset:         24
        .size:           8
        .value_kind:     global_buffer
      - .offset:         32
        .size:           8
        .value_kind:     by_value
      - .offset:         40
        .size:           4
        .value_kind:     by_value
      - .offset:         48
        .size:           8
        .value_kind:     by_value
      - .address_space:  global
        .offset:         56
        .size:           8
        .value_kind:     global_buffer
      - .offset:         64
        .size:           8
        .value_kind:     by_value
      - .offset:         72
        .size:           4
        .value_kind:     by_value
      - .offset:         80
        .size:           8
        .value_kind:     by_value
      - .offset:         88
        .size:           4
        .value_kind:     by_value
      - .offset:         96
        .size:           4
        .value_kind:     hidden_block_count_x
      - .offset:         100
        .size:           4
        .value_kind:     hidden_block_count_y
      - .offset:         104
        .size:           4
        .value_kind:     hidden_block_count_z
      - .offset:         108
        .size:           2
        .value_kind:     hidden_group_size_x
      - .offset:         110
        .size:           2
        .value_kind:     hidden_group_size_y
      - .offset:         112
        .size:           2
        .value_kind:     hidden_group_size_z
      - .offset:         114
        .size:           2
        .value_kind:     hidden_remainder_x
      - .offset:         116
        .size:           2
        .value_kind:     hidden_remainder_y
      - .offset:         118
        .size:           2
        .value_kind:     hidden_remainder_z
      - .offset:         136
        .size:           8
        .value_kind:     hidden_global_offset_x
      - .offset:         144
        .size:           8
        .value_kind:     hidden_global_offset_y
      - .offset:         152
        .size:           8
        .value_kind:     hidden_global_offset_z
      - .offset:         160
        .size:           2
        .value_kind:     hidden_grid_dims
    .group_segment_fixed_size: 4608
    .kernarg_segment_align: 8
    .kernarg_segment_size: 352
    .language:       OpenCL C
    .language_version:
      - 2
      - 0
    .max_flat_workgroup_size: 24
    .name:           _ZL31rocblas_trsm_small_right_deviceIffPKfPfLi24EEv13rocblas_fill_18rocblas_operation_17rocblas_diagonal_iiT0_T1_lilT2_lili
    .private_segment_fixed_size: 0
    .sgpr_count:     49
    .sgpr_spill_count: 0
    .symbol:         _ZL31rocblas_trsm_small_right_deviceIffPKfPfLi24EEv13rocblas_fill_18rocblas_operation_17rocblas_diagonal_iiT0_T1_lilT2_lili.kd
    .uniform_work_group_size: 1
    .uses_dynamic_stack: false
    .vgpr_count:     32
    .vgpr_spill_count: 0
    .wavefront_size: 32
  - .args:
      - .offset:         0
        .size:           4
        .value_kind:     by_value
      - .offset:         4
        .size:           4
        .value_kind:     by_value
      - .offset:         8
        .size:           4
        .value_kind:     by_value
      - .offset:         12
        .size:           4
        .value_kind:     by_value
      - .offset:         16
        .size:           4
        .value_kind:     by_value
      - .offset:         20
        .size:           4
        .value_kind:     by_value
      - .address_space:  global
        .offset:         24
        .size:           8
        .value_kind:     global_buffer
      - .offset:         32
        .size:           8
        .value_kind:     by_value
      - .offset:         40
        .size:           4
        .value_kind:     by_value
      - .offset:         48
        .size:           8
        .value_kind:     by_value
      - .address_space:  global
        .offset:         56
        .size:           8
        .value_kind:     global_buffer
      - .offset:         64
        .size:           8
        .value_kind:     by_value
      - .offset:         72
        .size:           4
        .value_kind:     by_value
      - .offset:         80
        .size:           8
        .value_kind:     by_value
      - .offset:         88
        .size:           4
        .value_kind:     by_value
      - .offset:         96
        .size:           4
        .value_kind:     hidden_block_count_x
      - .offset:         100
        .size:           4
        .value_kind:     hidden_block_count_y
      - .offset:         104
        .size:           4
        .value_kind:     hidden_block_count_z
      - .offset:         108
        .size:           2
        .value_kind:     hidden_group_size_x
      - .offset:         110
        .size:           2
        .value_kind:     hidden_group_size_y
      - .offset:         112
        .size:           2
        .value_kind:     hidden_group_size_z
      - .offset:         114
        .size:           2
        .value_kind:     hidden_remainder_x
      - .offset:         116
        .size:           2
        .value_kind:     hidden_remainder_y
      - .offset:         118
        .size:           2
        .value_kind:     hidden_remainder_z
      - .offset:         136
        .size:           8
        .value_kind:     hidden_global_offset_x
      - .offset:         144
        .size:           8
        .value_kind:     hidden_global_offset_y
      - .offset:         152
        .size:           8
        .value_kind:     hidden_global_offset_z
      - .offset:         160
        .size:           2
        .value_kind:     hidden_grid_dims
    .group_segment_fixed_size: 6272
    .kernarg_segment_align: 8
    .kernarg_segment_size: 352
    .language:       OpenCL C
    .language_version:
      - 2
      - 0
    .max_flat_workgroup_size: 28
    .name:           _ZL38rocblas_trsm_small_left_device_sharedBILi28ELi28ELb0EffPKfPfEv13rocblas_fill_18rocblas_operation_17rocblas_diagonal_iiT3_T4_lilT5_lili
    .private_segment_fixed_size: 0
    .sgpr_count:     49
    .sgpr_spill_count: 0
    .symbol:         _ZL38rocblas_trsm_small_left_device_sharedBILi28ELi28ELb0EffPKfPfEv13rocblas_fill_18rocblas_operation_17rocblas_diagonal_iiT3_T4_lilT5_lili.kd
    .uniform_work_group_size: 1
    .uses_dynamic_stack: false
    .vgpr_count:     77
    .vgpr_spill_count: 0
    .wavefront_size: 32
  - .args:
      - .offset:         0
        .size:           4
        .value_kind:     by_value
      - .offset:         4
        .size:           4
        .value_kind:     by_value
      - .offset:         8
        .size:           4
        .value_kind:     by_value
      - .offset:         12
        .size:           4
        .value_kind:     by_value
      - .offset:         16
        .size:           4
        .value_kind:     by_value
      - .offset:         20
        .size:           4
        .value_kind:     by_value
      - .address_space:  global
        .offset:         24
        .size:           8
        .value_kind:     global_buffer
      - .offset:         32
        .size:           8
        .value_kind:     by_value
      - .offset:         40
        .size:           4
        .value_kind:     by_value
      - .offset:         48
        .size:           8
        .value_kind:     by_value
      - .address_space:  global
        .offset:         56
        .size:           8
        .value_kind:     global_buffer
      - .offset:         64
        .size:           8
        .value_kind:     by_value
      - .offset:         72
        .size:           4
        .value_kind:     by_value
      - .offset:         80
        .size:           8
        .value_kind:     by_value
      - .offset:         88
        .size:           4
        .value_kind:     by_value
      - .offset:         96
        .size:           4
        .value_kind:     hidden_block_count_x
      - .offset:         100
        .size:           4
        .value_kind:     hidden_block_count_y
      - .offset:         104
        .size:           4
        .value_kind:     hidden_block_count_z
      - .offset:         108
        .size:           2
        .value_kind:     hidden_group_size_x
      - .offset:         110
        .size:           2
        .value_kind:     hidden_group_size_y
      - .offset:         112
        .size:           2
        .value_kind:     hidden_group_size_z
      - .offset:         114
        .size:           2
        .value_kind:     hidden_remainder_x
      - .offset:         116
        .size:           2
        .value_kind:     hidden_remainder_y
      - .offset:         118
        .size:           2
        .value_kind:     hidden_remainder_z
      - .offset:         136
        .size:           8
        .value_kind:     hidden_global_offset_x
      - .offset:         144
        .size:           8
        .value_kind:     hidden_global_offset_y
      - .offset:         152
        .size:           8
        .value_kind:     hidden_global_offset_z
      - .offset:         160
        .size:           2
        .value_kind:     hidden_grid_dims
    .group_segment_fixed_size: 3136
    .kernarg_segment_align: 8
    .kernarg_segment_size: 352
    .language:       OpenCL C
    .language_version:
      - 2
      - 0
    .max_flat_workgroup_size: 28
    .name:           _ZL30rocblas_trsm_small_left_deviceILi28ELi28ELb0EffPKfPfEv13rocblas_fill_18rocblas_operation_17rocblas_diagonal_iiT3_T4_lilT5_lili
    .private_segment_fixed_size: 0
    .sgpr_count:     49
    .sgpr_spill_count: 0
    .symbol:         _ZL30rocblas_trsm_small_left_deviceILi28ELi28ELb0EffPKfPfEv13rocblas_fill_18rocblas_operation_17rocblas_diagonal_iiT3_T4_lilT5_lili.kd
    .uniform_work_group_size: 1
    .uses_dynamic_stack: false
    .vgpr_count:     79
    .vgpr_spill_count: 0
    .wavefront_size: 32
  - .args:
      - .offset:         0
        .size:           4
        .value_kind:     by_value
      - .offset:         4
        .size:           4
        .value_kind:     by_value
      - .offset:         8
        .size:           4
        .value_kind:     by_value
      - .offset:         12
        .size:           4
        .value_kind:     by_value
      - .offset:         16
        .size:           4
        .value_kind:     by_value
      - .offset:         20
        .size:           4
        .value_kind:     by_value
      - .address_space:  global
        .offset:         24
        .size:           8
        .value_kind:     global_buffer
      - .offset:         32
        .size:           8
        .value_kind:     by_value
      - .offset:         40
        .size:           4
        .value_kind:     by_value
      - .offset:         48
        .size:           8
        .value_kind:     by_value
      - .address_space:  global
        .offset:         56
        .size:           8
        .value_kind:     global_buffer
      - .offset:         64
        .size:           8
        .value_kind:     by_value
      - .offset:         72
        .size:           4
        .value_kind:     by_value
      - .offset:         80
        .size:           8
        .value_kind:     by_value
      - .offset:         88
        .size:           4
        .value_kind:     by_value
      - .offset:         96
        .size:           4
        .value_kind:     hidden_block_count_x
      - .offset:         100
        .size:           4
        .value_kind:     hidden_block_count_y
      - .offset:         104
        .size:           4
        .value_kind:     hidden_block_count_z
      - .offset:         108
        .size:           2
        .value_kind:     hidden_group_size_x
      - .offset:         110
        .size:           2
        .value_kind:     hidden_group_size_y
      - .offset:         112
        .size:           2
        .value_kind:     hidden_group_size_z
      - .offset:         114
        .size:           2
        .value_kind:     hidden_remainder_x
      - .offset:         116
        .size:           2
        .value_kind:     hidden_remainder_y
      - .offset:         118
        .size:           2
        .value_kind:     hidden_remainder_z
      - .offset:         136
        .size:           8
        .value_kind:     hidden_global_offset_x
      - .offset:         144
        .size:           8
        .value_kind:     hidden_global_offset_y
      - .offset:         152
        .size:           8
        .value_kind:     hidden_global_offset_z
      - .offset:         160
        .size:           2
        .value_kind:     hidden_grid_dims
    .group_segment_fixed_size: 6272
    .kernarg_segment_align: 8
    .kernarg_segment_size: 352
    .language:       OpenCL C
    .language_version:
      - 2
      - 0
    .max_flat_workgroup_size: 28
    .name:           _ZL38rocblas_trsm_small_left_device_sharedBILi28ELi28ELb1EffPKfPfEv13rocblas_fill_18rocblas_operation_17rocblas_diagonal_iiT3_T4_lilT5_lili
    .private_segment_fixed_size: 0
    .sgpr_count:     49
    .sgpr_spill_count: 0
    .symbol:         _ZL38rocblas_trsm_small_left_device_sharedBILi28ELi28ELb1EffPKfPfEv13rocblas_fill_18rocblas_operation_17rocblas_diagonal_iiT3_T4_lilT5_lili.kd
    .uniform_work_group_size: 1
    .uses_dynamic_stack: false
    .vgpr_count:     77
    .vgpr_spill_count: 0
    .wavefront_size: 32
  - .args:
      - .offset:         0
        .size:           4
        .value_kind:     by_value
      - .offset:         4
        .size:           4
        .value_kind:     by_value
      - .offset:         8
        .size:           4
        .value_kind:     by_value
      - .offset:         12
        .size:           4
        .value_kind:     by_value
      - .offset:         16
        .size:           4
        .value_kind:     by_value
      - .offset:         20
        .size:           4
        .value_kind:     by_value
      - .address_space:  global
        .offset:         24
        .size:           8
        .value_kind:     global_buffer
      - .offset:         32
        .size:           8
        .value_kind:     by_value
      - .offset:         40
        .size:           4
        .value_kind:     by_value
      - .offset:         48
        .size:           8
        .value_kind:     by_value
      - .address_space:  global
        .offset:         56
        .size:           8
        .value_kind:     global_buffer
      - .offset:         64
        .size:           8
        .value_kind:     by_value
      - .offset:         72
        .size:           4
        .value_kind:     by_value
      - .offset:         80
        .size:           8
        .value_kind:     by_value
      - .offset:         88
        .size:           4
        .value_kind:     by_value
      - .offset:         96
        .size:           4
        .value_kind:     hidden_block_count_x
      - .offset:         100
        .size:           4
        .value_kind:     hidden_block_count_y
      - .offset:         104
        .size:           4
        .value_kind:     hidden_block_count_z
      - .offset:         108
        .size:           2
        .value_kind:     hidden_group_size_x
      - .offset:         110
        .size:           2
        .value_kind:     hidden_group_size_y
      - .offset:         112
        .size:           2
        .value_kind:     hidden_group_size_z
      - .offset:         114
        .size:           2
        .value_kind:     hidden_remainder_x
      - .offset:         116
        .size:           2
        .value_kind:     hidden_remainder_y
      - .offset:         118
        .size:           2
        .value_kind:     hidden_remainder_z
      - .offset:         136
        .size:           8
        .value_kind:     hidden_global_offset_x
      - .offset:         144
        .size:           8
        .value_kind:     hidden_global_offset_y
      - .offset:         152
        .size:           8
        .value_kind:     hidden_global_offset_z
      - .offset:         160
        .size:           2
        .value_kind:     hidden_grid_dims
    .group_segment_fixed_size: 3136
    .kernarg_segment_align: 8
    .kernarg_segment_size: 352
    .language:       OpenCL C
    .language_version:
      - 2
      - 0
    .max_flat_workgroup_size: 28
    .name:           _ZL30rocblas_trsm_small_left_deviceILi28ELi28ELb1EffPKfPfEv13rocblas_fill_18rocblas_operation_17rocblas_diagonal_iiT3_T4_lilT5_lili
    .private_segment_fixed_size: 0
    .sgpr_count:     50
    .sgpr_spill_count: 0
    .symbol:         _ZL30rocblas_trsm_small_left_deviceILi28ELi28ELb1EffPKfPfEv13rocblas_fill_18rocblas_operation_17rocblas_diagonal_iiT3_T4_lilT5_lili.kd
    .uniform_work_group_size: 1
    .uses_dynamic_stack: false
    .vgpr_count:     77
    .vgpr_spill_count: 0
    .wavefront_size: 32
  - .args:
      - .offset:         0
        .size:           4
        .value_kind:     by_value
      - .offset:         4
        .size:           4
        .value_kind:     by_value
      - .offset:         8
        .size:           4
        .value_kind:     by_value
      - .offset:         12
        .size:           4
        .value_kind:     by_value
      - .offset:         16
        .size:           4
        .value_kind:     by_value
      - .offset:         20
        .size:           4
        .value_kind:     by_value
      - .address_space:  global
        .offset:         24
        .size:           8
        .value_kind:     global_buffer
      - .offset:         32
        .size:           8
        .value_kind:     by_value
      - .offset:         40
        .size:           4
        .value_kind:     by_value
      - .offset:         48
        .size:           8
        .value_kind:     by_value
      - .address_space:  global
        .offset:         56
        .size:           8
        .value_kind:     global_buffer
      - .offset:         64
        .size:           8
        .value_kind:     by_value
      - .offset:         72
        .size:           4
        .value_kind:     by_value
      - .offset:         80
        .size:           8
        .value_kind:     by_value
      - .offset:         88
        .size:           4
        .value_kind:     by_value
      - .offset:         96
        .size:           4
        .value_kind:     hidden_block_count_x
      - .offset:         100
        .size:           4
        .value_kind:     hidden_block_count_y
      - .offset:         104
        .size:           4
        .value_kind:     hidden_block_count_z
      - .offset:         108
        .size:           2
        .value_kind:     hidden_group_size_x
      - .offset:         110
        .size:           2
        .value_kind:     hidden_group_size_y
      - .offset:         112
        .size:           2
        .value_kind:     hidden_group_size_z
      - .offset:         114
        .size:           2
        .value_kind:     hidden_remainder_x
      - .offset:         116
        .size:           2
        .value_kind:     hidden_remainder_y
      - .offset:         118
        .size:           2
        .value_kind:     hidden_remainder_z
      - .offset:         136
        .size:           8
        .value_kind:     hidden_global_offset_x
      - .offset:         144
        .size:           8
        .value_kind:     hidden_global_offset_y
      - .offset:         152
        .size:           8
        .value_kind:     hidden_global_offset_z
      - .offset:         160
        .size:           2
        .value_kind:     hidden_grid_dims
    .group_segment_fixed_size: 6272
    .kernarg_segment_align: 8
    .kernarg_segment_size: 352
    .language:       OpenCL C
    .language_version:
      - 2
      - 0
    .max_flat_workgroup_size: 28
    .name:           _ZL31rocblas_trsm_small_right_deviceIffPKfPfLi28EEv13rocblas_fill_18rocblas_operation_17rocblas_diagonal_iiT0_T1_lilT2_lili
    .private_segment_fixed_size: 0
    .sgpr_count:     49
    .sgpr_spill_count: 0
    .symbol:         _ZL31rocblas_trsm_small_right_deviceIffPKfPfLi28EEv13rocblas_fill_18rocblas_operation_17rocblas_diagonal_iiT0_T1_lilT2_lili.kd
    .uniform_work_group_size: 1
    .uses_dynamic_stack: false
    .vgpr_count:     32
    .vgpr_spill_count: 0
    .wavefront_size: 32
  - .args:
      - .offset:         0
        .size:           4
        .value_kind:     by_value
      - .offset:         4
        .size:           4
        .value_kind:     by_value
      - .offset:         8
        .size:           4
        .value_kind:     by_value
      - .offset:         12
        .size:           4
        .value_kind:     by_value
      - .offset:         16
        .size:           4
        .value_kind:     by_value
      - .offset:         20
        .size:           4
        .value_kind:     by_value
      - .address_space:  global
        .offset:         24
        .size:           8
        .value_kind:     global_buffer
      - .offset:         32
        .size:           8
        .value_kind:     by_value
      - .offset:         40
        .size:           4
        .value_kind:     by_value
      - .offset:         48
        .size:           8
        .value_kind:     by_value
      - .address_space:  global
        .offset:         56
        .size:           8
        .value_kind:     global_buffer
      - .offset:         64
        .size:           8
        .value_kind:     by_value
      - .offset:         72
        .size:           4
        .value_kind:     by_value
      - .offset:         80
        .size:           8
        .value_kind:     by_value
      - .offset:         88
        .size:           4
        .value_kind:     by_value
      - .offset:         96
        .size:           4
        .value_kind:     hidden_block_count_x
      - .offset:         100
        .size:           4
        .value_kind:     hidden_block_count_y
      - .offset:         104
        .size:           4
        .value_kind:     hidden_block_count_z
      - .offset:         108
        .size:           2
        .value_kind:     hidden_group_size_x
      - .offset:         110
        .size:           2
        .value_kind:     hidden_group_size_y
      - .offset:         112
        .size:           2
        .value_kind:     hidden_group_size_z
      - .offset:         114
        .size:           2
        .value_kind:     hidden_remainder_x
      - .offset:         116
        .size:           2
        .value_kind:     hidden_remainder_y
      - .offset:         118
        .size:           2
        .value_kind:     hidden_remainder_z
      - .offset:         136
        .size:           8
        .value_kind:     hidden_global_offset_x
      - .offset:         144
        .size:           8
        .value_kind:     hidden_global_offset_y
      - .offset:         152
        .size:           8
        .value_kind:     hidden_global_offset_z
      - .offset:         160
        .size:           2
        .value_kind:     hidden_grid_dims
    .group_segment_fixed_size: 8192
    .kernarg_segment_align: 8
    .kernarg_segment_size: 352
    .language:       OpenCL C
    .language_version:
      - 2
      - 0
    .max_flat_workgroup_size: 32
    .name:           _ZL38rocblas_trsm_small_left_device_sharedBILi32ELi32ELb0EffPKfPfEv13rocblas_fill_18rocblas_operation_17rocblas_diagonal_iiT3_T4_lilT5_lili
    .private_segment_fixed_size: 0
    .sgpr_count:     49
    .sgpr_spill_count: 0
    .symbol:         _ZL38rocblas_trsm_small_left_device_sharedBILi32ELi32ELb0EffPKfPfEv13rocblas_fill_18rocblas_operation_17rocblas_diagonal_iiT3_T4_lilT5_lili.kd
    .uniform_work_group_size: 1
    .uses_dynamic_stack: false
    .vgpr_count:     77
    .vgpr_spill_count: 0
    .wavefront_size: 32
  - .args:
      - .offset:         0
        .size:           4
        .value_kind:     by_value
      - .offset:         4
        .size:           4
        .value_kind:     by_value
      - .offset:         8
        .size:           4
        .value_kind:     by_value
      - .offset:         12
        .size:           4
        .value_kind:     by_value
      - .offset:         16
        .size:           4
        .value_kind:     by_value
      - .offset:         20
        .size:           4
        .value_kind:     by_value
      - .address_space:  global
        .offset:         24
        .size:           8
        .value_kind:     global_buffer
      - .offset:         32
        .size:           8
        .value_kind:     by_value
      - .offset:         40
        .size:           4
        .value_kind:     by_value
      - .offset:         48
        .size:           8
        .value_kind:     by_value
      - .address_space:  global
        .offset:         56
        .size:           8
        .value_kind:     global_buffer
      - .offset:         64
        .size:           8
        .value_kind:     by_value
      - .offset:         72
        .size:           4
        .value_kind:     by_value
      - .offset:         80
        .size:           8
        .value_kind:     by_value
      - .offset:         88
        .size:           4
        .value_kind:     by_value
      - .offset:         96
        .size:           4
        .value_kind:     hidden_block_count_x
      - .offset:         100
        .size:           4
        .value_kind:     hidden_block_count_y
      - .offset:         104
        .size:           4
        .value_kind:     hidden_block_count_z
      - .offset:         108
        .size:           2
        .value_kind:     hidden_group_size_x
      - .offset:         110
        .size:           2
        .value_kind:     hidden_group_size_y
      - .offset:         112
        .size:           2
        .value_kind:     hidden_group_size_z
      - .offset:         114
        .size:           2
        .value_kind:     hidden_remainder_x
      - .offset:         116
        .size:           2
        .value_kind:     hidden_remainder_y
      - .offset:         118
        .size:           2
        .value_kind:     hidden_remainder_z
      - .offset:         136
        .size:           8
        .value_kind:     hidden_global_offset_x
      - .offset:         144
        .size:           8
        .value_kind:     hidden_global_offset_y
      - .offset:         152
        .size:           8
        .value_kind:     hidden_global_offset_z
      - .offset:         160
        .size:           2
        .value_kind:     hidden_grid_dims
    .group_segment_fixed_size: 4096
    .kernarg_segment_align: 8
    .kernarg_segment_size: 352
    .language:       OpenCL C
    .language_version:
      - 2
      - 0
    .max_flat_workgroup_size: 32
    .name:           _ZL30rocblas_trsm_small_left_deviceILi32ELi32ELb0EffPKfPfEv13rocblas_fill_18rocblas_operation_17rocblas_diagonal_iiT3_T4_lilT5_lili
    .private_segment_fixed_size: 0
    .sgpr_count:     49
    .sgpr_spill_count: 0
    .symbol:         _ZL30rocblas_trsm_small_left_deviceILi32ELi32ELb0EffPKfPfEv13rocblas_fill_18rocblas_operation_17rocblas_diagonal_iiT3_T4_lilT5_lili.kd
    .uniform_work_group_size: 1
    .uses_dynamic_stack: false
    .vgpr_count:     79
    .vgpr_spill_count: 0
    .wavefront_size: 32
  - .args:
      - .offset:         0
        .size:           4
        .value_kind:     by_value
      - .offset:         4
        .size:           4
        .value_kind:     by_value
      - .offset:         8
        .size:           4
        .value_kind:     by_value
      - .offset:         12
        .size:           4
        .value_kind:     by_value
      - .offset:         16
        .size:           4
        .value_kind:     by_value
      - .offset:         20
        .size:           4
        .value_kind:     by_value
      - .address_space:  global
        .offset:         24
        .size:           8
        .value_kind:     global_buffer
      - .offset:         32
        .size:           8
        .value_kind:     by_value
      - .offset:         40
        .size:           4
        .value_kind:     by_value
      - .offset:         48
        .size:           8
        .value_kind:     by_value
      - .address_space:  global
        .offset:         56
        .size:           8
        .value_kind:     global_buffer
      - .offset:         64
        .size:           8
        .value_kind:     by_value
      - .offset:         72
        .size:           4
        .value_kind:     by_value
      - .offset:         80
        .size:           8
        .value_kind:     by_value
      - .offset:         88
        .size:           4
        .value_kind:     by_value
      - .offset:         96
        .size:           4
        .value_kind:     hidden_block_count_x
      - .offset:         100
        .size:           4
        .value_kind:     hidden_block_count_y
      - .offset:         104
        .size:           4
        .value_kind:     hidden_block_count_z
      - .offset:         108
        .size:           2
        .value_kind:     hidden_group_size_x
      - .offset:         110
        .size:           2
        .value_kind:     hidden_group_size_y
      - .offset:         112
        .size:           2
        .value_kind:     hidden_group_size_z
      - .offset:         114
        .size:           2
        .value_kind:     hidden_remainder_x
      - .offset:         116
        .size:           2
        .value_kind:     hidden_remainder_y
      - .offset:         118
        .size:           2
        .value_kind:     hidden_remainder_z
      - .offset:         136
        .size:           8
        .value_kind:     hidden_global_offset_x
      - .offset:         144
        .size:           8
        .value_kind:     hidden_global_offset_y
      - .offset:         152
        .size:           8
        .value_kind:     hidden_global_offset_z
      - .offset:         160
        .size:           2
        .value_kind:     hidden_grid_dims
    .group_segment_fixed_size: 8192
    .kernarg_segment_align: 8
    .kernarg_segment_size: 352
    .language:       OpenCL C
    .language_version:
      - 2
      - 0
    .max_flat_workgroup_size: 32
    .name:           _ZL38rocblas_trsm_small_left_device_sharedBILi32ELi32ELb1EffPKfPfEv13rocblas_fill_18rocblas_operation_17rocblas_diagonal_iiT3_T4_lilT5_lili
    .private_segment_fixed_size: 0
    .sgpr_count:     49
    .sgpr_spill_count: 0
    .symbol:         _ZL38rocblas_trsm_small_left_device_sharedBILi32ELi32ELb1EffPKfPfEv13rocblas_fill_18rocblas_operation_17rocblas_diagonal_iiT3_T4_lilT5_lili.kd
    .uniform_work_group_size: 1
    .uses_dynamic_stack: false
    .vgpr_count:     77
    .vgpr_spill_count: 0
    .wavefront_size: 32
  - .args:
      - .offset:         0
        .size:           4
        .value_kind:     by_value
      - .offset:         4
        .size:           4
        .value_kind:     by_value
      - .offset:         8
        .size:           4
        .value_kind:     by_value
      - .offset:         12
        .size:           4
        .value_kind:     by_value
      - .offset:         16
        .size:           4
        .value_kind:     by_value
      - .offset:         20
        .size:           4
        .value_kind:     by_value
      - .address_space:  global
        .offset:         24
        .size:           8
        .value_kind:     global_buffer
      - .offset:         32
        .size:           8
        .value_kind:     by_value
      - .offset:         40
        .size:           4
        .value_kind:     by_value
      - .offset:         48
        .size:           8
        .value_kind:     by_value
      - .address_space:  global
        .offset:         56
        .size:           8
        .value_kind:     global_buffer
      - .offset:         64
        .size:           8
        .value_kind:     by_value
      - .offset:         72
        .size:           4
        .value_kind:     by_value
      - .offset:         80
        .size:           8
        .value_kind:     by_value
      - .offset:         88
        .size:           4
        .value_kind:     by_value
      - .offset:         96
        .size:           4
        .value_kind:     hidden_block_count_x
      - .offset:         100
        .size:           4
        .value_kind:     hidden_block_count_y
      - .offset:         104
        .size:           4
        .value_kind:     hidden_block_count_z
      - .offset:         108
        .size:           2
        .value_kind:     hidden_group_size_x
      - .offset:         110
        .size:           2
        .value_kind:     hidden_group_size_y
      - .offset:         112
        .size:           2
        .value_kind:     hidden_group_size_z
      - .offset:         114
        .size:           2
        .value_kind:     hidden_remainder_x
      - .offset:         116
        .size:           2
        .value_kind:     hidden_remainder_y
      - .offset:         118
        .size:           2
        .value_kind:     hidden_remainder_z
      - .offset:         136
        .size:           8
        .value_kind:     hidden_global_offset_x
      - .offset:         144
        .size:           8
        .value_kind:     hidden_global_offset_y
      - .offset:         152
        .size:           8
        .value_kind:     hidden_global_offset_z
      - .offset:         160
        .size:           2
        .value_kind:     hidden_grid_dims
    .group_segment_fixed_size: 4096
    .kernarg_segment_align: 8
    .kernarg_segment_size: 352
    .language:       OpenCL C
    .language_version:
      - 2
      - 0
    .max_flat_workgroup_size: 32
    .name:           _ZL30rocblas_trsm_small_left_deviceILi32ELi32ELb1EffPKfPfEv13rocblas_fill_18rocblas_operation_17rocblas_diagonal_iiT3_T4_lilT5_lili
    .private_segment_fixed_size: 0
    .sgpr_count:     50
    .sgpr_spill_count: 0
    .symbol:         _ZL30rocblas_trsm_small_left_deviceILi32ELi32ELb1EffPKfPfEv13rocblas_fill_18rocblas_operation_17rocblas_diagonal_iiT3_T4_lilT5_lili.kd
    .uniform_work_group_size: 1
    .uses_dynamic_stack: false
    .vgpr_count:     77
    .vgpr_spill_count: 0
    .wavefront_size: 32
  - .args:
      - .offset:         0
        .size:           4
        .value_kind:     by_value
      - .offset:         4
        .size:           4
        .value_kind:     by_value
      - .offset:         8
        .size:           4
        .value_kind:     by_value
      - .offset:         12
        .size:           4
        .value_kind:     by_value
      - .offset:         16
        .size:           4
        .value_kind:     by_value
      - .offset:         20
        .size:           4
        .value_kind:     by_value
      - .address_space:  global
        .offset:         24
        .size:           8
        .value_kind:     global_buffer
      - .offset:         32
        .size:           8
        .value_kind:     by_value
      - .offset:         40
        .size:           4
        .value_kind:     by_value
      - .offset:         48
        .size:           8
        .value_kind:     by_value
      - .address_space:  global
        .offset:         56
        .size:           8
        .value_kind:     global_buffer
      - .offset:         64
        .size:           8
        .value_kind:     by_value
      - .offset:         72
        .size:           4
        .value_kind:     by_value
      - .offset:         80
        .size:           8
        .value_kind:     by_value
      - .offset:         88
        .size:           4
        .value_kind:     by_value
      - .offset:         96
        .size:           4
        .value_kind:     hidden_block_count_x
      - .offset:         100
        .size:           4
        .value_kind:     hidden_block_count_y
      - .offset:         104
        .size:           4
        .value_kind:     hidden_block_count_z
      - .offset:         108
        .size:           2
        .value_kind:     hidden_group_size_x
      - .offset:         110
        .size:           2
        .value_kind:     hidden_group_size_y
      - .offset:         112
        .size:           2
        .value_kind:     hidden_group_size_z
      - .offset:         114
        .size:           2
        .value_kind:     hidden_remainder_x
      - .offset:         116
        .size:           2
        .value_kind:     hidden_remainder_y
      - .offset:         118
        .size:           2
        .value_kind:     hidden_remainder_z
      - .offset:         136
        .size:           8
        .value_kind:     hidden_global_offset_x
      - .offset:         144
        .size:           8
        .value_kind:     hidden_global_offset_y
      - .offset:         152
        .size:           8
        .value_kind:     hidden_global_offset_z
      - .offset:         160
        .size:           2
        .value_kind:     hidden_grid_dims
    .group_segment_fixed_size: 8192
    .kernarg_segment_align: 8
    .kernarg_segment_size: 352
    .language:       OpenCL C
    .language_version:
      - 2
      - 0
    .max_flat_workgroup_size: 32
    .name:           _ZL31rocblas_trsm_small_right_deviceIffPKfPfLi32EEv13rocblas_fill_18rocblas_operation_17rocblas_diagonal_iiT0_T1_lilT2_lili
    .private_segment_fixed_size: 0
    .sgpr_count:     49
    .sgpr_spill_count: 0
    .symbol:         _ZL31rocblas_trsm_small_right_deviceIffPKfPfLi32EEv13rocblas_fill_18rocblas_operation_17rocblas_diagonal_iiT0_T1_lilT2_lili.kd
    .uniform_work_group_size: 1
    .uses_dynamic_stack: false
    .vgpr_count:     32
    .vgpr_spill_count: 0
    .wavefront_size: 32
  - .args:
      - .offset:         0
        .size:           4
        .value_kind:     by_value
      - .offset:         4
        .size:           4
        .value_kind:     by_value
      - .offset:         8
        .size:           4
        .value_kind:     by_value
      - .offset:         12
        .size:           4
        .value_kind:     by_value
      - .offset:         16
        .size:           4
        .value_kind:     by_value
      - .offset:         20
        .size:           4
        .value_kind:     by_value
      - .address_space:  global
        .offset:         24
        .size:           8
        .value_kind:     global_buffer
      - .offset:         32
        .size:           8
        .value_kind:     by_value
      - .offset:         40
        .size:           4
        .value_kind:     by_value
      - .offset:         48
        .size:           8
        .value_kind:     by_value
      - .address_space:  global
        .offset:         56
        .size:           8
        .value_kind:     global_buffer
      - .offset:         64
        .size:           8
        .value_kind:     by_value
      - .offset:         72
        .size:           4
        .value_kind:     by_value
      - .offset:         80
        .size:           8
        .value_kind:     by_value
      - .offset:         88
        .size:           4
        .value_kind:     by_value
      - .offset:         96
        .size:           4
        .value_kind:     hidden_block_count_x
      - .offset:         100
        .size:           4
        .value_kind:     hidden_block_count_y
      - .offset:         104
        .size:           4
        .value_kind:     hidden_block_count_z
      - .offset:         108
        .size:           2
        .value_kind:     hidden_group_size_x
      - .offset:         110
        .size:           2
        .value_kind:     hidden_group_size_y
      - .offset:         112
        .size:           2
        .value_kind:     hidden_group_size_z
      - .offset:         114
        .size:           2
        .value_kind:     hidden_remainder_x
      - .offset:         116
        .size:           2
        .value_kind:     hidden_remainder_y
      - .offset:         118
        .size:           2
        .value_kind:     hidden_remainder_z
      - .offset:         136
        .size:           8
        .value_kind:     hidden_global_offset_x
      - .offset:         144
        .size:           8
        .value_kind:     hidden_global_offset_y
      - .offset:         152
        .size:           8
        .value_kind:     hidden_global_offset_z
      - .offset:         160
        .size:           2
        .value_kind:     hidden_grid_dims
    .group_segment_fixed_size: 32768
    .kernarg_segment_align: 8
    .kernarg_segment_size: 352
    .language:       OpenCL C
    .language_version:
      - 2
      - 0
    .max_flat_workgroup_size: 64
    .name:           _ZL38rocblas_trsm_small_left_device_sharedBILi64ELi32ELb0EffPKfPfEv13rocblas_fill_18rocblas_operation_17rocblas_diagonal_iiT3_T4_lilT5_lili
    .private_segment_fixed_size: 0
    .sgpr_count:     49
    .sgpr_spill_count: 0
    .symbol:         _ZL38rocblas_trsm_small_left_device_sharedBILi64ELi32ELb0EffPKfPfEv13rocblas_fill_18rocblas_operation_17rocblas_diagonal_iiT3_T4_lilT5_lili.kd
    .uniform_work_group_size: 1
    .uses_dynamic_stack: false
    .vgpr_count:     77
    .vgpr_spill_count: 0
    .wavefront_size: 32
  - .args:
      - .offset:         0
        .size:           4
        .value_kind:     by_value
      - .offset:         4
        .size:           4
        .value_kind:     by_value
      - .offset:         8
        .size:           4
        .value_kind:     by_value
      - .offset:         12
        .size:           4
        .value_kind:     by_value
      - .offset:         16
        .size:           4
        .value_kind:     by_value
      - .offset:         20
        .size:           4
        .value_kind:     by_value
      - .address_space:  global
        .offset:         24
        .size:           8
        .value_kind:     global_buffer
      - .offset:         32
        .size:           8
        .value_kind:     by_value
      - .offset:         40
        .size:           4
        .value_kind:     by_value
      - .offset:         48
        .size:           8
        .value_kind:     by_value
      - .address_space:  global
        .offset:         56
        .size:           8
        .value_kind:     global_buffer
      - .offset:         64
        .size:           8
        .value_kind:     by_value
      - .offset:         72
        .size:           4
        .value_kind:     by_value
      - .offset:         80
        .size:           8
        .value_kind:     by_value
      - .offset:         88
        .size:           4
        .value_kind:     by_value
      - .offset:         96
        .size:           4
        .value_kind:     hidden_block_count_x
      - .offset:         100
        .size:           4
        .value_kind:     hidden_block_count_y
      - .offset:         104
        .size:           4
        .value_kind:     hidden_block_count_z
      - .offset:         108
        .size:           2
        .value_kind:     hidden_group_size_x
      - .offset:         110
        .size:           2
        .value_kind:     hidden_group_size_y
      - .offset:         112
        .size:           2
        .value_kind:     hidden_group_size_z
      - .offset:         114
        .size:           2
        .value_kind:     hidden_remainder_x
      - .offset:         116
        .size:           2
        .value_kind:     hidden_remainder_y
      - .offset:         118
        .size:           2
        .value_kind:     hidden_remainder_z
      - .offset:         136
        .size:           8
        .value_kind:     hidden_global_offset_x
      - .offset:         144
        .size:           8
        .value_kind:     hidden_global_offset_y
      - .offset:         152
        .size:           8
        .value_kind:     hidden_global_offset_z
      - .offset:         160
        .size:           2
        .value_kind:     hidden_grid_dims
    .group_segment_fixed_size: 16384
    .kernarg_segment_align: 8
    .kernarg_segment_size: 352
    .language:       OpenCL C
    .language_version:
      - 2
      - 0
    .max_flat_workgroup_size: 64
    .name:           _ZL30rocblas_trsm_small_left_deviceILi64ELi32ELb0EffPKfPfEv13rocblas_fill_18rocblas_operation_17rocblas_diagonal_iiT3_T4_lilT5_lili
    .private_segment_fixed_size: 0
    .sgpr_count:     49
    .sgpr_spill_count: 0
    .symbol:         _ZL30rocblas_trsm_small_left_deviceILi64ELi32ELb0EffPKfPfEv13rocblas_fill_18rocblas_operation_17rocblas_diagonal_iiT3_T4_lilT5_lili.kd
    .uniform_work_group_size: 1
    .uses_dynamic_stack: false
    .vgpr_count:     79
    .vgpr_spill_count: 0
    .wavefront_size: 32
  - .args:
      - .offset:         0
        .size:           4
        .value_kind:     by_value
      - .offset:         4
        .size:           4
        .value_kind:     by_value
      - .offset:         8
        .size:           4
        .value_kind:     by_value
      - .offset:         12
        .size:           4
        .value_kind:     by_value
      - .offset:         16
        .size:           4
        .value_kind:     by_value
      - .offset:         20
        .size:           4
        .value_kind:     by_value
      - .address_space:  global
        .offset:         24
        .size:           8
        .value_kind:     global_buffer
      - .offset:         32
        .size:           8
        .value_kind:     by_value
      - .offset:         40
        .size:           4
        .value_kind:     by_value
      - .offset:         48
        .size:           8
        .value_kind:     by_value
      - .address_space:  global
        .offset:         56
        .size:           8
        .value_kind:     global_buffer
      - .offset:         64
        .size:           8
        .value_kind:     by_value
      - .offset:         72
        .size:           4
        .value_kind:     by_value
      - .offset:         80
        .size:           8
        .value_kind:     by_value
      - .offset:         88
        .size:           4
        .value_kind:     by_value
      - .offset:         96
        .size:           4
        .value_kind:     hidden_block_count_x
      - .offset:         100
        .size:           4
        .value_kind:     hidden_block_count_y
      - .offset:         104
        .size:           4
        .value_kind:     hidden_block_count_z
      - .offset:         108
        .size:           2
        .value_kind:     hidden_group_size_x
      - .offset:         110
        .size:           2
        .value_kind:     hidden_group_size_y
      - .offset:         112
        .size:           2
        .value_kind:     hidden_group_size_z
      - .offset:         114
        .size:           2
        .value_kind:     hidden_remainder_x
      - .offset:         116
        .size:           2
        .value_kind:     hidden_remainder_y
      - .offset:         118
        .size:           2
        .value_kind:     hidden_remainder_z
      - .offset:         136
        .size:           8
        .value_kind:     hidden_global_offset_x
      - .offset:         144
        .size:           8
        .value_kind:     hidden_global_offset_y
      - .offset:         152
        .size:           8
        .value_kind:     hidden_global_offset_z
      - .offset:         160
        .size:           2
        .value_kind:     hidden_grid_dims
    .group_segment_fixed_size: 32768
    .kernarg_segment_align: 8
    .kernarg_segment_size: 352
    .language:       OpenCL C
    .language_version:
      - 2
      - 0
    .max_flat_workgroup_size: 64
    .name:           _ZL38rocblas_trsm_small_left_device_sharedBILi64ELi32ELb1EffPKfPfEv13rocblas_fill_18rocblas_operation_17rocblas_diagonal_iiT3_T4_lilT5_lili
    .private_segment_fixed_size: 0
    .sgpr_count:     49
    .sgpr_spill_count: 0
    .symbol:         _ZL38rocblas_trsm_small_left_device_sharedBILi64ELi32ELb1EffPKfPfEv13rocblas_fill_18rocblas_operation_17rocblas_diagonal_iiT3_T4_lilT5_lili.kd
    .uniform_work_group_size: 1
    .uses_dynamic_stack: false
    .vgpr_count:     77
    .vgpr_spill_count: 0
    .wavefront_size: 32
  - .args:
      - .offset:         0
        .size:           4
        .value_kind:     by_value
      - .offset:         4
        .size:           4
        .value_kind:     by_value
      - .offset:         8
        .size:           4
        .value_kind:     by_value
      - .offset:         12
        .size:           4
        .value_kind:     by_value
      - .offset:         16
        .size:           4
        .value_kind:     by_value
      - .offset:         20
        .size:           4
        .value_kind:     by_value
      - .address_space:  global
        .offset:         24
        .size:           8
        .value_kind:     global_buffer
      - .offset:         32
        .size:           8
        .value_kind:     by_value
      - .offset:         40
        .size:           4
        .value_kind:     by_value
      - .offset:         48
        .size:           8
        .value_kind:     by_value
      - .address_space:  global
        .offset:         56
        .size:           8
        .value_kind:     global_buffer
      - .offset:         64
        .size:           8
        .value_kind:     by_value
      - .offset:         72
        .size:           4
        .value_kind:     by_value
      - .offset:         80
        .size:           8
        .value_kind:     by_value
      - .offset:         88
        .size:           4
        .value_kind:     by_value
      - .offset:         96
        .size:           4
        .value_kind:     hidden_block_count_x
      - .offset:         100
        .size:           4
        .value_kind:     hidden_block_count_y
      - .offset:         104
        .size:           4
        .value_kind:     hidden_block_count_z
      - .offset:         108
        .size:           2
        .value_kind:     hidden_group_size_x
      - .offset:         110
        .size:           2
        .value_kind:     hidden_group_size_y
      - .offset:         112
        .size:           2
        .value_kind:     hidden_group_size_z
      - .offset:         114
        .size:           2
        .value_kind:     hidden_remainder_x
      - .offset:         116
        .size:           2
        .value_kind:     hidden_remainder_y
      - .offset:         118
        .size:           2
        .value_kind:     hidden_remainder_z
      - .offset:         136
        .size:           8
        .value_kind:     hidden_global_offset_x
      - .offset:         144
        .size:           8
        .value_kind:     hidden_global_offset_y
      - .offset:         152
        .size:           8
        .value_kind:     hidden_global_offset_z
      - .offset:         160
        .size:           2
        .value_kind:     hidden_grid_dims
    .group_segment_fixed_size: 16384
    .kernarg_segment_align: 8
    .kernarg_segment_size: 352
    .language:       OpenCL C
    .language_version:
      - 2
      - 0
    .max_flat_workgroup_size: 64
    .name:           _ZL30rocblas_trsm_small_left_deviceILi64ELi32ELb1EffPKfPfEv13rocblas_fill_18rocblas_operation_17rocblas_diagonal_iiT3_T4_lilT5_lili
    .private_segment_fixed_size: 0
    .sgpr_count:     50
    .sgpr_spill_count: 0
    .symbol:         _ZL30rocblas_trsm_small_left_deviceILi64ELi32ELb1EffPKfPfEv13rocblas_fill_18rocblas_operation_17rocblas_diagonal_iiT3_T4_lilT5_lili.kd
    .uniform_work_group_size: 1
    .uses_dynamic_stack: false
    .vgpr_count:     77
    .vgpr_spill_count: 0
    .wavefront_size: 32
  - .args:
      - .offset:         0
        .size:           4
        .value_kind:     by_value
      - .offset:         4
        .size:           4
        .value_kind:     by_value
      - .offset:         8
        .size:           4
        .value_kind:     by_value
      - .offset:         12
        .size:           4
        .value_kind:     by_value
      - .offset:         16
        .size:           4
        .value_kind:     by_value
      - .offset:         20
        .size:           4
        .value_kind:     by_value
      - .address_space:  global
        .offset:         24
        .size:           8
        .value_kind:     global_buffer
      - .offset:         32
        .size:           8
        .value_kind:     by_value
      - .offset:         40
        .size:           4
        .value_kind:     by_value
      - .offset:         48
        .size:           8
        .value_kind:     by_value
      - .address_space:  global
        .offset:         56
        .size:           8
        .value_kind:     global_buffer
      - .offset:         64
        .size:           8
        .value_kind:     by_value
      - .offset:         72
        .size:           4
        .value_kind:     by_value
      - .offset:         80
        .size:           8
        .value_kind:     by_value
      - .offset:         88
        .size:           4
        .value_kind:     by_value
      - .offset:         96
        .size:           4
        .value_kind:     hidden_block_count_x
      - .offset:         100
        .size:           4
        .value_kind:     hidden_block_count_y
      - .offset:         104
        .size:           4
        .value_kind:     hidden_block_count_z
      - .offset:         108
        .size:           2
        .value_kind:     hidden_group_size_x
      - .offset:         110
        .size:           2
        .value_kind:     hidden_group_size_y
      - .offset:         112
        .size:           2
        .value_kind:     hidden_group_size_z
      - .offset:         114
        .size:           2
        .value_kind:     hidden_remainder_x
      - .offset:         116
        .size:           2
        .value_kind:     hidden_remainder_y
      - .offset:         118
        .size:           2
        .value_kind:     hidden_remainder_z
      - .offset:         136
        .size:           8
        .value_kind:     hidden_global_offset_x
      - .offset:         144
        .size:           8
        .value_kind:     hidden_global_offset_y
      - .offset:         152
        .size:           8
        .value_kind:     hidden_global_offset_z
      - .offset:         160
        .size:           2
        .value_kind:     hidden_grid_dims
    .group_segment_fixed_size: 32768
    .kernarg_segment_align: 8
    .kernarg_segment_size: 352
    .language:       OpenCL C
    .language_version:
      - 2
      - 0
    .max_flat_workgroup_size: 64
    .name:           _ZL31rocblas_trsm_small_right_deviceIffPKfPfLi64EEv13rocblas_fill_18rocblas_operation_17rocblas_diagonal_iiT0_T1_lilT2_lili
    .private_segment_fixed_size: 0
    .sgpr_count:     49
    .sgpr_spill_count: 0
    .symbol:         _ZL31rocblas_trsm_small_right_deviceIffPKfPfLi64EEv13rocblas_fill_18rocblas_operation_17rocblas_diagonal_iiT0_T1_lilT2_lili.kd
    .uniform_work_group_size: 1
    .uses_dynamic_stack: false
    .vgpr_count:     32
    .vgpr_spill_count: 0
    .wavefront_size: 32
  - .args:
      - .offset:         0
        .size:           4
        .value_kind:     by_value
      - .offset:         8
        .size:           8
        .value_kind:     by_value
      - .offset:         16
        .size:           8
        .value_kind:     by_value
      - .offset:         24
        .size:           4
        .value_kind:     by_value
      - .address_space:  global
        .offset:         32
        .size:           8
        .value_kind:     global_buffer
      - .offset:         40
        .size:           8
        .value_kind:     by_value
      - .offset:         48
        .size:           8
        .value_kind:     by_value
      - .offset:         56
        .size:           8
        .value_kind:     by_value
      - .address_space:  global
        .offset:         64
        .size:           8
        .value_kind:     global_buffer
      - .offset:         72
        .size:           8
        .value_kind:     by_value
      - .offset:         80
        .size:           8
        .value_kind:     by_value
      - .offset:         88
        .size:           8
        .value_kind:     by_value
      - .offset:         96
        .size:           4
        .value_kind:     by_value
      - .offset:         100
        .size:           1
        .value_kind:     by_value
      - .offset:         104
        .size:           4
        .value_kind:     hidden_block_count_x
      - .offset:         108
        .size:           4
        .value_kind:     hidden_block_count_y
      - .offset:         112
        .size:           4
        .value_kind:     hidden_block_count_z
      - .offset:         116
        .size:           2
        .value_kind:     hidden_group_size_x
      - .offset:         118
        .size:           2
        .value_kind:     hidden_group_size_y
      - .offset:         120
        .size:           2
        .value_kind:     hidden_group_size_z
      - .offset:         122
        .size:           2
        .value_kind:     hidden_remainder_x
      - .offset:         124
        .size:           2
        .value_kind:     hidden_remainder_y
      - .offset:         126
        .size:           2
        .value_kind:     hidden_remainder_z
      - .offset:         144
        .size:           8
        .value_kind:     hidden_global_offset_x
      - .offset:         152
        .size:           8
        .value_kind:     hidden_global_offset_y
      - .offset:         160
        .size:           8
        .value_kind:     hidden_global_offset_z
      - .offset:         168
        .size:           2
        .value_kind:     hidden_grid_dims
      - .offset:         224
        .size:           4
        .value_kind:     hidden_dynamic_lds_size
    .group_segment_fixed_size: 0
    .kernarg_segment_align: 8
    .kernarg_segment_size: 360
    .language:       OpenCL C
    .language_version:
      - 2
      - 0
    .max_flat_workgroup_size: 1024
    .name:           _ZL39rocblas_trsm_block_forward_substitutionIffPKfPfLb0ELb0ELb0EEv18rocblas_operation_llT0_T1_lllT2_lllib
    .private_segment_fixed_size: 0
    .sgpr_count:     40
    .sgpr_spill_count: 0
    .symbol:         _ZL39rocblas_trsm_block_forward_substitutionIffPKfPfLb0ELb0ELb0EEv18rocblas_operation_llT0_T1_lllT2_lllib.kd
    .uniform_work_group_size: 1
    .uses_dynamic_stack: false
    .vgpr_count:     22
    .vgpr_spill_count: 0
    .wavefront_size: 32
  - .args:
      - .offset:         0
        .size:           4
        .value_kind:     by_value
      - .offset:         8
        .size:           8
        .value_kind:     by_value
      - .offset:         16
        .size:           8
        .value_kind:     by_value
      - .offset:         24
        .size:           4
        .value_kind:     by_value
      - .address_space:  global
        .offset:         32
        .size:           8
        .value_kind:     global_buffer
      - .offset:         40
        .size:           8
        .value_kind:     by_value
      - .offset:         48
        .size:           8
        .value_kind:     by_value
      - .offset:         56
        .size:           8
        .value_kind:     by_value
      - .address_space:  global
        .offset:         64
        .size:           8
        .value_kind:     global_buffer
      - .offset:         72
        .size:           8
        .value_kind:     by_value
      - .offset:         80
        .size:           8
        .value_kind:     by_value
      - .offset:         88
        .size:           8
        .value_kind:     by_value
      - .offset:         96
        .size:           4
        .value_kind:     by_value
      - .offset:         100
        .size:           1
        .value_kind:     by_value
      - .offset:         104
        .size:           4
        .value_kind:     hidden_block_count_x
      - .offset:         108
        .size:           4
        .value_kind:     hidden_block_count_y
      - .offset:         112
        .size:           4
        .value_kind:     hidden_block_count_z
      - .offset:         116
        .size:           2
        .value_kind:     hidden_group_size_x
      - .offset:         118
        .size:           2
        .value_kind:     hidden_group_size_y
      - .offset:         120
        .size:           2
        .value_kind:     hidden_group_size_z
      - .offset:         122
        .size:           2
        .value_kind:     hidden_remainder_x
      - .offset:         124
        .size:           2
        .value_kind:     hidden_remainder_y
      - .offset:         126
        .size:           2
        .value_kind:     hidden_remainder_z
      - .offset:         144
        .size:           8
        .value_kind:     hidden_global_offset_x
      - .offset:         152
        .size:           8
        .value_kind:     hidden_global_offset_y
      - .offset:         160
        .size:           8
        .value_kind:     hidden_global_offset_z
      - .offset:         168
        .size:           2
        .value_kind:     hidden_grid_dims
      - .offset:         224
        .size:           4
        .value_kind:     hidden_dynamic_lds_size
    .group_segment_fixed_size: 0
    .kernarg_segment_align: 8
    .kernarg_segment_size: 360
    .language:       OpenCL C
    .language_version:
      - 2
      - 0
    .max_flat_workgroup_size: 1024
    .name:           _ZL40rocblas_trsm_block_backward_substitutionIffPKfPfLb0ELb0ELb0EEv18rocblas_operation_llT0_T1_lllT2_lllib
    .private_segment_fixed_size: 0
    .sgpr_count:     48
    .sgpr_spill_count: 0
    .symbol:         _ZL40rocblas_trsm_block_backward_substitutionIffPKfPfLb0ELb0ELb0EEv18rocblas_operation_llT0_T1_lllT2_lllib.kd
    .uniform_work_group_size: 1
    .uses_dynamic_stack: false
    .vgpr_count:     25
    .vgpr_spill_count: 0
    .wavefront_size: 32
  - .args:
      - .offset:         0
        .size:           4
        .value_kind:     by_value
      - .offset:         8
        .size:           8
        .value_kind:     by_value
      - .offset:         16
        .size:           8
        .value_kind:     by_value
      - .offset:         24
        .size:           4
        .value_kind:     by_value
      - .address_space:  global
        .offset:         32
        .size:           8
        .value_kind:     global_buffer
      - .offset:         40
        .size:           8
        .value_kind:     by_value
      - .offset:         48
        .size:           8
        .value_kind:     by_value
      - .offset:         56
        .size:           8
        .value_kind:     by_value
      - .address_space:  global
        .offset:         64
        .size:           8
        .value_kind:     global_buffer
      - .offset:         72
        .size:           8
        .value_kind:     by_value
      - .offset:         80
        .size:           8
        .value_kind:     by_value
      - .offset:         88
        .size:           8
        .value_kind:     by_value
      - .offset:         96
        .size:           4
        .value_kind:     by_value
      - .offset:         100
        .size:           1
        .value_kind:     by_value
      - .offset:         104
        .size:           4
        .value_kind:     hidden_block_count_x
      - .offset:         108
        .size:           4
        .value_kind:     hidden_block_count_y
      - .offset:         112
        .size:           4
        .value_kind:     hidden_block_count_z
      - .offset:         116
        .size:           2
        .value_kind:     hidden_group_size_x
      - .offset:         118
        .size:           2
        .value_kind:     hidden_group_size_y
      - .offset:         120
        .size:           2
        .value_kind:     hidden_group_size_z
      - .offset:         122
        .size:           2
        .value_kind:     hidden_remainder_x
      - .offset:         124
        .size:           2
        .value_kind:     hidden_remainder_y
      - .offset:         126
        .size:           2
        .value_kind:     hidden_remainder_z
      - .offset:         144
        .size:           8
        .value_kind:     hidden_global_offset_x
      - .offset:         152
        .size:           8
        .value_kind:     hidden_global_offset_y
      - .offset:         160
        .size:           8
        .value_kind:     hidden_global_offset_z
      - .offset:         168
        .size:           2
        .value_kind:     hidden_grid_dims
      - .offset:         224
        .size:           4
        .value_kind:     hidden_dynamic_lds_size
    .group_segment_fixed_size: 0
    .kernarg_segment_align: 8
    .kernarg_segment_size: 360
    .language:       OpenCL C
    .language_version:
      - 2
      - 0
    .max_flat_workgroup_size: 1024
    .name:           _ZL39rocblas_trsm_block_forward_substitutionIffPKfPfLb0ELb0ELb1EEv18rocblas_operation_llT0_T1_lllT2_lllib
    .private_segment_fixed_size: 0
    .sgpr_count:     34
    .sgpr_spill_count: 0
    .symbol:         _ZL39rocblas_trsm_block_forward_substitutionIffPKfPfLb0ELb0ELb1EEv18rocblas_operation_llT0_T1_lllT2_lllib.kd
    .uniform_work_group_size: 1
    .uses_dynamic_stack: false
    .vgpr_count:     16
    .vgpr_spill_count: 0
    .wavefront_size: 32
  - .args:
      - .offset:         0
        .size:           4
        .value_kind:     by_value
      - .offset:         8
        .size:           8
        .value_kind:     by_value
      - .offset:         16
        .size:           8
        .value_kind:     by_value
      - .offset:         24
        .size:           4
        .value_kind:     by_value
      - .address_space:  global
        .offset:         32
        .size:           8
        .value_kind:     global_buffer
      - .offset:         40
        .size:           8
        .value_kind:     by_value
      - .offset:         48
        .size:           8
        .value_kind:     by_value
      - .offset:         56
        .size:           8
        .value_kind:     by_value
      - .address_space:  global
        .offset:         64
        .size:           8
        .value_kind:     global_buffer
      - .offset:         72
        .size:           8
        .value_kind:     by_value
      - .offset:         80
        .size:           8
        .value_kind:     by_value
      - .offset:         88
        .size:           8
        .value_kind:     by_value
      - .offset:         96
        .size:           4
        .value_kind:     by_value
      - .offset:         100
        .size:           1
        .value_kind:     by_value
      - .offset:         104
        .size:           4
        .value_kind:     hidden_block_count_x
      - .offset:         108
        .size:           4
        .value_kind:     hidden_block_count_y
      - .offset:         112
        .size:           4
        .value_kind:     hidden_block_count_z
      - .offset:         116
        .size:           2
        .value_kind:     hidden_group_size_x
      - .offset:         118
        .size:           2
        .value_kind:     hidden_group_size_y
      - .offset:         120
        .size:           2
        .value_kind:     hidden_group_size_z
      - .offset:         122
        .size:           2
        .value_kind:     hidden_remainder_x
      - .offset:         124
        .size:           2
        .value_kind:     hidden_remainder_y
      - .offset:         126
        .size:           2
        .value_kind:     hidden_remainder_z
      - .offset:         144
        .size:           8
        .value_kind:     hidden_global_offset_x
      - .offset:         152
        .size:           8
        .value_kind:     hidden_global_offset_y
      - .offset:         160
        .size:           8
        .value_kind:     hidden_global_offset_z
      - .offset:         168
        .size:           2
        .value_kind:     hidden_grid_dims
      - .offset:         224
        .size:           4
        .value_kind:     hidden_dynamic_lds_size
    .group_segment_fixed_size: 0
    .kernarg_segment_align: 8
    .kernarg_segment_size: 360
    .language:       OpenCL C
    .language_version:
      - 2
      - 0
    .max_flat_workgroup_size: 1024
    .name:           _ZL40rocblas_trsm_block_backward_substitutionIffPKfPfLb0ELb0ELb1EEv18rocblas_operation_llT0_T1_lllT2_lllib
    .private_segment_fixed_size: 0
    .sgpr_count:     40
    .sgpr_spill_count: 0
    .symbol:         _ZL40rocblas_trsm_block_backward_substitutionIffPKfPfLb0ELb0ELb1EEv18rocblas_operation_llT0_T1_lllT2_lllib.kd
    .uniform_work_group_size: 1
    .uses_dynamic_stack: false
    .vgpr_count:     17
    .vgpr_spill_count: 0
    .wavefront_size: 32
  - .args:
      - .offset:         0
        .size:           4
        .value_kind:     by_value
      - .offset:         8
        .size:           8
        .value_kind:     by_value
      - .offset:         16
        .size:           8
        .value_kind:     by_value
      - .offset:         24
        .size:           4
        .value_kind:     by_value
      - .address_space:  global
        .offset:         32
        .size:           8
        .value_kind:     global_buffer
      - .offset:         40
        .size:           8
        .value_kind:     by_value
      - .offset:         48
        .size:           8
        .value_kind:     by_value
      - .offset:         56
        .size:           8
        .value_kind:     by_value
      - .address_space:  global
        .offset:         64
        .size:           8
        .value_kind:     global_buffer
      - .offset:         72
        .size:           8
        .value_kind:     by_value
      - .offset:         80
        .size:           8
        .value_kind:     by_value
      - .offset:         88
        .size:           8
        .value_kind:     by_value
      - .offset:         96
        .size:           4
        .value_kind:     by_value
      - .offset:         100
        .size:           1
        .value_kind:     by_value
      - .offset:         104
        .size:           4
        .value_kind:     hidden_block_count_x
      - .offset:         108
        .size:           4
        .value_kind:     hidden_block_count_y
      - .offset:         112
        .size:           4
        .value_kind:     hidden_block_count_z
      - .offset:         116
        .size:           2
        .value_kind:     hidden_group_size_x
      - .offset:         118
        .size:           2
        .value_kind:     hidden_group_size_y
      - .offset:         120
        .size:           2
        .value_kind:     hidden_group_size_z
      - .offset:         122
        .size:           2
        .value_kind:     hidden_remainder_x
      - .offset:         124
        .size:           2
        .value_kind:     hidden_remainder_y
      - .offset:         126
        .size:           2
        .value_kind:     hidden_remainder_z
      - .offset:         144
        .size:           8
        .value_kind:     hidden_global_offset_x
      - .offset:         152
        .size:           8
        .value_kind:     hidden_global_offset_y
      - .offset:         160
        .size:           8
        .value_kind:     hidden_global_offset_z
      - .offset:         168
        .size:           2
        .value_kind:     hidden_grid_dims
      - .offset:         224
        .size:           4
        .value_kind:     hidden_dynamic_lds_size
    .group_segment_fixed_size: 0
    .kernarg_segment_align: 8
    .kernarg_segment_size: 360
    .language:       OpenCL C
    .language_version:
      - 2
      - 0
    .max_flat_workgroup_size: 1024
    .name:           _ZL39rocblas_trsm_block_forward_substitutionIffPKfPfLb0ELb1ELb0EEv18rocblas_operation_llT0_T1_lllT2_lllib
    .private_segment_fixed_size: 0
    .sgpr_count:     38
    .sgpr_spill_count: 0
    .symbol:         _ZL39rocblas_trsm_block_forward_substitutionIffPKfPfLb0ELb1ELb0EEv18rocblas_operation_llT0_T1_lllT2_lllib.kd
    .uniform_work_group_size: 1
    .uses_dynamic_stack: false
    .vgpr_count:     22
    .vgpr_spill_count: 0
    .wavefront_size: 32
  - .args:
      - .offset:         0
        .size:           4
        .value_kind:     by_value
      - .offset:         8
        .size:           8
        .value_kind:     by_value
      - .offset:         16
        .size:           8
        .value_kind:     by_value
      - .offset:         24
        .size:           4
        .value_kind:     by_value
      - .address_space:  global
        .offset:         32
        .size:           8
        .value_kind:     global_buffer
      - .offset:         40
        .size:           8
        .value_kind:     by_value
      - .offset:         48
        .size:           8
        .value_kind:     by_value
      - .offset:         56
        .size:           8
        .value_kind:     by_value
      - .address_space:  global
        .offset:         64
        .size:           8
        .value_kind:     global_buffer
      - .offset:         72
        .size:           8
        .value_kind:     by_value
      - .offset:         80
        .size:           8
        .value_kind:     by_value
      - .offset:         88
        .size:           8
        .value_kind:     by_value
      - .offset:         96
        .size:           4
        .value_kind:     by_value
      - .offset:         100
        .size:           1
        .value_kind:     by_value
      - .offset:         104
        .size:           4
        .value_kind:     hidden_block_count_x
      - .offset:         108
        .size:           4
        .value_kind:     hidden_block_count_y
      - .offset:         112
        .size:           4
        .value_kind:     hidden_block_count_z
      - .offset:         116
        .size:           2
        .value_kind:     hidden_group_size_x
      - .offset:         118
        .size:           2
        .value_kind:     hidden_group_size_y
      - .offset:         120
        .size:           2
        .value_kind:     hidden_group_size_z
      - .offset:         122
        .size:           2
        .value_kind:     hidden_remainder_x
      - .offset:         124
        .size:           2
        .value_kind:     hidden_remainder_y
      - .offset:         126
        .size:           2
        .value_kind:     hidden_remainder_z
      - .offset:         144
        .size:           8
        .value_kind:     hidden_global_offset_x
      - .offset:         152
        .size:           8
        .value_kind:     hidden_global_offset_y
      - .offset:         160
        .size:           8
        .value_kind:     hidden_global_offset_z
      - .offset:         168
        .size:           2
        .value_kind:     hidden_grid_dims
      - .offset:         224
        .size:           4
        .value_kind:     hidden_dynamic_lds_size
    .group_segment_fixed_size: 0
    .kernarg_segment_align: 8
    .kernarg_segment_size: 360
    .language:       OpenCL C
    .language_version:
      - 2
      - 0
    .max_flat_workgroup_size: 1024
    .name:           _ZL40rocblas_trsm_block_backward_substitutionIffPKfPfLb0ELb1ELb0EEv18rocblas_operation_llT0_T1_lllT2_lllib
    .private_segment_fixed_size: 0
    .sgpr_count:     48
    .sgpr_spill_count: 0
    .symbol:         _ZL40rocblas_trsm_block_backward_substitutionIffPKfPfLb0ELb1ELb0EEv18rocblas_operation_llT0_T1_lllT2_lllib.kd
    .uniform_work_group_size: 1
    .uses_dynamic_stack: false
    .vgpr_count:     25
    .vgpr_spill_count: 0
    .wavefront_size: 32
  - .args:
      - .offset:         0
        .size:           4
        .value_kind:     by_value
      - .offset:         8
        .size:           8
        .value_kind:     by_value
      - .offset:         16
        .size:           8
        .value_kind:     by_value
      - .offset:         24
        .size:           4
        .value_kind:     by_value
      - .address_space:  global
        .offset:         32
        .size:           8
        .value_kind:     global_buffer
      - .offset:         40
        .size:           8
        .value_kind:     by_value
      - .offset:         48
        .size:           8
        .value_kind:     by_value
      - .offset:         56
        .size:           8
        .value_kind:     by_value
      - .address_space:  global
        .offset:         64
        .size:           8
        .value_kind:     global_buffer
      - .offset:         72
        .size:           8
        .value_kind:     by_value
      - .offset:         80
        .size:           8
        .value_kind:     by_value
      - .offset:         88
        .size:           8
        .value_kind:     by_value
      - .offset:         96
        .size:           4
        .value_kind:     by_value
      - .offset:         100
        .size:           1
        .value_kind:     by_value
      - .offset:         104
        .size:           4
        .value_kind:     hidden_block_count_x
      - .offset:         108
        .size:           4
        .value_kind:     hidden_block_count_y
      - .offset:         112
        .size:           4
        .value_kind:     hidden_block_count_z
      - .offset:         116
        .size:           2
        .value_kind:     hidden_group_size_x
      - .offset:         118
        .size:           2
        .value_kind:     hidden_group_size_y
      - .offset:         120
        .size:           2
        .value_kind:     hidden_group_size_z
      - .offset:         122
        .size:           2
        .value_kind:     hidden_remainder_x
      - .offset:         124
        .size:           2
        .value_kind:     hidden_remainder_y
      - .offset:         126
        .size:           2
        .value_kind:     hidden_remainder_z
      - .offset:         144
        .size:           8
        .value_kind:     hidden_global_offset_x
      - .offset:         152
        .size:           8
        .value_kind:     hidden_global_offset_y
      - .offset:         160
        .size:           8
        .value_kind:     hidden_global_offset_z
      - .offset:         168
        .size:           2
        .value_kind:     hidden_grid_dims
      - .offset:         224
        .size:           4
        .value_kind:     hidden_dynamic_lds_size
    .group_segment_fixed_size: 0
    .kernarg_segment_align: 8
    .kernarg_segment_size: 360
    .language:       OpenCL C
    .language_version:
      - 2
      - 0
    .max_flat_workgroup_size: 1024
    .name:           _ZL39rocblas_trsm_block_forward_substitutionIffPKfPfLb0ELb1ELb1EEv18rocblas_operation_llT0_T1_lllT2_lllib
    .private_segment_fixed_size: 0
    .sgpr_count:     34
    .sgpr_spill_count: 0
    .symbol:         _ZL39rocblas_trsm_block_forward_substitutionIffPKfPfLb0ELb1ELb1EEv18rocblas_operation_llT0_T1_lllT2_lllib.kd
    .uniform_work_group_size: 1
    .uses_dynamic_stack: false
    .vgpr_count:     16
    .vgpr_spill_count: 0
    .wavefront_size: 32
  - .args:
      - .offset:         0
        .size:           4
        .value_kind:     by_value
      - .offset:         8
        .size:           8
        .value_kind:     by_value
      - .offset:         16
        .size:           8
        .value_kind:     by_value
      - .offset:         24
        .size:           4
        .value_kind:     by_value
      - .address_space:  global
        .offset:         32
        .size:           8
        .value_kind:     global_buffer
      - .offset:         40
        .size:           8
        .value_kind:     by_value
      - .offset:         48
        .size:           8
        .value_kind:     by_value
      - .offset:         56
        .size:           8
        .value_kind:     by_value
      - .address_space:  global
        .offset:         64
        .size:           8
        .value_kind:     global_buffer
      - .offset:         72
        .size:           8
        .value_kind:     by_value
      - .offset:         80
        .size:           8
        .value_kind:     by_value
      - .offset:         88
        .size:           8
        .value_kind:     by_value
      - .offset:         96
        .size:           4
        .value_kind:     by_value
      - .offset:         100
        .size:           1
        .value_kind:     by_value
      - .offset:         104
        .size:           4
        .value_kind:     hidden_block_count_x
      - .offset:         108
        .size:           4
        .value_kind:     hidden_block_count_y
      - .offset:         112
        .size:           4
        .value_kind:     hidden_block_count_z
      - .offset:         116
        .size:           2
        .value_kind:     hidden_group_size_x
      - .offset:         118
        .size:           2
        .value_kind:     hidden_group_size_y
      - .offset:         120
        .size:           2
        .value_kind:     hidden_group_size_z
      - .offset:         122
        .size:           2
        .value_kind:     hidden_remainder_x
      - .offset:         124
        .size:           2
        .value_kind:     hidden_remainder_y
      - .offset:         126
        .size:           2
        .value_kind:     hidden_remainder_z
      - .offset:         144
        .size:           8
        .value_kind:     hidden_global_offset_x
      - .offset:         152
        .size:           8
        .value_kind:     hidden_global_offset_y
      - .offset:         160
        .size:           8
        .value_kind:     hidden_global_offset_z
      - .offset:         168
        .size:           2
        .value_kind:     hidden_grid_dims
      - .offset:         224
        .size:           4
        .value_kind:     hidden_dynamic_lds_size
    .group_segment_fixed_size: 0
    .kernarg_segment_align: 8
    .kernarg_segment_size: 360
    .language:       OpenCL C
    .language_version:
      - 2
      - 0
    .max_flat_workgroup_size: 1024
    .name:           _ZL40rocblas_trsm_block_backward_substitutionIffPKfPfLb0ELb1ELb1EEv18rocblas_operation_llT0_T1_lllT2_lllib
    .private_segment_fixed_size: 0
    .sgpr_count:     40
    .sgpr_spill_count: 0
    .symbol:         _ZL40rocblas_trsm_block_backward_substitutionIffPKfPfLb0ELb1ELb1EEv18rocblas_operation_llT0_T1_lllT2_lllib.kd
    .uniform_work_group_size: 1
    .uses_dynamic_stack: false
    .vgpr_count:     18
    .vgpr_spill_count: 0
    .wavefront_size: 32
  - .args:
      - .offset:         0
        .size:           4
        .value_kind:     by_value
      - .offset:         8
        .size:           8
        .value_kind:     by_value
      - .offset:         16
        .size:           8
        .value_kind:     by_value
      - .offset:         24
        .size:           4
        .value_kind:     by_value
      - .address_space:  global
        .offset:         32
        .size:           8
        .value_kind:     global_buffer
      - .offset:         40
        .size:           8
        .value_kind:     by_value
      - .offset:         48
        .size:           8
        .value_kind:     by_value
      - .offset:         56
        .size:           8
        .value_kind:     by_value
      - .address_space:  global
        .offset:         64
        .size:           8
        .value_kind:     global_buffer
      - .offset:         72
        .size:           8
        .value_kind:     by_value
      - .offset:         80
        .size:           8
        .value_kind:     by_value
      - .offset:         88
        .size:           8
        .value_kind:     by_value
      - .offset:         96
        .size:           4
        .value_kind:     by_value
      - .offset:         100
        .size:           1
        .value_kind:     by_value
      - .offset:         104
        .size:           4
        .value_kind:     hidden_block_count_x
      - .offset:         108
        .size:           4
        .value_kind:     hidden_block_count_y
      - .offset:         112
        .size:           4
        .value_kind:     hidden_block_count_z
      - .offset:         116
        .size:           2
        .value_kind:     hidden_group_size_x
      - .offset:         118
        .size:           2
        .value_kind:     hidden_group_size_y
      - .offset:         120
        .size:           2
        .value_kind:     hidden_group_size_z
      - .offset:         122
        .size:           2
        .value_kind:     hidden_remainder_x
      - .offset:         124
        .size:           2
        .value_kind:     hidden_remainder_y
      - .offset:         126
        .size:           2
        .value_kind:     hidden_remainder_z
      - .offset:         144
        .size:           8
        .value_kind:     hidden_global_offset_x
      - .offset:         152
        .size:           8
        .value_kind:     hidden_global_offset_y
      - .offset:         160
        .size:           8
        .value_kind:     hidden_global_offset_z
      - .offset:         168
        .size:           2
        .value_kind:     hidden_grid_dims
      - .offset:         224
        .size:           4
        .value_kind:     hidden_dynamic_lds_size
    .group_segment_fixed_size: 0
    .kernarg_segment_align: 8
    .kernarg_segment_size: 360
    .language:       OpenCL C
    .language_version:
      - 2
      - 0
    .max_flat_workgroup_size: 1024
    .name:           _ZL39rocblas_trsm_block_forward_substitutionIffPKfPfLb1ELb1ELb0EEv18rocblas_operation_llT0_T1_lllT2_lllib
    .private_segment_fixed_size: 0
    .sgpr_count:     40
    .sgpr_spill_count: 0
    .symbol:         _ZL39rocblas_trsm_block_forward_substitutionIffPKfPfLb1ELb1ELb0EEv18rocblas_operation_llT0_T1_lllT2_lllib.kd
    .uniform_work_group_size: 1
    .uses_dynamic_stack: false
    .vgpr_count:     20
    .vgpr_spill_count: 0
    .wavefront_size: 32
  - .args:
      - .offset:         0
        .size:           4
        .value_kind:     by_value
      - .offset:         8
        .size:           8
        .value_kind:     by_value
      - .offset:         16
        .size:           8
        .value_kind:     by_value
      - .offset:         24
        .size:           4
        .value_kind:     by_value
      - .address_space:  global
        .offset:         32
        .size:           8
        .value_kind:     global_buffer
      - .offset:         40
        .size:           8
        .value_kind:     by_value
      - .offset:         48
        .size:           8
        .value_kind:     by_value
      - .offset:         56
        .size:           8
        .value_kind:     by_value
      - .address_space:  global
        .offset:         64
        .size:           8
        .value_kind:     global_buffer
      - .offset:         72
        .size:           8
        .value_kind:     by_value
      - .offset:         80
        .size:           8
        .value_kind:     by_value
      - .offset:         88
        .size:           8
        .value_kind:     by_value
      - .offset:         96
        .size:           4
        .value_kind:     by_value
      - .offset:         100
        .size:           1
        .value_kind:     by_value
      - .offset:         104
        .size:           4
        .value_kind:     hidden_block_count_x
      - .offset:         108
        .size:           4
        .value_kind:     hidden_block_count_y
      - .offset:         112
        .size:           4
        .value_kind:     hidden_block_count_z
      - .offset:         116
        .size:           2
        .value_kind:     hidden_group_size_x
      - .offset:         118
        .size:           2
        .value_kind:     hidden_group_size_y
      - .offset:         120
        .size:           2
        .value_kind:     hidden_group_size_z
      - .offset:         122
        .size:           2
        .value_kind:     hidden_remainder_x
      - .offset:         124
        .size:           2
        .value_kind:     hidden_remainder_y
      - .offset:         126
        .size:           2
        .value_kind:     hidden_remainder_z
      - .offset:         144
        .size:           8
        .value_kind:     hidden_global_offset_x
      - .offset:         152
        .size:           8
        .value_kind:     hidden_global_offset_y
      - .offset:         160
        .size:           8
        .value_kind:     hidden_global_offset_z
      - .offset:         168
        .size:           2
        .value_kind:     hidden_grid_dims
      - .offset:         224
        .size:           4
        .value_kind:     hidden_dynamic_lds_size
    .group_segment_fixed_size: 0
    .kernarg_segment_align: 8
    .kernarg_segment_size: 360
    .language:       OpenCL C
    .language_version:
      - 2
      - 0
    .max_flat_workgroup_size: 1024
    .name:           _ZL40rocblas_trsm_block_backward_substitutionIffPKfPfLb1ELb1ELb0EEv18rocblas_operation_llT0_T1_lllT2_lllib
    .private_segment_fixed_size: 0
    .sgpr_count:     46
    .sgpr_spill_count: 0
    .symbol:         _ZL40rocblas_trsm_block_backward_substitutionIffPKfPfLb1ELb1ELb0EEv18rocblas_operation_llT0_T1_lllT2_lllib.kd
    .uniform_work_group_size: 1
    .uses_dynamic_stack: false
    .vgpr_count:     26
    .vgpr_spill_count: 0
    .wavefront_size: 32
  - .args:
      - .offset:         0
        .size:           4
        .value_kind:     by_value
      - .offset:         8
        .size:           8
        .value_kind:     by_value
      - .offset:         16
        .size:           8
        .value_kind:     by_value
      - .offset:         24
        .size:           4
        .value_kind:     by_value
      - .address_space:  global
        .offset:         32
        .size:           8
        .value_kind:     global_buffer
      - .offset:         40
        .size:           8
        .value_kind:     by_value
      - .offset:         48
        .size:           8
        .value_kind:     by_value
      - .offset:         56
        .size:           8
        .value_kind:     by_value
      - .address_space:  global
        .offset:         64
        .size:           8
        .value_kind:     global_buffer
      - .offset:         72
        .size:           8
        .value_kind:     by_value
      - .offset:         80
        .size:           8
        .value_kind:     by_value
      - .offset:         88
        .size:           8
        .value_kind:     by_value
      - .offset:         96
        .size:           4
        .value_kind:     by_value
      - .offset:         100
        .size:           1
        .value_kind:     by_value
      - .offset:         104
        .size:           4
        .value_kind:     hidden_block_count_x
      - .offset:         108
        .size:           4
        .value_kind:     hidden_block_count_y
      - .offset:         112
        .size:           4
        .value_kind:     hidden_block_count_z
      - .offset:         116
        .size:           2
        .value_kind:     hidden_group_size_x
      - .offset:         118
        .size:           2
        .value_kind:     hidden_group_size_y
      - .offset:         120
        .size:           2
        .value_kind:     hidden_group_size_z
      - .offset:         122
        .size:           2
        .value_kind:     hidden_remainder_x
      - .offset:         124
        .size:           2
        .value_kind:     hidden_remainder_y
      - .offset:         126
        .size:           2
        .value_kind:     hidden_remainder_z
      - .offset:         144
        .size:           8
        .value_kind:     hidden_global_offset_x
      - .offset:         152
        .size:           8
        .value_kind:     hidden_global_offset_y
      - .offset:         160
        .size:           8
        .value_kind:     hidden_global_offset_z
      - .offset:         168
        .size:           2
        .value_kind:     hidden_grid_dims
      - .offset:         224
        .size:           4
        .value_kind:     hidden_dynamic_lds_size
    .group_segment_fixed_size: 0
    .kernarg_segment_align: 8
    .kernarg_segment_size: 360
    .language:       OpenCL C
    .language_version:
      - 2
      - 0
    .max_flat_workgroup_size: 1024
    .name:           _ZL39rocblas_trsm_block_forward_substitutionIffPKfPfLb1ELb1ELb1EEv18rocblas_operation_llT0_T1_lllT2_lllib
    .private_segment_fixed_size: 0
    .sgpr_count:     38
    .sgpr_spill_count: 0
    .symbol:         _ZL39rocblas_trsm_block_forward_substitutionIffPKfPfLb1ELb1ELb1EEv18rocblas_operation_llT0_T1_lllT2_lllib.kd
    .uniform_work_group_size: 1
    .uses_dynamic_stack: false
    .vgpr_count:     14
    .vgpr_spill_count: 0
    .wavefront_size: 32
  - .args:
      - .offset:         0
        .size:           4
        .value_kind:     by_value
      - .offset:         8
        .size:           8
        .value_kind:     by_value
      - .offset:         16
        .size:           8
        .value_kind:     by_value
      - .offset:         24
        .size:           4
        .value_kind:     by_value
      - .address_space:  global
        .offset:         32
        .size:           8
        .value_kind:     global_buffer
      - .offset:         40
        .size:           8
        .value_kind:     by_value
      - .offset:         48
        .size:           8
        .value_kind:     by_value
      - .offset:         56
        .size:           8
        .value_kind:     by_value
      - .address_space:  global
        .offset:         64
        .size:           8
        .value_kind:     global_buffer
      - .offset:         72
        .size:           8
        .value_kind:     by_value
      - .offset:         80
        .size:           8
        .value_kind:     by_value
      - .offset:         88
        .size:           8
        .value_kind:     by_value
      - .offset:         96
        .size:           4
        .value_kind:     by_value
      - .offset:         100
        .size:           1
        .value_kind:     by_value
      - .offset:         104
        .size:           4
        .value_kind:     hidden_block_count_x
      - .offset:         108
        .size:           4
        .value_kind:     hidden_block_count_y
      - .offset:         112
        .size:           4
        .value_kind:     hidden_block_count_z
      - .offset:         116
        .size:           2
        .value_kind:     hidden_group_size_x
      - .offset:         118
        .size:           2
        .value_kind:     hidden_group_size_y
      - .offset:         120
        .size:           2
        .value_kind:     hidden_group_size_z
      - .offset:         122
        .size:           2
        .value_kind:     hidden_remainder_x
      - .offset:         124
        .size:           2
        .value_kind:     hidden_remainder_y
      - .offset:         126
        .size:           2
        .value_kind:     hidden_remainder_z
      - .offset:         144
        .size:           8
        .value_kind:     hidden_global_offset_x
      - .offset:         152
        .size:           8
        .value_kind:     hidden_global_offset_y
      - .offset:         160
        .size:           8
        .value_kind:     hidden_global_offset_z
      - .offset:         168
        .size:           2
        .value_kind:     hidden_grid_dims
      - .offset:         224
        .size:           4
        .value_kind:     hidden_dynamic_lds_size
    .group_segment_fixed_size: 0
    .kernarg_segment_align: 8
    .kernarg_segment_size: 360
    .language:       OpenCL C
    .language_version:
      - 2
      - 0
    .max_flat_workgroup_size: 1024
    .name:           _ZL40rocblas_trsm_block_backward_substitutionIffPKfPfLb1ELb1ELb1EEv18rocblas_operation_llT0_T1_lllT2_lllib
    .private_segment_fixed_size: 0
    .sgpr_count:     40
    .sgpr_spill_count: 0
    .symbol:         _ZL40rocblas_trsm_block_backward_substitutionIffPKfPfLb1ELb1ELb1EEv18rocblas_operation_llT0_T1_lllT2_lllib.kd
    .uniform_work_group_size: 1
    .uses_dynamic_stack: false
    .vgpr_count:     18
    .vgpr_spill_count: 0
    .wavefront_size: 32
  - .args:
      - .offset:         0
        .size:           4
        .value_kind:     by_value
      - .offset:         8
        .size:           8
        .value_kind:     by_value
      - .offset:         16
        .size:           8
        .value_kind:     by_value
      - .offset:         24
        .size:           4
        .value_kind:     by_value
      - .address_space:  global
        .offset:         32
        .size:           8
        .value_kind:     global_buffer
      - .offset:         40
        .size:           8
        .value_kind:     by_value
      - .offset:         48
        .size:           8
        .value_kind:     by_value
      - .offset:         56
        .size:           8
        .value_kind:     by_value
      - .address_space:  global
        .offset:         64
        .size:           8
        .value_kind:     global_buffer
      - .offset:         72
        .size:           8
        .value_kind:     by_value
      - .offset:         80
        .size:           8
        .value_kind:     by_value
      - .offset:         88
        .size:           8
        .value_kind:     by_value
      - .offset:         96
        .size:           4
        .value_kind:     by_value
      - .offset:         100
        .size:           1
        .value_kind:     by_value
      - .offset:         104
        .size:           4
        .value_kind:     hidden_block_count_x
      - .offset:         108
        .size:           4
        .value_kind:     hidden_block_count_y
      - .offset:         112
        .size:           4
        .value_kind:     hidden_block_count_z
      - .offset:         116
        .size:           2
        .value_kind:     hidden_group_size_x
      - .offset:         118
        .size:           2
        .value_kind:     hidden_group_size_y
      - .offset:         120
        .size:           2
        .value_kind:     hidden_group_size_z
      - .offset:         122
        .size:           2
        .value_kind:     hidden_remainder_x
      - .offset:         124
        .size:           2
        .value_kind:     hidden_remainder_y
      - .offset:         126
        .size:           2
        .value_kind:     hidden_remainder_z
      - .offset:         144
        .size:           8
        .value_kind:     hidden_global_offset_x
      - .offset:         152
        .size:           8
        .value_kind:     hidden_global_offset_y
      - .offset:         160
        .size:           8
        .value_kind:     hidden_global_offset_z
      - .offset:         168
        .size:           2
        .value_kind:     hidden_grid_dims
      - .offset:         224
        .size:           4
        .value_kind:     hidden_dynamic_lds_size
    .group_segment_fixed_size: 0
    .kernarg_segment_align: 8
    .kernarg_segment_size: 360
    .language:       OpenCL C
    .language_version:
      - 2
      - 0
    .max_flat_workgroup_size: 1024
    .name:           _ZL39rocblas_trsm_block_forward_substitutionIffPKfPfLb1ELb0ELb0EEv18rocblas_operation_llT0_T1_lllT2_lllib
    .private_segment_fixed_size: 0
    .sgpr_count:     40
    .sgpr_spill_count: 0
    .symbol:         _ZL39rocblas_trsm_block_forward_substitutionIffPKfPfLb1ELb0ELb0EEv18rocblas_operation_llT0_T1_lllT2_lllib.kd
    .uniform_work_group_size: 1
    .uses_dynamic_stack: false
    .vgpr_count:     20
    .vgpr_spill_count: 0
    .wavefront_size: 32
  - .args:
      - .offset:         0
        .size:           4
        .value_kind:     by_value
      - .offset:         8
        .size:           8
        .value_kind:     by_value
      - .offset:         16
        .size:           8
        .value_kind:     by_value
      - .offset:         24
        .size:           4
        .value_kind:     by_value
      - .address_space:  global
        .offset:         32
        .size:           8
        .value_kind:     global_buffer
      - .offset:         40
        .size:           8
        .value_kind:     by_value
      - .offset:         48
        .size:           8
        .value_kind:     by_value
      - .offset:         56
        .size:           8
        .value_kind:     by_value
      - .address_space:  global
        .offset:         64
        .size:           8
        .value_kind:     global_buffer
      - .offset:         72
        .size:           8
        .value_kind:     by_value
      - .offset:         80
        .size:           8
        .value_kind:     by_value
      - .offset:         88
        .size:           8
        .value_kind:     by_value
      - .offset:         96
        .size:           4
        .value_kind:     by_value
      - .offset:         100
        .size:           1
        .value_kind:     by_value
      - .offset:         104
        .size:           4
        .value_kind:     hidden_block_count_x
      - .offset:         108
        .size:           4
        .value_kind:     hidden_block_count_y
      - .offset:         112
        .size:           4
        .value_kind:     hidden_block_count_z
      - .offset:         116
        .size:           2
        .value_kind:     hidden_group_size_x
      - .offset:         118
        .size:           2
        .value_kind:     hidden_group_size_y
      - .offset:         120
        .size:           2
        .value_kind:     hidden_group_size_z
      - .offset:         122
        .size:           2
        .value_kind:     hidden_remainder_x
      - .offset:         124
        .size:           2
        .value_kind:     hidden_remainder_y
      - .offset:         126
        .size:           2
        .value_kind:     hidden_remainder_z
      - .offset:         144
        .size:           8
        .value_kind:     hidden_global_offset_x
      - .offset:         152
        .size:           8
        .value_kind:     hidden_global_offset_y
      - .offset:         160
        .size:           8
        .value_kind:     hidden_global_offset_z
      - .offset:         168
        .size:           2
        .value_kind:     hidden_grid_dims
      - .offset:         224
        .size:           4
        .value_kind:     hidden_dynamic_lds_size
    .group_segment_fixed_size: 0
    .kernarg_segment_align: 8
    .kernarg_segment_size: 360
    .language:       OpenCL C
    .language_version:
      - 2
      - 0
    .max_flat_workgroup_size: 1024
    .name:           _ZL40rocblas_trsm_block_backward_substitutionIffPKfPfLb1ELb0ELb0EEv18rocblas_operation_llT0_T1_lllT2_lllib
    .private_segment_fixed_size: 0
    .sgpr_count:     46
    .sgpr_spill_count: 0
    .symbol:         _ZL40rocblas_trsm_block_backward_substitutionIffPKfPfLb1ELb0ELb0EEv18rocblas_operation_llT0_T1_lllT2_lllib.kd
    .uniform_work_group_size: 1
    .uses_dynamic_stack: false
    .vgpr_count:     26
    .vgpr_spill_count: 0
    .wavefront_size: 32
  - .args:
      - .offset:         0
        .size:           4
        .value_kind:     by_value
      - .offset:         8
        .size:           8
        .value_kind:     by_value
      - .offset:         16
        .size:           8
        .value_kind:     by_value
      - .offset:         24
        .size:           4
        .value_kind:     by_value
      - .address_space:  global
        .offset:         32
        .size:           8
        .value_kind:     global_buffer
      - .offset:         40
        .size:           8
        .value_kind:     by_value
      - .offset:         48
        .size:           8
        .value_kind:     by_value
      - .offset:         56
        .size:           8
        .value_kind:     by_value
      - .address_space:  global
        .offset:         64
        .size:           8
        .value_kind:     global_buffer
      - .offset:         72
        .size:           8
        .value_kind:     by_value
      - .offset:         80
        .size:           8
        .value_kind:     by_value
      - .offset:         88
        .size:           8
        .value_kind:     by_value
      - .offset:         96
        .size:           4
        .value_kind:     by_value
      - .offset:         100
        .size:           1
        .value_kind:     by_value
      - .offset:         104
        .size:           4
        .value_kind:     hidden_block_count_x
      - .offset:         108
        .size:           4
        .value_kind:     hidden_block_count_y
      - .offset:         112
        .size:           4
        .value_kind:     hidden_block_count_z
      - .offset:         116
        .size:           2
        .value_kind:     hidden_group_size_x
      - .offset:         118
        .size:           2
        .value_kind:     hidden_group_size_y
      - .offset:         120
        .size:           2
        .value_kind:     hidden_group_size_z
      - .offset:         122
        .size:           2
        .value_kind:     hidden_remainder_x
      - .offset:         124
        .size:           2
        .value_kind:     hidden_remainder_y
      - .offset:         126
        .size:           2
        .value_kind:     hidden_remainder_z
      - .offset:         144
        .size:           8
        .value_kind:     hidden_global_offset_x
      - .offset:         152
        .size:           8
        .value_kind:     hidden_global_offset_y
      - .offset:         160
        .size:           8
        .value_kind:     hidden_global_offset_z
      - .offset:         168
        .size:           2
        .value_kind:     hidden_grid_dims
      - .offset:         224
        .size:           4
        .value_kind:     hidden_dynamic_lds_size
    .group_segment_fixed_size: 0
    .kernarg_segment_align: 8
    .kernarg_segment_size: 360
    .language:       OpenCL C
    .language_version:
      - 2
      - 0
    .max_flat_workgroup_size: 1024
    .name:           _ZL39rocblas_trsm_block_forward_substitutionIffPKfPfLb1ELb0ELb1EEv18rocblas_operation_llT0_T1_lllT2_lllib
    .private_segment_fixed_size: 0
    .sgpr_count:     38
    .sgpr_spill_count: 0
    .symbol:         _ZL39rocblas_trsm_block_forward_substitutionIffPKfPfLb1ELb0ELb1EEv18rocblas_operation_llT0_T1_lllT2_lllib.kd
    .uniform_work_group_size: 1
    .uses_dynamic_stack: false
    .vgpr_count:     14
    .vgpr_spill_count: 0
    .wavefront_size: 32
  - .args:
      - .offset:         0
        .size:           4
        .value_kind:     by_value
      - .offset:         8
        .size:           8
        .value_kind:     by_value
      - .offset:         16
        .size:           8
        .value_kind:     by_value
      - .offset:         24
        .size:           4
        .value_kind:     by_value
      - .address_space:  global
        .offset:         32
        .size:           8
        .value_kind:     global_buffer
      - .offset:         40
        .size:           8
        .value_kind:     by_value
      - .offset:         48
        .size:           8
        .value_kind:     by_value
      - .offset:         56
        .size:           8
        .value_kind:     by_value
      - .address_space:  global
        .offset:         64
        .size:           8
        .value_kind:     global_buffer
      - .offset:         72
        .size:           8
        .value_kind:     by_value
      - .offset:         80
        .size:           8
        .value_kind:     by_value
      - .offset:         88
        .size:           8
        .value_kind:     by_value
      - .offset:         96
        .size:           4
        .value_kind:     by_value
      - .offset:         100
        .size:           1
        .value_kind:     by_value
      - .offset:         104
        .size:           4
        .value_kind:     hidden_block_count_x
      - .offset:         108
        .size:           4
        .value_kind:     hidden_block_count_y
      - .offset:         112
        .size:           4
        .value_kind:     hidden_block_count_z
      - .offset:         116
        .size:           2
        .value_kind:     hidden_group_size_x
      - .offset:         118
        .size:           2
        .value_kind:     hidden_group_size_y
      - .offset:         120
        .size:           2
        .value_kind:     hidden_group_size_z
      - .offset:         122
        .size:           2
        .value_kind:     hidden_remainder_x
      - .offset:         124
        .size:           2
        .value_kind:     hidden_remainder_y
      - .offset:         126
        .size:           2
        .value_kind:     hidden_remainder_z
      - .offset:         144
        .size:           8
        .value_kind:     hidden_global_offset_x
      - .offset:         152
        .size:           8
        .value_kind:     hidden_global_offset_y
      - .offset:         160
        .size:           8
        .value_kind:     hidden_global_offset_z
      - .offset:         168
        .size:           2
        .value_kind:     hidden_grid_dims
      - .offset:         224
        .size:           4
        .value_kind:     hidden_dynamic_lds_size
    .group_segment_fixed_size: 0
    .kernarg_segment_align: 8
    .kernarg_segment_size: 360
    .language:       OpenCL C
    .language_version:
      - 2
      - 0
    .max_flat_workgroup_size: 1024
    .name:           _ZL40rocblas_trsm_block_backward_substitutionIffPKfPfLb1ELb0ELb1EEv18rocblas_operation_llT0_T1_lllT2_lllib
    .private_segment_fixed_size: 0
    .sgpr_count:     38
    .sgpr_spill_count: 0
    .symbol:         _ZL40rocblas_trsm_block_backward_substitutionIffPKfPfLb1ELb0ELb1EEv18rocblas_operation_llT0_T1_lllT2_lllib.kd
    .uniform_work_group_size: 1
    .uses_dynamic_stack: false
    .vgpr_count:     18
    .vgpr_spill_count: 0
    .wavefront_size: 32
  - .args:
      - .address_space:  global
        .offset:         0
        .size:           8
        .value_kind:     global_buffer
      - .offset:         8
        .size:           8
        .value_kind:     by_value
      - .address_space:  global
        .offset:         16
        .size:           8
        .value_kind:     global_buffer
    .group_segment_fixed_size: 0
    .kernarg_segment_align: 8
    .kernarg_segment_size: 24
    .language:       OpenCL C
    .language_version:
      - 2
      - 0
    .max_flat_workgroup_size: 128
    .name:           _ZL26setup_batched_array_kernelILi128EfEvPT0_lPS1_
    .private_segment_fixed_size: 0
    .sgpr_count:     9
    .sgpr_spill_count: 0
    .symbol:         _ZL26setup_batched_array_kernelILi128EfEvPT0_lPS1_.kd
    .uniform_work_group_size: 1
    .uses_dynamic_stack: false
    .vgpr_count:     3
    .vgpr_spill_count: 0
    .wavefront_size: 32
  - .args:
      - .offset:         0
        .size:           4
        .value_kind:     by_value
      - .offset:         4
        .size:           4
        .value_kind:     by_value
      - .address_space:  global
        .offset:         8
        .size:           8
        .value_kind:     global_buffer
      - .offset:         16
        .size:           8
        .value_kind:     by_value
      - .offset:         24
        .size:           4
        .value_kind:     by_value
      - .offset:         32
        .size:           8
        .value_kind:     by_value
      - .address_space:  global
        .offset:         40
        .size:           8
        .value_kind:     global_buffer
      - .offset:         48
        .size:           8
        .value_kind:     by_value
      - .offset:         56
        .size:           8
        .value_kind:     by_value
      - .offset:         64
        .size:           4
        .value_kind:     by_value
    .group_segment_fixed_size: 4096
    .kernarg_segment_align: 8
    .kernarg_segment_size: 68
    .language:       OpenCL C
    .language_version:
      - 2
      - 0
    .max_flat_workgroup_size: 256
    .name:           _ZL25rocblas_trtri_trsm_kernelILi128ELi16ELi8EfPKfPfEv13rocblas_fill_17rocblas_diagonal_T3_lilT4_lli
    .private_segment_fixed_size: 0
    .sgpr_count:     106
    .sgpr_spill_count: 0
    .symbol:         _ZL25rocblas_trtri_trsm_kernelILi128ELi16ELi8EfPKfPfEv13rocblas_fill_17rocblas_diagonal_T3_lilT4_lli.kd
    .uniform_work_group_size: 1
    .uses_dynamic_stack: false
    .vgpr_count:     63
    .vgpr_spill_count: 0
    .wavefront_size: 32
  - .args:
      - .address_space:  global
        .offset:         0
        .size:           8
        .value_kind:     global_buffer
      - .offset:         8
        .size:           4
        .value_kind:     by_value
      - .offset:         12
        .size:           4
        .value_kind:     by_value
      - .offset:         16
        .size:           8
        .value_kind:     by_value
      - .offset:         24
        .size:           4
        .value_kind:     by_value
      - .offset:         32
        .size:           8
        .value_kind:     by_value
      - .address_space:  global
        .offset:         40
        .size:           8
        .value_kind:     global_buffer
      - .offset:         48
        .size:           8
        .value_kind:     by_value
      - .offset:         56
        .size:           8
        .value_kind:     by_value
      - .offset:         64
        .size:           4
        .value_kind:     by_value
      - .offset:         68
        .size:           4
        .value_kind:     by_value
      - .offset:         72
        .size:           4
        .value_kind:     hidden_block_count_x
      - .offset:         76
        .size:           4
        .value_kind:     hidden_block_count_y
      - .offset:         80
        .size:           4
        .value_kind:     hidden_block_count_z
      - .offset:         84
        .size:           2
        .value_kind:     hidden_group_size_x
      - .offset:         86
        .size:           2
        .value_kind:     hidden_group_size_y
      - .offset:         88
        .size:           2
        .value_kind:     hidden_group_size_z
      - .offset:         90
        .size:           2
        .value_kind:     hidden_remainder_x
      - .offset:         92
        .size:           2
        .value_kind:     hidden_remainder_y
      - .offset:         94
        .size:           2
        .value_kind:     hidden_remainder_z
      - .offset:         112
        .size:           8
        .value_kind:     hidden_global_offset_x
      - .offset:         120
        .size:           8
        .value_kind:     hidden_global_offset_y
      - .offset:         128
        .size:           8
        .value_kind:     hidden_global_offset_z
      - .offset:         136
        .size:           2
        .value_kind:     hidden_grid_dims
    .group_segment_fixed_size: 0
    .kernarg_segment_align: 8
    .kernarg_segment_size: 328
    .language:       OpenCL C
    .language_version:
      - 2
      - 0
    .max_flat_workgroup_size: 128
    .name:           _ZL18rocblas_trtri_fillILi128EfPfEvP15_rocblas_handle13rocblas_fill_ililT1_llii
    .private_segment_fixed_size: 0
    .sgpr_count:     51
    .sgpr_spill_count: 0
    .symbol:         _ZL18rocblas_trtri_fillILi128EfPfEvP15_rocblas_handle13rocblas_fill_ililT1_llii.kd
    .uniform_work_group_size: 1
    .uses_dynamic_stack: false
    .vgpr_count:     24
    .vgpr_spill_count: 0
    .wavefront_size: 32
  - .args:
      - .offset:         0
        .size:           4
        .value_kind:     by_value
      - .offset:         4
        .size:           4
        .value_kind:     by_value
      - .offset:         8
        .size:           4
        .value_kind:     by_value
      - .address_space:  global
        .offset:         16
        .size:           8
        .value_kind:     global_buffer
      - .offset:         24
        .size:           4
        .value_kind:     by_value
      - .offset:         32
        .size:           8
        .value_kind:     by_value
      - .address_space:  global
        .offset:         40
        .size:           8
        .value_kind:     global_buffer
      - .offset:         48
        .size:           4
        .value_kind:     by_value
      - .offset:         56
        .size:           8
        .value_kind:     by_value
      - .offset:         64
        .size:           8
        .value_kind:     by_value
      - .offset:         72
        .size:           8
        .value_kind:     by_value
      - .offset:         80
        .size:           4
        .value_kind:     by_value
      - .offset:         88
        .size:           4
        .value_kind:     hidden_block_count_x
      - .offset:         92
        .size:           4
        .value_kind:     hidden_block_count_y
      - .offset:         96
        .size:           4
        .value_kind:     hidden_block_count_z
      - .offset:         100
        .size:           2
        .value_kind:     hidden_group_size_x
      - .offset:         102
        .size:           2
        .value_kind:     hidden_group_size_y
      - .offset:         104
        .size:           2
        .value_kind:     hidden_group_size_z
      - .offset:         106
        .size:           2
        .value_kind:     hidden_remainder_x
      - .offset:         108
        .size:           2
        .value_kind:     hidden_remainder_y
      - .offset:         110
        .size:           2
        .value_kind:     hidden_remainder_z
      - .offset:         128
        .size:           8
        .value_kind:     hidden_global_offset_x
      - .offset:         136
        .size:           8
        .value_kind:     hidden_global_offset_y
      - .offset:         144
        .size:           8
        .value_kind:     hidden_global_offset_z
      - .offset:         152
        .size:           2
        .value_kind:     hidden_grid_dims
    .group_segment_fixed_size: 0
    .kernarg_segment_align: 8
    .kernarg_segment_size: 344
    .language:       OpenCL C
    .language_version:
      - 2
      - 0
    .max_flat_workgroup_size: 1024
    .name:           _ZL24rocblas_copy_matrix_trsmILi128ELi8EfPKfPfEviiiT2_ilT3_illli
    .private_segment_fixed_size: 0
    .sgpr_count:     28
    .sgpr_spill_count: 0
    .symbol:         _ZL24rocblas_copy_matrix_trsmILi128ELi8EfPKfPfEviiiT2_ilT3_illli.kd
    .uniform_work_group_size: 1
    .uses_dynamic_stack: false
    .vgpr_count:     13
    .vgpr_spill_count: 0
    .wavefront_size: 32
  - .args:
      - .offset:         0
        .size:           8
        .value_kind:     by_value
      - .offset:         8
        .size:           8
        .value_kind:     by_value
      - .offset:         16
        .size:           4
        .value_kind:     by_value
      - .address_space:  global
        .offset:         24
        .size:           8
        .value_kind:     global_buffer
      - .offset:         32
        .size:           8
        .value_kind:     by_value
      - .offset:         40
        .size:           8
        .value_kind:     by_value
      - .offset:         48
        .size:           8
        .value_kind:     by_value
      - .offset:         56
        .size:           8
        .value_kind:     by_value
      - .offset:         64
        .size:           4
        .value_kind:     by_value
    .group_segment_fixed_size: 0
    .kernarg_segment_align: 8
    .kernarg_segment_size: 68
    .language:       OpenCL C
    .language_version:
      - 2
      - 0
    .max_flat_workgroup_size: 1024
    .name:           _ZL23rocblas_set_matrix_trsmILi128ELi8EdPdEvlliT2_llT1_li
    .private_segment_fixed_size: 0
    .sgpr_count:     20
    .sgpr_spill_count: 0
    .symbol:         _ZL23rocblas_set_matrix_trsmILi128ELi8EdPdEvlliT2_llT1_li.kd
    .uniform_work_group_size: 1
    .uses_dynamic_stack: false
    .vgpr_count:     8
    .vgpr_spill_count: 0
    .wavefront_size: 32
  - .args:
      - .offset:         0
        .size:           4
        .value_kind:     by_value
      - .offset:         4
        .size:           4
        .value_kind:     by_value
      - .offset:         8
        .size:           4
        .value_kind:     by_value
      - .offset:         12
        .size:           4
        .value_kind:     by_value
      - .offset:         16
        .size:           4
        .value_kind:     by_value
      - .offset:         24
        .size:           8
        .value_kind:     by_value
      - .address_space:  global
        .offset:         32
        .size:           8
        .value_kind:     global_buffer
      - .offset:         40
        .size:           8
        .value_kind:     by_value
      - .offset:         48
        .size:           4
        .value_kind:     by_value
      - .offset:         56
        .size:           8
        .value_kind:     by_value
      - .address_space:  global
        .offset:         64
        .size:           8
        .value_kind:     global_buffer
      - .offset:         72
        .size:           8
        .value_kind:     by_value
      - .offset:         80
        .size:           4
        .value_kind:     by_value
      - .offset:         88
        .size:           8
        .value_kind:     by_value
      - .offset:         96
        .size:           4
        .value_kind:     by_value
      - .offset:         104
        .size:           4
        .value_kind:     hidden_block_count_x
      - .offset:         108
        .size:           4
        .value_kind:     hidden_block_count_y
      - .offset:         112
        .size:           4
        .value_kind:     hidden_block_count_z
      - .offset:         116
        .size:           2
        .value_kind:     hidden_group_size_x
      - .offset:         118
        .size:           2
        .value_kind:     hidden_group_size_y
      - .offset:         120
        .size:           2
        .value_kind:     hidden_group_size_z
      - .offset:         122
        .size:           2
        .value_kind:     hidden_remainder_x
      - .offset:         124
        .size:           2
        .value_kind:     hidden_remainder_y
      - .offset:         126
        .size:           2
        .value_kind:     hidden_remainder_z
      - .offset:         144
        .size:           8
        .value_kind:     hidden_global_offset_x
      - .offset:         152
        .size:           8
        .value_kind:     hidden_global_offset_y
      - .offset:         160
        .size:           8
        .value_kind:     hidden_global_offset_z
      - .offset:         168
        .size:           2
        .value_kind:     hidden_grid_dims
    .group_segment_fixed_size: 256
    .kernarg_segment_align: 8
    .kernarg_segment_size: 360
    .language:       OpenCL C
    .language_version:
      - 2
      - 0
    .max_flat_workgroup_size: 4
    .name:           _ZL38rocblas_trsm_small_left_device_sharedBILi4ELi4ELb0EddPKdPdEv13rocblas_fill_18rocblas_operation_17rocblas_diagonal_iiT3_T4_lilT5_lili
    .private_segment_fixed_size: 0
    .sgpr_count:     43
    .sgpr_spill_count: 0
    .symbol:         _ZL38rocblas_trsm_small_left_device_sharedBILi4ELi4ELb0EddPKdPdEv13rocblas_fill_18rocblas_operation_17rocblas_diagonal_iiT3_T4_lilT5_lili.kd
    .uniform_work_group_size: 1
    .uses_dynamic_stack: false
    .vgpr_count:     33
    .vgpr_spill_count: 0
    .wavefront_size: 32
  - .args:
      - .offset:         0
        .size:           4
        .value_kind:     by_value
      - .offset:         4
        .size:           4
        .value_kind:     by_value
      - .offset:         8
        .size:           4
        .value_kind:     by_value
      - .offset:         12
        .size:           4
        .value_kind:     by_value
      - .offset:         16
        .size:           4
        .value_kind:     by_value
      - .offset:         24
        .size:           8
        .value_kind:     by_value
      - .address_space:  global
        .offset:         32
        .size:           8
        .value_kind:     global_buffer
      - .offset:         40
        .size:           8
        .value_kind:     by_value
      - .offset:         48
        .size:           4
        .value_kind:     by_value
      - .offset:         56
        .size:           8
        .value_kind:     by_value
      - .address_space:  global
        .offset:         64
        .size:           8
        .value_kind:     global_buffer
      - .offset:         72
        .size:           8
        .value_kind:     by_value
      - .offset:         80
        .size:           4
        .value_kind:     by_value
      - .offset:         88
        .size:           8
        .value_kind:     by_value
      - .offset:         96
        .size:           4
        .value_kind:     by_value
      - .offset:         104
        .size:           4
        .value_kind:     hidden_block_count_x
      - .offset:         108
        .size:           4
        .value_kind:     hidden_block_count_y
      - .offset:         112
        .size:           4
        .value_kind:     hidden_block_count_z
      - .offset:         116
        .size:           2
        .value_kind:     hidden_group_size_x
      - .offset:         118
        .size:           2
        .value_kind:     hidden_group_size_y
      - .offset:         120
        .size:           2
        .value_kind:     hidden_group_size_z
      - .offset:         122
        .size:           2
        .value_kind:     hidden_remainder_x
      - .offset:         124
        .size:           2
        .value_kind:     hidden_remainder_y
      - .offset:         126
        .size:           2
        .value_kind:     hidden_remainder_z
      - .offset:         144
        .size:           8
        .value_kind:     hidden_global_offset_x
      - .offset:         152
        .size:           8
        .value_kind:     hidden_global_offset_y
      - .offset:         160
        .size:           8
        .value_kind:     hidden_global_offset_z
      - .offset:         168
        .size:           2
        .value_kind:     hidden_grid_dims
    .group_segment_fixed_size: 128
    .kernarg_segment_align: 8
    .kernarg_segment_size: 360
    .language:       OpenCL C
    .language_version:
      - 2
      - 0
    .max_flat_workgroup_size: 4
    .name:           _ZL30rocblas_trsm_small_left_deviceILi4ELi4ELb0EddPKdPdEv13rocblas_fill_18rocblas_operation_17rocblas_diagonal_iiT3_T4_lilT5_lili
    .private_segment_fixed_size: 0
    .sgpr_count:     51
    .sgpr_spill_count: 0
    .symbol:         _ZL30rocblas_trsm_small_left_deviceILi4ELi4ELb0EddPKdPdEv13rocblas_fill_18rocblas_operation_17rocblas_diagonal_iiT3_T4_lilT5_lili.kd
    .uniform_work_group_size: 1
    .uses_dynamic_stack: false
    .vgpr_count:     36
    .vgpr_spill_count: 0
    .wavefront_size: 32
  - .args:
      - .offset:         0
        .size:           4
        .value_kind:     by_value
      - .offset:         4
        .size:           4
        .value_kind:     by_value
      - .offset:         8
        .size:           4
        .value_kind:     by_value
      - .offset:         12
        .size:           4
        .value_kind:     by_value
      - .offset:         16
        .size:           4
        .value_kind:     by_value
      - .offset:         24
        .size:           8
        .value_kind:     by_value
      - .address_space:  global
        .offset:         32
        .size:           8
        .value_kind:     global_buffer
      - .offset:         40
        .size:           8
        .value_kind:     by_value
      - .offset:         48
        .size:           4
        .value_kind:     by_value
      - .offset:         56
        .size:           8
        .value_kind:     by_value
      - .address_space:  global
        .offset:         64
        .size:           8
        .value_kind:     global_buffer
      - .offset:         72
        .size:           8
        .value_kind:     by_value
      - .offset:         80
        .size:           4
        .value_kind:     by_value
      - .offset:         88
        .size:           8
        .value_kind:     by_value
      - .offset:         96
        .size:           4
        .value_kind:     by_value
      - .offset:         104
        .size:           4
        .value_kind:     hidden_block_count_x
      - .offset:         108
        .size:           4
        .value_kind:     hidden_block_count_y
      - .offset:         112
        .size:           4
        .value_kind:     hidden_block_count_z
      - .offset:         116
        .size:           2
        .value_kind:     hidden_group_size_x
      - .offset:         118
        .size:           2
        .value_kind:     hidden_group_size_y
      - .offset:         120
        .size:           2
        .value_kind:     hidden_group_size_z
      - .offset:         122
        .size:           2
        .value_kind:     hidden_remainder_x
      - .offset:         124
        .size:           2
        .value_kind:     hidden_remainder_y
      - .offset:         126
        .size:           2
        .value_kind:     hidden_remainder_z
      - .offset:         144
        .size:           8
        .value_kind:     hidden_global_offset_x
      - .offset:         152
        .size:           8
        .value_kind:     hidden_global_offset_y
      - .offset:         160
        .size:           8
        .value_kind:     hidden_global_offset_z
      - .offset:         168
        .size:           2
        .value_kind:     hidden_grid_dims
    .group_segment_fixed_size: 256
    .kernarg_segment_align: 8
    .kernarg_segment_size: 360
    .language:       OpenCL C
    .language_version:
      - 2
      - 0
    .max_flat_workgroup_size: 4
    .name:           _ZL38rocblas_trsm_small_left_device_sharedBILi4ELi4ELb1EddPKdPdEv13rocblas_fill_18rocblas_operation_17rocblas_diagonal_iiT3_T4_lilT5_lili
    .private_segment_fixed_size: 0
    .sgpr_count:     43
    .sgpr_spill_count: 0
    .symbol:         _ZL38rocblas_trsm_small_left_device_sharedBILi4ELi4ELb1EddPKdPdEv13rocblas_fill_18rocblas_operation_17rocblas_diagonal_iiT3_T4_lilT5_lili.kd
    .uniform_work_group_size: 1
    .uses_dynamic_stack: false
    .vgpr_count:     33
    .vgpr_spill_count: 0
    .wavefront_size: 32
  - .args:
      - .offset:         0
        .size:           4
        .value_kind:     by_value
      - .offset:         4
        .size:           4
        .value_kind:     by_value
      - .offset:         8
        .size:           4
        .value_kind:     by_value
      - .offset:         12
        .size:           4
        .value_kind:     by_value
      - .offset:         16
        .size:           4
        .value_kind:     by_value
      - .offset:         24
        .size:           8
        .value_kind:     by_value
      - .address_space:  global
        .offset:         32
        .size:           8
        .value_kind:     global_buffer
      - .offset:         40
        .size:           8
        .value_kind:     by_value
      - .offset:         48
        .size:           4
        .value_kind:     by_value
      - .offset:         56
        .size:           8
        .value_kind:     by_value
      - .address_space:  global
        .offset:         64
        .size:           8
        .value_kind:     global_buffer
      - .offset:         72
        .size:           8
        .value_kind:     by_value
      - .offset:         80
        .size:           4
        .value_kind:     by_value
      - .offset:         88
        .size:           8
        .value_kind:     by_value
      - .offset:         96
        .size:           4
        .value_kind:     by_value
      - .offset:         104
        .size:           4
        .value_kind:     hidden_block_count_x
      - .offset:         108
        .size:           4
        .value_kind:     hidden_block_count_y
      - .offset:         112
        .size:           4
        .value_kind:     hidden_block_count_z
      - .offset:         116
        .size:           2
        .value_kind:     hidden_group_size_x
      - .offset:         118
        .size:           2
        .value_kind:     hidden_group_size_y
      - .offset:         120
        .size:           2
        .value_kind:     hidden_group_size_z
      - .offset:         122
        .size:           2
        .value_kind:     hidden_remainder_x
      - .offset:         124
        .size:           2
        .value_kind:     hidden_remainder_y
      - .offset:         126
        .size:           2
        .value_kind:     hidden_remainder_z
      - .offset:         144
        .size:           8
        .value_kind:     hidden_global_offset_x
      - .offset:         152
        .size:           8
        .value_kind:     hidden_global_offset_y
      - .offset:         160
        .size:           8
        .value_kind:     hidden_global_offset_z
      - .offset:         168
        .size:           2
        .value_kind:     hidden_grid_dims
    .group_segment_fixed_size: 128
    .kernarg_segment_align: 8
    .kernarg_segment_size: 360
    .language:       OpenCL C
    .language_version:
      - 2
      - 0
    .max_flat_workgroup_size: 4
    .name:           _ZL30rocblas_trsm_small_left_deviceILi4ELi4ELb1EddPKdPdEv13rocblas_fill_18rocblas_operation_17rocblas_diagonal_iiT3_T4_lilT5_lili
    .private_segment_fixed_size: 0
    .sgpr_count:     48
    .sgpr_spill_count: 0
    .symbol:         _ZL30rocblas_trsm_small_left_deviceILi4ELi4ELb1EddPKdPdEv13rocblas_fill_18rocblas_operation_17rocblas_diagonal_iiT3_T4_lilT5_lili.kd
    .uniform_work_group_size: 1
    .uses_dynamic_stack: false
    .vgpr_count:     34
    .vgpr_spill_count: 0
    .wavefront_size: 32
  - .args:
      - .offset:         0
        .size:           4
        .value_kind:     by_value
      - .offset:         4
        .size:           4
        .value_kind:     by_value
      - .offset:         8
        .size:           4
        .value_kind:     by_value
      - .offset:         12
        .size:           4
        .value_kind:     by_value
      - .offset:         16
        .size:           4
        .value_kind:     by_value
      - .offset:         24
        .size:           8
        .value_kind:     by_value
      - .address_space:  global
        .offset:         32
        .size:           8
        .value_kind:     global_buffer
      - .offset:         40
        .size:           8
        .value_kind:     by_value
      - .offset:         48
        .size:           4
        .value_kind:     by_value
      - .offset:         56
        .size:           8
        .value_kind:     by_value
      - .address_space:  global
        .offset:         64
        .size:           8
        .value_kind:     global_buffer
      - .offset:         72
        .size:           8
        .value_kind:     by_value
      - .offset:         80
        .size:           4
        .value_kind:     by_value
      - .offset:         88
        .size:           8
        .value_kind:     by_value
      - .offset:         96
        .size:           4
        .value_kind:     by_value
      - .offset:         104
        .size:           4
        .value_kind:     hidden_block_count_x
      - .offset:         108
        .size:           4
        .value_kind:     hidden_block_count_y
      - .offset:         112
        .size:           4
        .value_kind:     hidden_block_count_z
      - .offset:         116
        .size:           2
        .value_kind:     hidden_group_size_x
      - .offset:         118
        .size:           2
        .value_kind:     hidden_group_size_y
      - .offset:         120
        .size:           2
        .value_kind:     hidden_group_size_z
      - .offset:         122
        .size:           2
        .value_kind:     hidden_remainder_x
      - .offset:         124
        .size:           2
        .value_kind:     hidden_remainder_y
      - .offset:         126
        .size:           2
        .value_kind:     hidden_remainder_z
      - .offset:         144
        .size:           8
        .value_kind:     hidden_global_offset_x
      - .offset:         152
        .size:           8
        .value_kind:     hidden_global_offset_y
      - .offset:         160
        .size:           8
        .value_kind:     hidden_global_offset_z
      - .offset:         168
        .size:           2
        .value_kind:     hidden_grid_dims
    .group_segment_fixed_size: 256
    .kernarg_segment_align: 8
    .kernarg_segment_size: 360
    .language:       OpenCL C
    .language_version:
      - 2
      - 0
    .max_flat_workgroup_size: 4
    .name:           _ZL31rocblas_trsm_small_right_deviceIddPKdPdLi4EEv13rocblas_fill_18rocblas_operation_17rocblas_diagonal_iiT0_T1_lilT2_lili
    .private_segment_fixed_size: 0
    .sgpr_count:     53
    .sgpr_spill_count: 0
    .symbol:         _ZL31rocblas_trsm_small_right_deviceIddPKdPdLi4EEv13rocblas_fill_18rocblas_operation_17rocblas_diagonal_iiT0_T1_lilT2_lili.kd
    .uniform_work_group_size: 1
    .uses_dynamic_stack: false
    .vgpr_count:     44
    .vgpr_spill_count: 0
    .wavefront_size: 32
  - .args:
      - .offset:         0
        .size:           4
        .value_kind:     by_value
      - .offset:         4
        .size:           4
        .value_kind:     by_value
      - .offset:         8
        .size:           4
        .value_kind:     by_value
      - .offset:         12
        .size:           4
        .value_kind:     by_value
      - .offset:         16
        .size:           4
        .value_kind:     by_value
      - .offset:         24
        .size:           8
        .value_kind:     by_value
      - .address_space:  global
        .offset:         32
        .size:           8
        .value_kind:     global_buffer
      - .offset:         40
        .size:           8
        .value_kind:     by_value
      - .offset:         48
        .size:           4
        .value_kind:     by_value
      - .offset:         56
        .size:           8
        .value_kind:     by_value
      - .address_space:  global
        .offset:         64
        .size:           8
        .value_kind:     global_buffer
      - .offset:         72
        .size:           8
        .value_kind:     by_value
      - .offset:         80
        .size:           4
        .value_kind:     by_value
      - .offset:         88
        .size:           8
        .value_kind:     by_value
      - .offset:         96
        .size:           4
        .value_kind:     by_value
      - .offset:         104
        .size:           4
        .value_kind:     hidden_block_count_x
      - .offset:         108
        .size:           4
        .value_kind:     hidden_block_count_y
      - .offset:         112
        .size:           4
        .value_kind:     hidden_block_count_z
      - .offset:         116
        .size:           2
        .value_kind:     hidden_group_size_x
      - .offset:         118
        .size:           2
        .value_kind:     hidden_group_size_y
      - .offset:         120
        .size:           2
        .value_kind:     hidden_group_size_z
      - .offset:         122
        .size:           2
        .value_kind:     hidden_remainder_x
      - .offset:         124
        .size:           2
        .value_kind:     hidden_remainder_y
      - .offset:         126
        .size:           2
        .value_kind:     hidden_remainder_z
      - .offset:         144
        .size:           8
        .value_kind:     hidden_global_offset_x
      - .offset:         152
        .size:           8
        .value_kind:     hidden_global_offset_y
      - .offset:         160
        .size:           8
        .value_kind:     hidden_global_offset_z
      - .offset:         168
        .size:           2
        .value_kind:     hidden_grid_dims
    .group_segment_fixed_size: 1024
    .kernarg_segment_align: 8
    .kernarg_segment_size: 360
    .language:       OpenCL C
    .language_version:
      - 2
      - 0
    .max_flat_workgroup_size: 8
    .name:           _ZL38rocblas_trsm_small_left_device_sharedBILi8ELi8ELb0EddPKdPdEv13rocblas_fill_18rocblas_operation_17rocblas_diagonal_iiT3_T4_lilT5_lili
    .private_segment_fixed_size: 0
    .sgpr_count:     42
    .sgpr_spill_count: 0
    .symbol:         _ZL38rocblas_trsm_small_left_device_sharedBILi8ELi8ELb0EddPKdPdEv13rocblas_fill_18rocblas_operation_17rocblas_diagonal_iiT3_T4_lilT5_lili.kd
    .uniform_work_group_size: 1
    .uses_dynamic_stack: false
    .vgpr_count:     48
    .vgpr_spill_count: 0
    .wavefront_size: 32
  - .args:
      - .offset:         0
        .size:           4
        .value_kind:     by_value
      - .offset:         4
        .size:           4
        .value_kind:     by_value
      - .offset:         8
        .size:           4
        .value_kind:     by_value
      - .offset:         12
        .size:           4
        .value_kind:     by_value
      - .offset:         16
        .size:           4
        .value_kind:     by_value
      - .offset:         24
        .size:           8
        .value_kind:     by_value
      - .address_space:  global
        .offset:         32
        .size:           8
        .value_kind:     global_buffer
      - .offset:         40
        .size:           8
        .value_kind:     by_value
      - .offset:         48
        .size:           4
        .value_kind:     by_value
      - .offset:         56
        .size:           8
        .value_kind:     by_value
      - .address_space:  global
        .offset:         64
        .size:           8
        .value_kind:     global_buffer
      - .offset:         72
        .size:           8
        .value_kind:     by_value
      - .offset:         80
        .size:           4
        .value_kind:     by_value
      - .offset:         88
        .size:           8
        .value_kind:     by_value
      - .offset:         96
        .size:           4
        .value_kind:     by_value
      - .offset:         104
        .size:           4
        .value_kind:     hidden_block_count_x
      - .offset:         108
        .size:           4
        .value_kind:     hidden_block_count_y
      - .offset:         112
        .size:           4
        .value_kind:     hidden_block_count_z
      - .offset:         116
        .size:           2
        .value_kind:     hidden_group_size_x
      - .offset:         118
        .size:           2
        .value_kind:     hidden_group_size_y
      - .offset:         120
        .size:           2
        .value_kind:     hidden_group_size_z
      - .offset:         122
        .size:           2
        .value_kind:     hidden_remainder_x
      - .offset:         124
        .size:           2
        .value_kind:     hidden_remainder_y
      - .offset:         126
        .size:           2
        .value_kind:     hidden_remainder_z
      - .offset:         144
        .size:           8
        .value_kind:     hidden_global_offset_x
      - .offset:         152
        .size:           8
        .value_kind:     hidden_global_offset_y
      - .offset:         160
        .size:           8
        .value_kind:     hidden_global_offset_z
      - .offset:         168
        .size:           2
        .value_kind:     hidden_grid_dims
    .group_segment_fixed_size: 512
    .kernarg_segment_align: 8
    .kernarg_segment_size: 360
    .language:       OpenCL C
    .language_version:
      - 2
      - 0
    .max_flat_workgroup_size: 8
    .name:           _ZL30rocblas_trsm_small_left_deviceILi8ELi8ELb0EddPKdPdEv13rocblas_fill_18rocblas_operation_17rocblas_diagonal_iiT3_T4_lilT5_lili
    .private_segment_fixed_size: 0
    .sgpr_count:     49
    .sgpr_spill_count: 0
    .symbol:         _ZL30rocblas_trsm_small_left_deviceILi8ELi8ELb0EddPKdPdEv13rocblas_fill_18rocblas_operation_17rocblas_diagonal_iiT3_T4_lilT5_lili.kd
    .uniform_work_group_size: 1
    .uses_dynamic_stack: false
    .vgpr_count:     50
    .vgpr_spill_count: 0
    .wavefront_size: 32
  - .args:
      - .offset:         0
        .size:           4
        .value_kind:     by_value
      - .offset:         4
        .size:           4
        .value_kind:     by_value
      - .offset:         8
        .size:           4
        .value_kind:     by_value
      - .offset:         12
        .size:           4
        .value_kind:     by_value
      - .offset:         16
        .size:           4
        .value_kind:     by_value
      - .offset:         24
        .size:           8
        .value_kind:     by_value
      - .address_space:  global
        .offset:         32
        .size:           8
        .value_kind:     global_buffer
      - .offset:         40
        .size:           8
        .value_kind:     by_value
      - .offset:         48
        .size:           4
        .value_kind:     by_value
      - .offset:         56
        .size:           8
        .value_kind:     by_value
      - .address_space:  global
        .offset:         64
        .size:           8
        .value_kind:     global_buffer
      - .offset:         72
        .size:           8
        .value_kind:     by_value
      - .offset:         80
        .size:           4
        .value_kind:     by_value
      - .offset:         88
        .size:           8
        .value_kind:     by_value
      - .offset:         96
        .size:           4
        .value_kind:     by_value
      - .offset:         104
        .size:           4
        .value_kind:     hidden_block_count_x
      - .offset:         108
        .size:           4
        .value_kind:     hidden_block_count_y
      - .offset:         112
        .size:           4
        .value_kind:     hidden_block_count_z
      - .offset:         116
        .size:           2
        .value_kind:     hidden_group_size_x
      - .offset:         118
        .size:           2
        .value_kind:     hidden_group_size_y
      - .offset:         120
        .size:           2
        .value_kind:     hidden_group_size_z
      - .offset:         122
        .size:           2
        .value_kind:     hidden_remainder_x
      - .offset:         124
        .size:           2
        .value_kind:     hidden_remainder_y
      - .offset:         126
        .size:           2
        .value_kind:     hidden_remainder_z
      - .offset:         144
        .size:           8
        .value_kind:     hidden_global_offset_x
      - .offset:         152
        .size:           8
        .value_kind:     hidden_global_offset_y
      - .offset:         160
        .size:           8
        .value_kind:     hidden_global_offset_z
      - .offset:         168
        .size:           2
        .value_kind:     hidden_grid_dims
    .group_segment_fixed_size: 1024
    .kernarg_segment_align: 8
    .kernarg_segment_size: 360
    .language:       OpenCL C
    .language_version:
      - 2
      - 0
    .max_flat_workgroup_size: 8
    .name:           _ZL38rocblas_trsm_small_left_device_sharedBILi8ELi8ELb1EddPKdPdEv13rocblas_fill_18rocblas_operation_17rocblas_diagonal_iiT3_T4_lilT5_lili
    .private_segment_fixed_size: 0
    .sgpr_count:     42
    .sgpr_spill_count: 0
    .symbol:         _ZL38rocblas_trsm_small_left_device_sharedBILi8ELi8ELb1EddPKdPdEv13rocblas_fill_18rocblas_operation_17rocblas_diagonal_iiT3_T4_lilT5_lili.kd
    .uniform_work_group_size: 1
    .uses_dynamic_stack: false
    .vgpr_count:     48
    .vgpr_spill_count: 0
    .wavefront_size: 32
  - .args:
      - .offset:         0
        .size:           4
        .value_kind:     by_value
      - .offset:         4
        .size:           4
        .value_kind:     by_value
      - .offset:         8
        .size:           4
        .value_kind:     by_value
      - .offset:         12
        .size:           4
        .value_kind:     by_value
      - .offset:         16
        .size:           4
        .value_kind:     by_value
      - .offset:         24
        .size:           8
        .value_kind:     by_value
      - .address_space:  global
        .offset:         32
        .size:           8
        .value_kind:     global_buffer
      - .offset:         40
        .size:           8
        .value_kind:     by_value
      - .offset:         48
        .size:           4
        .value_kind:     by_value
      - .offset:         56
        .size:           8
        .value_kind:     by_value
      - .address_space:  global
        .offset:         64
        .size:           8
        .value_kind:     global_buffer
      - .offset:         72
        .size:           8
        .value_kind:     by_value
      - .offset:         80
        .size:           4
        .value_kind:     by_value
      - .offset:         88
        .size:           8
        .value_kind:     by_value
      - .offset:         96
        .size:           4
        .value_kind:     by_value
      - .offset:         104
        .size:           4
        .value_kind:     hidden_block_count_x
      - .offset:         108
        .size:           4
        .value_kind:     hidden_block_count_y
      - .offset:         112
        .size:           4
        .value_kind:     hidden_block_count_z
      - .offset:         116
        .size:           2
        .value_kind:     hidden_group_size_x
      - .offset:         118
        .size:           2
        .value_kind:     hidden_group_size_y
      - .offset:         120
        .size:           2
        .value_kind:     hidden_group_size_z
      - .offset:         122
        .size:           2
        .value_kind:     hidden_remainder_x
      - .offset:         124
        .size:           2
        .value_kind:     hidden_remainder_y
      - .offset:         126
        .size:           2
        .value_kind:     hidden_remainder_z
      - .offset:         144
        .size:           8
        .value_kind:     hidden_global_offset_x
      - .offset:         152
        .size:           8
        .value_kind:     hidden_global_offset_y
      - .offset:         160
        .size:           8
        .value_kind:     hidden_global_offset_z
      - .offset:         168
        .size:           2
        .value_kind:     hidden_grid_dims
    .group_segment_fixed_size: 512
    .kernarg_segment_align: 8
    .kernarg_segment_size: 360
    .language:       OpenCL C
    .language_version:
      - 2
      - 0
    .max_flat_workgroup_size: 8
    .name:           _ZL30rocblas_trsm_small_left_deviceILi8ELi8ELb1EddPKdPdEv13rocblas_fill_18rocblas_operation_17rocblas_diagonal_iiT3_T4_lilT5_lili
    .private_segment_fixed_size: 0
    .sgpr_count:     48
    .sgpr_spill_count: 0
    .symbol:         _ZL30rocblas_trsm_small_left_deviceILi8ELi8ELb1EddPKdPdEv13rocblas_fill_18rocblas_operation_17rocblas_diagonal_iiT3_T4_lilT5_lili.kd
    .uniform_work_group_size: 1
    .uses_dynamic_stack: false
    .vgpr_count:     48
    .vgpr_spill_count: 0
    .wavefront_size: 32
  - .args:
      - .offset:         0
        .size:           4
        .value_kind:     by_value
      - .offset:         4
        .size:           4
        .value_kind:     by_value
      - .offset:         8
        .size:           4
        .value_kind:     by_value
      - .offset:         12
        .size:           4
        .value_kind:     by_value
      - .offset:         16
        .size:           4
        .value_kind:     by_value
      - .offset:         24
        .size:           8
        .value_kind:     by_value
      - .address_space:  global
        .offset:         32
        .size:           8
        .value_kind:     global_buffer
      - .offset:         40
        .size:           8
        .value_kind:     by_value
      - .offset:         48
        .size:           4
        .value_kind:     by_value
      - .offset:         56
        .size:           8
        .value_kind:     by_value
      - .address_space:  global
        .offset:         64
        .size:           8
        .value_kind:     global_buffer
      - .offset:         72
        .size:           8
        .value_kind:     by_value
      - .offset:         80
        .size:           4
        .value_kind:     by_value
      - .offset:         88
        .size:           8
        .value_kind:     by_value
      - .offset:         96
        .size:           4
        .value_kind:     by_value
      - .offset:         104
        .size:           4
        .value_kind:     hidden_block_count_x
      - .offset:         108
        .size:           4
        .value_kind:     hidden_block_count_y
      - .offset:         112
        .size:           4
        .value_kind:     hidden_block_count_z
      - .offset:         116
        .size:           2
        .value_kind:     hidden_group_size_x
      - .offset:         118
        .size:           2
        .value_kind:     hidden_group_size_y
      - .offset:         120
        .size:           2
        .value_kind:     hidden_group_size_z
      - .offset:         122
        .size:           2
        .value_kind:     hidden_remainder_x
      - .offset:         124
        .size:           2
        .value_kind:     hidden_remainder_y
      - .offset:         126
        .size:           2
        .value_kind:     hidden_remainder_z
      - .offset:         144
        .size:           8
        .value_kind:     hidden_global_offset_x
      - .offset:         152
        .size:           8
        .value_kind:     hidden_global_offset_y
      - .offset:         160
        .size:           8
        .value_kind:     hidden_global_offset_z
      - .offset:         168
        .size:           2
        .value_kind:     hidden_grid_dims
    .group_segment_fixed_size: 1024
    .kernarg_segment_align: 8
    .kernarg_segment_size: 360
    .language:       OpenCL C
    .language_version:
      - 2
      - 0
    .max_flat_workgroup_size: 8
    .name:           _ZL31rocblas_trsm_small_right_deviceIddPKdPdLi8EEv13rocblas_fill_18rocblas_operation_17rocblas_diagonal_iiT0_T1_lilT2_lili
    .private_segment_fixed_size: 0
    .sgpr_count:     41
    .sgpr_spill_count: 0
    .symbol:         _ZL31rocblas_trsm_small_right_deviceIddPKdPdLi8EEv13rocblas_fill_18rocblas_operation_17rocblas_diagonal_iiT0_T1_lilT2_lili.kd
    .uniform_work_group_size: 1
    .uses_dynamic_stack: false
    .vgpr_count:     46
    .vgpr_spill_count: 0
    .wavefront_size: 32
  - .args:
      - .offset:         0
        .size:           4
        .value_kind:     by_value
      - .offset:         4
        .size:           4
        .value_kind:     by_value
      - .offset:         8
        .size:           4
        .value_kind:     by_value
      - .offset:         12
        .size:           4
        .value_kind:     by_value
      - .offset:         16
        .size:           4
        .value_kind:     by_value
      - .offset:         24
        .size:           8
        .value_kind:     by_value
      - .address_space:  global
        .offset:         32
        .size:           8
        .value_kind:     global_buffer
      - .offset:         40
        .size:           8
        .value_kind:     by_value
      - .offset:         48
        .size:           4
        .value_kind:     by_value
      - .offset:         56
        .size:           8
        .value_kind:     by_value
      - .address_space:  global
        .offset:         64
        .size:           8
        .value_kind:     global_buffer
      - .offset:         72
        .size:           8
        .value_kind:     by_value
      - .offset:         80
        .size:           4
        .value_kind:     by_value
      - .offset:         88
        .size:           8
        .value_kind:     by_value
      - .offset:         96
        .size:           4
        .value_kind:     by_value
      - .offset:         104
        .size:           4
        .value_kind:     hidden_block_count_x
      - .offset:         108
        .size:           4
        .value_kind:     hidden_block_count_y
      - .offset:         112
        .size:           4
        .value_kind:     hidden_block_count_z
      - .offset:         116
        .size:           2
        .value_kind:     hidden_group_size_x
      - .offset:         118
        .size:           2
        .value_kind:     hidden_group_size_y
      - .offset:         120
        .size:           2
        .value_kind:     hidden_group_size_z
      - .offset:         122
        .size:           2
        .value_kind:     hidden_remainder_x
      - .offset:         124
        .size:           2
        .value_kind:     hidden_remainder_y
      - .offset:         126
        .size:           2
        .value_kind:     hidden_remainder_z
      - .offset:         144
        .size:           8
        .value_kind:     hidden_global_offset_x
      - .offset:         152
        .size:           8
        .value_kind:     hidden_global_offset_y
      - .offset:         160
        .size:           8
        .value_kind:     hidden_global_offset_z
      - .offset:         168
        .size:           2
        .value_kind:     hidden_grid_dims
    .group_segment_fixed_size: 2304
    .kernarg_segment_align: 8
    .kernarg_segment_size: 360
    .language:       OpenCL C
    .language_version:
      - 2
      - 0
    .max_flat_workgroup_size: 12
    .name:           _ZL38rocblas_trsm_small_left_device_sharedBILi12ELi12ELb0EddPKdPdEv13rocblas_fill_18rocblas_operation_17rocblas_diagonal_iiT3_T4_lilT5_lili
    .private_segment_fixed_size: 0
    .sgpr_count:     42
    .sgpr_spill_count: 0
    .symbol:         _ZL38rocblas_trsm_small_left_device_sharedBILi12ELi12ELb0EddPKdPdEv13rocblas_fill_18rocblas_operation_17rocblas_diagonal_iiT3_T4_lilT5_lili.kd
    .uniform_work_group_size: 1
    .uses_dynamic_stack: false
    .vgpr_count:     80
    .vgpr_spill_count: 0
    .wavefront_size: 32
  - .args:
      - .offset:         0
        .size:           4
        .value_kind:     by_value
      - .offset:         4
        .size:           4
        .value_kind:     by_value
      - .offset:         8
        .size:           4
        .value_kind:     by_value
      - .offset:         12
        .size:           4
        .value_kind:     by_value
      - .offset:         16
        .size:           4
        .value_kind:     by_value
      - .offset:         24
        .size:           8
        .value_kind:     by_value
      - .address_space:  global
        .offset:         32
        .size:           8
        .value_kind:     global_buffer
      - .offset:         40
        .size:           8
        .value_kind:     by_value
      - .offset:         48
        .size:           4
        .value_kind:     by_value
      - .offset:         56
        .size:           8
        .value_kind:     by_value
      - .address_space:  global
        .offset:         64
        .size:           8
        .value_kind:     global_buffer
      - .offset:         72
        .size:           8
        .value_kind:     by_value
      - .offset:         80
        .size:           4
        .value_kind:     by_value
      - .offset:         88
        .size:           8
        .value_kind:     by_value
      - .offset:         96
        .size:           4
        .value_kind:     by_value
      - .offset:         104
        .size:           4
        .value_kind:     hidden_block_count_x
      - .offset:         108
        .size:           4
        .value_kind:     hidden_block_count_y
      - .offset:         112
        .size:           4
        .value_kind:     hidden_block_count_z
      - .offset:         116
        .size:           2
        .value_kind:     hidden_group_size_x
      - .offset:         118
        .size:           2
        .value_kind:     hidden_group_size_y
      - .offset:         120
        .size:           2
        .value_kind:     hidden_group_size_z
      - .offset:         122
        .size:           2
        .value_kind:     hidden_remainder_x
      - .offset:         124
        .size:           2
        .value_kind:     hidden_remainder_y
      - .offset:         126
        .size:           2
        .value_kind:     hidden_remainder_z
      - .offset:         144
        .size:           8
        .value_kind:     hidden_global_offset_x
      - .offset:         152
        .size:           8
        .value_kind:     hidden_global_offset_y
      - .offset:         160
        .size:           8
        .value_kind:     hidden_global_offset_z
      - .offset:         168
        .size:           2
        .value_kind:     hidden_grid_dims
    .group_segment_fixed_size: 1152
    .kernarg_segment_align: 8
    .kernarg_segment_size: 360
    .language:       OpenCL C
    .language_version:
      - 2
      - 0
    .max_flat_workgroup_size: 12
    .name:           _ZL30rocblas_trsm_small_left_deviceILi12ELi12ELb0EddPKdPdEv13rocblas_fill_18rocblas_operation_17rocblas_diagonal_iiT3_T4_lilT5_lili
    .private_segment_fixed_size: 0
    .sgpr_count:     49
    .sgpr_spill_count: 0
    .symbol:         _ZL30rocblas_trsm_small_left_deviceILi12ELi12ELb0EddPKdPdEv13rocblas_fill_18rocblas_operation_17rocblas_diagonal_iiT3_T4_lilT5_lili.kd
    .uniform_work_group_size: 1
    .uses_dynamic_stack: false
    .vgpr_count:     82
    .vgpr_spill_count: 0
    .wavefront_size: 32
  - .args:
      - .offset:         0
        .size:           4
        .value_kind:     by_value
      - .offset:         4
        .size:           4
        .value_kind:     by_value
      - .offset:         8
        .size:           4
        .value_kind:     by_value
      - .offset:         12
        .size:           4
        .value_kind:     by_value
      - .offset:         16
        .size:           4
        .value_kind:     by_value
      - .offset:         24
        .size:           8
        .value_kind:     by_value
      - .address_space:  global
        .offset:         32
        .size:           8
        .value_kind:     global_buffer
      - .offset:         40
        .size:           8
        .value_kind:     by_value
      - .offset:         48
        .size:           4
        .value_kind:     by_value
      - .offset:         56
        .size:           8
        .value_kind:     by_value
      - .address_space:  global
        .offset:         64
        .size:           8
        .value_kind:     global_buffer
      - .offset:         72
        .size:           8
        .value_kind:     by_value
      - .offset:         80
        .size:           4
        .value_kind:     by_value
      - .offset:         88
        .size:           8
        .value_kind:     by_value
      - .offset:         96
        .size:           4
        .value_kind:     by_value
      - .offset:         104
        .size:           4
        .value_kind:     hidden_block_count_x
      - .offset:         108
        .size:           4
        .value_kind:     hidden_block_count_y
      - .offset:         112
        .size:           4
        .value_kind:     hidden_block_count_z
      - .offset:         116
        .size:           2
        .value_kind:     hidden_group_size_x
      - .offset:         118
        .size:           2
        .value_kind:     hidden_group_size_y
      - .offset:         120
        .size:           2
        .value_kind:     hidden_group_size_z
      - .offset:         122
        .size:           2
        .value_kind:     hidden_remainder_x
      - .offset:         124
        .size:           2
        .value_kind:     hidden_remainder_y
      - .offset:         126
        .size:           2
        .value_kind:     hidden_remainder_z
      - .offset:         144
        .size:           8
        .value_kind:     hidden_global_offset_x
      - .offset:         152
        .size:           8
        .value_kind:     hidden_global_offset_y
      - .offset:         160
        .size:           8
        .value_kind:     hidden_global_offset_z
      - .offset:         168
        .size:           2
        .value_kind:     hidden_grid_dims
    .group_segment_fixed_size: 2304
    .kernarg_segment_align: 8
    .kernarg_segment_size: 360
    .language:       OpenCL C
    .language_version:
      - 2
      - 0
    .max_flat_workgroup_size: 12
    .name:           _ZL38rocblas_trsm_small_left_device_sharedBILi12ELi12ELb1EddPKdPdEv13rocblas_fill_18rocblas_operation_17rocblas_diagonal_iiT3_T4_lilT5_lili
    .private_segment_fixed_size: 0
    .sgpr_count:     42
    .sgpr_spill_count: 0
    .symbol:         _ZL38rocblas_trsm_small_left_device_sharedBILi12ELi12ELb1EddPKdPdEv13rocblas_fill_18rocblas_operation_17rocblas_diagonal_iiT3_T4_lilT5_lili.kd
    .uniform_work_group_size: 1
    .uses_dynamic_stack: false
    .vgpr_count:     80
    .vgpr_spill_count: 0
    .wavefront_size: 32
  - .args:
      - .offset:         0
        .size:           4
        .value_kind:     by_value
      - .offset:         4
        .size:           4
        .value_kind:     by_value
      - .offset:         8
        .size:           4
        .value_kind:     by_value
      - .offset:         12
        .size:           4
        .value_kind:     by_value
      - .offset:         16
        .size:           4
        .value_kind:     by_value
      - .offset:         24
        .size:           8
        .value_kind:     by_value
      - .address_space:  global
        .offset:         32
        .size:           8
        .value_kind:     global_buffer
      - .offset:         40
        .size:           8
        .value_kind:     by_value
      - .offset:         48
        .size:           4
        .value_kind:     by_value
      - .offset:         56
        .size:           8
        .value_kind:     by_value
      - .address_space:  global
        .offset:         64
        .size:           8
        .value_kind:     global_buffer
      - .offset:         72
        .size:           8
        .value_kind:     by_value
      - .offset:         80
        .size:           4
        .value_kind:     by_value
      - .offset:         88
        .size:           8
        .value_kind:     by_value
      - .offset:         96
        .size:           4
        .value_kind:     by_value
      - .offset:         104
        .size:           4
        .value_kind:     hidden_block_count_x
      - .offset:         108
        .size:           4
        .value_kind:     hidden_block_count_y
      - .offset:         112
        .size:           4
        .value_kind:     hidden_block_count_z
      - .offset:         116
        .size:           2
        .value_kind:     hidden_group_size_x
      - .offset:         118
        .size:           2
        .value_kind:     hidden_group_size_y
      - .offset:         120
        .size:           2
        .value_kind:     hidden_group_size_z
      - .offset:         122
        .size:           2
        .value_kind:     hidden_remainder_x
      - .offset:         124
        .size:           2
        .value_kind:     hidden_remainder_y
      - .offset:         126
        .size:           2
        .value_kind:     hidden_remainder_z
      - .offset:         144
        .size:           8
        .value_kind:     hidden_global_offset_x
      - .offset:         152
        .size:           8
        .value_kind:     hidden_global_offset_y
      - .offset:         160
        .size:           8
        .value_kind:     hidden_global_offset_z
      - .offset:         168
        .size:           2
        .value_kind:     hidden_grid_dims
    .group_segment_fixed_size: 1152
    .kernarg_segment_align: 8
    .kernarg_segment_size: 360
    .language:       OpenCL C
    .language_version:
      - 2
      - 0
    .max_flat_workgroup_size: 12
    .name:           _ZL30rocblas_trsm_small_left_deviceILi12ELi12ELb1EddPKdPdEv13rocblas_fill_18rocblas_operation_17rocblas_diagonal_iiT3_T4_lilT5_lili
    .private_segment_fixed_size: 0
    .sgpr_count:     48
    .sgpr_spill_count: 0
    .symbol:         _ZL30rocblas_trsm_small_left_deviceILi12ELi12ELb1EddPKdPdEv13rocblas_fill_18rocblas_operation_17rocblas_diagonal_iiT3_T4_lilT5_lili.kd
    .uniform_work_group_size: 1
    .uses_dynamic_stack: false
    .vgpr_count:     78
    .vgpr_spill_count: 0
    .wavefront_size: 32
  - .args:
      - .offset:         0
        .size:           4
        .value_kind:     by_value
      - .offset:         4
        .size:           4
        .value_kind:     by_value
      - .offset:         8
        .size:           4
        .value_kind:     by_value
      - .offset:         12
        .size:           4
        .value_kind:     by_value
      - .offset:         16
        .size:           4
        .value_kind:     by_value
      - .offset:         24
        .size:           8
        .value_kind:     by_value
      - .address_space:  global
        .offset:         32
        .size:           8
        .value_kind:     global_buffer
      - .offset:         40
        .size:           8
        .value_kind:     by_value
      - .offset:         48
        .size:           4
        .value_kind:     by_value
      - .offset:         56
        .size:           8
        .value_kind:     by_value
      - .address_space:  global
        .offset:         64
        .size:           8
        .value_kind:     global_buffer
      - .offset:         72
        .size:           8
        .value_kind:     by_value
      - .offset:         80
        .size:           4
        .value_kind:     by_value
      - .offset:         88
        .size:           8
        .value_kind:     by_value
      - .offset:         96
        .size:           4
        .value_kind:     by_value
      - .offset:         104
        .size:           4
        .value_kind:     hidden_block_count_x
      - .offset:         108
        .size:           4
        .value_kind:     hidden_block_count_y
      - .offset:         112
        .size:           4
        .value_kind:     hidden_block_count_z
      - .offset:         116
        .size:           2
        .value_kind:     hidden_group_size_x
      - .offset:         118
        .size:           2
        .value_kind:     hidden_group_size_y
      - .offset:         120
        .size:           2
        .value_kind:     hidden_group_size_z
      - .offset:         122
        .size:           2
        .value_kind:     hidden_remainder_x
      - .offset:         124
        .size:           2
        .value_kind:     hidden_remainder_y
      - .offset:         126
        .size:           2
        .value_kind:     hidden_remainder_z
      - .offset:         144
        .size:           8
        .value_kind:     hidden_global_offset_x
      - .offset:         152
        .size:           8
        .value_kind:     hidden_global_offset_y
      - .offset:         160
        .size:           8
        .value_kind:     hidden_global_offset_z
      - .offset:         168
        .size:           2
        .value_kind:     hidden_grid_dims
    .group_segment_fixed_size: 2304
    .kernarg_segment_align: 8
    .kernarg_segment_size: 360
    .language:       OpenCL C
    .language_version:
      - 2
      - 0
    .max_flat_workgroup_size: 12
    .name:           _ZL31rocblas_trsm_small_right_deviceIddPKdPdLi12EEv13rocblas_fill_18rocblas_operation_17rocblas_diagonal_iiT0_T1_lilT2_lili
    .private_segment_fixed_size: 0
    .sgpr_count:     40
    .sgpr_spill_count: 0
    .symbol:         _ZL31rocblas_trsm_small_right_deviceIddPKdPdLi12EEv13rocblas_fill_18rocblas_operation_17rocblas_diagonal_iiT0_T1_lilT2_lili.kd
    .uniform_work_group_size: 1
    .uses_dynamic_stack: false
    .vgpr_count:     44
    .vgpr_spill_count: 0
    .wavefront_size: 32
  - .args:
      - .offset:         0
        .size:           4
        .value_kind:     by_value
      - .offset:         4
        .size:           4
        .value_kind:     by_value
      - .offset:         8
        .size:           4
        .value_kind:     by_value
      - .offset:         12
        .size:           4
        .value_kind:     by_value
      - .offset:         16
        .size:           4
        .value_kind:     by_value
      - .offset:         24
        .size:           8
        .value_kind:     by_value
      - .address_space:  global
        .offset:         32
        .size:           8
        .value_kind:     global_buffer
      - .offset:         40
        .size:           8
        .value_kind:     by_value
      - .offset:         48
        .size:           4
        .value_kind:     by_value
      - .offset:         56
        .size:           8
        .value_kind:     by_value
      - .address_space:  global
        .offset:         64
        .size:           8
        .value_kind:     global_buffer
      - .offset:         72
        .size:           8
        .value_kind:     by_value
      - .offset:         80
        .size:           4
        .value_kind:     by_value
      - .offset:         88
        .size:           8
        .value_kind:     by_value
      - .offset:         96
        .size:           4
        .value_kind:     by_value
      - .offset:         104
        .size:           4
        .value_kind:     hidden_block_count_x
      - .offset:         108
        .size:           4
        .value_kind:     hidden_block_count_y
      - .offset:         112
        .size:           4
        .value_kind:     hidden_block_count_z
      - .offset:         116
        .size:           2
        .value_kind:     hidden_group_size_x
      - .offset:         118
        .size:           2
        .value_kind:     hidden_group_size_y
      - .offset:         120
        .size:           2
        .value_kind:     hidden_group_size_z
      - .offset:         122
        .size:           2
        .value_kind:     hidden_remainder_x
      - .offset:         124
        .size:           2
        .value_kind:     hidden_remainder_y
      - .offset:         126
        .size:           2
        .value_kind:     hidden_remainder_z
      - .offset:         144
        .size:           8
        .value_kind:     hidden_global_offset_x
      - .offset:         152
        .size:           8
        .value_kind:     hidden_global_offset_y
      - .offset:         160
        .size:           8
        .value_kind:     hidden_global_offset_z
      - .offset:         168
        .size:           2
        .value_kind:     hidden_grid_dims
    .group_segment_fixed_size: 4096
    .kernarg_segment_align: 8
    .kernarg_segment_size: 360
    .language:       OpenCL C
    .language_version:
      - 2
      - 0
    .max_flat_workgroup_size: 16
    .name:           _ZL38rocblas_trsm_small_left_device_sharedBILi16ELi16ELb0EddPKdPdEv13rocblas_fill_18rocblas_operation_17rocblas_diagonal_iiT3_T4_lilT5_lili
    .private_segment_fixed_size: 0
    .sgpr_count:     42
    .sgpr_spill_count: 0
    .symbol:         _ZL38rocblas_trsm_small_left_device_sharedBILi16ELi16ELb0EddPKdPdEv13rocblas_fill_18rocblas_operation_17rocblas_diagonal_iiT3_T4_lilT5_lili.kd
    .uniform_work_group_size: 1
    .uses_dynamic_stack: false
    .vgpr_count:     80
    .vgpr_spill_count: 0
    .wavefront_size: 32
  - .args:
      - .offset:         0
        .size:           4
        .value_kind:     by_value
      - .offset:         4
        .size:           4
        .value_kind:     by_value
      - .offset:         8
        .size:           4
        .value_kind:     by_value
      - .offset:         12
        .size:           4
        .value_kind:     by_value
      - .offset:         16
        .size:           4
        .value_kind:     by_value
      - .offset:         24
        .size:           8
        .value_kind:     by_value
      - .address_space:  global
        .offset:         32
        .size:           8
        .value_kind:     global_buffer
      - .offset:         40
        .size:           8
        .value_kind:     by_value
      - .offset:         48
        .size:           4
        .value_kind:     by_value
      - .offset:         56
        .size:           8
        .value_kind:     by_value
      - .address_space:  global
        .offset:         64
        .size:           8
        .value_kind:     global_buffer
      - .offset:         72
        .size:           8
        .value_kind:     by_value
      - .offset:         80
        .size:           4
        .value_kind:     by_value
      - .offset:         88
        .size:           8
        .value_kind:     by_value
      - .offset:         96
        .size:           4
        .value_kind:     by_value
      - .offset:         104
        .size:           4
        .value_kind:     hidden_block_count_x
      - .offset:         108
        .size:           4
        .value_kind:     hidden_block_count_y
      - .offset:         112
        .size:           4
        .value_kind:     hidden_block_count_z
      - .offset:         116
        .size:           2
        .value_kind:     hidden_group_size_x
      - .offset:         118
        .size:           2
        .value_kind:     hidden_group_size_y
      - .offset:         120
        .size:           2
        .value_kind:     hidden_group_size_z
      - .offset:         122
        .size:           2
        .value_kind:     hidden_remainder_x
      - .offset:         124
        .size:           2
        .value_kind:     hidden_remainder_y
      - .offset:         126
        .size:           2
        .value_kind:     hidden_remainder_z
      - .offset:         144
        .size:           8
        .value_kind:     hidden_global_offset_x
      - .offset:         152
        .size:           8
        .value_kind:     hidden_global_offset_y
      - .offset:         160
        .size:           8
        .value_kind:     hidden_global_offset_z
      - .offset:         168
        .size:           2
        .value_kind:     hidden_grid_dims
    .group_segment_fixed_size: 2048
    .kernarg_segment_align: 8
    .kernarg_segment_size: 360
    .language:       OpenCL C
    .language_version:
      - 2
      - 0
    .max_flat_workgroup_size: 16
    .name:           _ZL30rocblas_trsm_small_left_deviceILi16ELi16ELb0EddPKdPdEv13rocblas_fill_18rocblas_operation_17rocblas_diagonal_iiT3_T4_lilT5_lili
    .private_segment_fixed_size: 0
    .sgpr_count:     49
    .sgpr_spill_count: 0
    .symbol:         _ZL30rocblas_trsm_small_left_deviceILi16ELi16ELb0EddPKdPdEv13rocblas_fill_18rocblas_operation_17rocblas_diagonal_iiT3_T4_lilT5_lili.kd
    .uniform_work_group_size: 1
    .uses_dynamic_stack: false
    .vgpr_count:     82
    .vgpr_spill_count: 0
    .wavefront_size: 32
  - .args:
      - .offset:         0
        .size:           4
        .value_kind:     by_value
      - .offset:         4
        .size:           4
        .value_kind:     by_value
      - .offset:         8
        .size:           4
        .value_kind:     by_value
      - .offset:         12
        .size:           4
        .value_kind:     by_value
      - .offset:         16
        .size:           4
        .value_kind:     by_value
      - .offset:         24
        .size:           8
        .value_kind:     by_value
      - .address_space:  global
        .offset:         32
        .size:           8
        .value_kind:     global_buffer
      - .offset:         40
        .size:           8
        .value_kind:     by_value
      - .offset:         48
        .size:           4
        .value_kind:     by_value
      - .offset:         56
        .size:           8
        .value_kind:     by_value
      - .address_space:  global
        .offset:         64
        .size:           8
        .value_kind:     global_buffer
      - .offset:         72
        .size:           8
        .value_kind:     by_value
      - .offset:         80
        .size:           4
        .value_kind:     by_value
      - .offset:         88
        .size:           8
        .value_kind:     by_value
      - .offset:         96
        .size:           4
        .value_kind:     by_value
      - .offset:         104
        .size:           4
        .value_kind:     hidden_block_count_x
      - .offset:         108
        .size:           4
        .value_kind:     hidden_block_count_y
      - .offset:         112
        .size:           4
        .value_kind:     hidden_block_count_z
      - .offset:         116
        .size:           2
        .value_kind:     hidden_group_size_x
      - .offset:         118
        .size:           2
        .value_kind:     hidden_group_size_y
      - .offset:         120
        .size:           2
        .value_kind:     hidden_group_size_z
      - .offset:         122
        .size:           2
        .value_kind:     hidden_remainder_x
      - .offset:         124
        .size:           2
        .value_kind:     hidden_remainder_y
      - .offset:         126
        .size:           2
        .value_kind:     hidden_remainder_z
      - .offset:         144
        .size:           8
        .value_kind:     hidden_global_offset_x
      - .offset:         152
        .size:           8
        .value_kind:     hidden_global_offset_y
      - .offset:         160
        .size:           8
        .value_kind:     hidden_global_offset_z
      - .offset:         168
        .size:           2
        .value_kind:     hidden_grid_dims
    .group_segment_fixed_size: 4096
    .kernarg_segment_align: 8
    .kernarg_segment_size: 360
    .language:       OpenCL C
    .language_version:
      - 2
      - 0
    .max_flat_workgroup_size: 16
    .name:           _ZL38rocblas_trsm_small_left_device_sharedBILi16ELi16ELb1EddPKdPdEv13rocblas_fill_18rocblas_operation_17rocblas_diagonal_iiT3_T4_lilT5_lili
    .private_segment_fixed_size: 0
    .sgpr_count:     42
    .sgpr_spill_count: 0
    .symbol:         _ZL38rocblas_trsm_small_left_device_sharedBILi16ELi16ELb1EddPKdPdEv13rocblas_fill_18rocblas_operation_17rocblas_diagonal_iiT3_T4_lilT5_lili.kd
    .uniform_work_group_size: 1
    .uses_dynamic_stack: false
    .vgpr_count:     80
    .vgpr_spill_count: 0
    .wavefront_size: 32
  - .args:
      - .offset:         0
        .size:           4
        .value_kind:     by_value
      - .offset:         4
        .size:           4
        .value_kind:     by_value
      - .offset:         8
        .size:           4
        .value_kind:     by_value
      - .offset:         12
        .size:           4
        .value_kind:     by_value
      - .offset:         16
        .size:           4
        .value_kind:     by_value
      - .offset:         24
        .size:           8
        .value_kind:     by_value
      - .address_space:  global
        .offset:         32
        .size:           8
        .value_kind:     global_buffer
      - .offset:         40
        .size:           8
        .value_kind:     by_value
      - .offset:         48
        .size:           4
        .value_kind:     by_value
      - .offset:         56
        .size:           8
        .value_kind:     by_value
      - .address_space:  global
        .offset:         64
        .size:           8
        .value_kind:     global_buffer
      - .offset:         72
        .size:           8
        .value_kind:     by_value
      - .offset:         80
        .size:           4
        .value_kind:     by_value
      - .offset:         88
        .size:           8
        .value_kind:     by_value
      - .offset:         96
        .size:           4
        .value_kind:     by_value
      - .offset:         104
        .size:           4
        .value_kind:     hidden_block_count_x
      - .offset:         108
        .size:           4
        .value_kind:     hidden_block_count_y
      - .offset:         112
        .size:           4
        .value_kind:     hidden_block_count_z
      - .offset:         116
        .size:           2
        .value_kind:     hidden_group_size_x
      - .offset:         118
        .size:           2
        .value_kind:     hidden_group_size_y
      - .offset:         120
        .size:           2
        .value_kind:     hidden_group_size_z
      - .offset:         122
        .size:           2
        .value_kind:     hidden_remainder_x
      - .offset:         124
        .size:           2
        .value_kind:     hidden_remainder_y
      - .offset:         126
        .size:           2
        .value_kind:     hidden_remainder_z
      - .offset:         144
        .size:           8
        .value_kind:     hidden_global_offset_x
      - .offset:         152
        .size:           8
        .value_kind:     hidden_global_offset_y
      - .offset:         160
        .size:           8
        .value_kind:     hidden_global_offset_z
      - .offset:         168
        .size:           2
        .value_kind:     hidden_grid_dims
    .group_segment_fixed_size: 2048
    .kernarg_segment_align: 8
    .kernarg_segment_size: 360
    .language:       OpenCL C
    .language_version:
      - 2
      - 0
    .max_flat_workgroup_size: 16
    .name:           _ZL30rocblas_trsm_small_left_deviceILi16ELi16ELb1EddPKdPdEv13rocblas_fill_18rocblas_operation_17rocblas_diagonal_iiT3_T4_lilT5_lili
    .private_segment_fixed_size: 0
    .sgpr_count:     48
    .sgpr_spill_count: 0
    .symbol:         _ZL30rocblas_trsm_small_left_deviceILi16ELi16ELb1EddPKdPdEv13rocblas_fill_18rocblas_operation_17rocblas_diagonal_iiT3_T4_lilT5_lili.kd
    .uniform_work_group_size: 1
    .uses_dynamic_stack: false
    .vgpr_count:     78
    .vgpr_spill_count: 0
    .wavefront_size: 32
  - .args:
      - .offset:         0
        .size:           4
        .value_kind:     by_value
      - .offset:         4
        .size:           4
        .value_kind:     by_value
      - .offset:         8
        .size:           4
        .value_kind:     by_value
      - .offset:         12
        .size:           4
        .value_kind:     by_value
      - .offset:         16
        .size:           4
        .value_kind:     by_value
      - .offset:         24
        .size:           8
        .value_kind:     by_value
      - .address_space:  global
        .offset:         32
        .size:           8
        .value_kind:     global_buffer
      - .offset:         40
        .size:           8
        .value_kind:     by_value
      - .offset:         48
        .size:           4
        .value_kind:     by_value
      - .offset:         56
        .size:           8
        .value_kind:     by_value
      - .address_space:  global
        .offset:         64
        .size:           8
        .value_kind:     global_buffer
      - .offset:         72
        .size:           8
        .value_kind:     by_value
      - .offset:         80
        .size:           4
        .value_kind:     by_value
      - .offset:         88
        .size:           8
        .value_kind:     by_value
      - .offset:         96
        .size:           4
        .value_kind:     by_value
      - .offset:         104
        .size:           4
        .value_kind:     hidden_block_count_x
      - .offset:         108
        .size:           4
        .value_kind:     hidden_block_count_y
      - .offset:         112
        .size:           4
        .value_kind:     hidden_block_count_z
      - .offset:         116
        .size:           2
        .value_kind:     hidden_group_size_x
      - .offset:         118
        .size:           2
        .value_kind:     hidden_group_size_y
      - .offset:         120
        .size:           2
        .value_kind:     hidden_group_size_z
      - .offset:         122
        .size:           2
        .value_kind:     hidden_remainder_x
      - .offset:         124
        .size:           2
        .value_kind:     hidden_remainder_y
      - .offset:         126
        .size:           2
        .value_kind:     hidden_remainder_z
      - .offset:         144
        .size:           8
        .value_kind:     hidden_global_offset_x
      - .offset:         152
        .size:           8
        .value_kind:     hidden_global_offset_y
      - .offset:         160
        .size:           8
        .value_kind:     hidden_global_offset_z
      - .offset:         168
        .size:           2
        .value_kind:     hidden_grid_dims
    .group_segment_fixed_size: 4096
    .kernarg_segment_align: 8
    .kernarg_segment_size: 360
    .language:       OpenCL C
    .language_version:
      - 2
      - 0
    .max_flat_workgroup_size: 16
    .name:           _ZL31rocblas_trsm_small_right_deviceIddPKdPdLi16EEv13rocblas_fill_18rocblas_operation_17rocblas_diagonal_iiT0_T1_lilT2_lili
    .private_segment_fixed_size: 0
    .sgpr_count:     40
    .sgpr_spill_count: 0
    .symbol:         _ZL31rocblas_trsm_small_right_deviceIddPKdPdLi16EEv13rocblas_fill_18rocblas_operation_17rocblas_diagonal_iiT0_T1_lilT2_lili.kd
    .uniform_work_group_size: 1
    .uses_dynamic_stack: false
    .vgpr_count:     46
    .vgpr_spill_count: 0
    .wavefront_size: 32
  - .args:
      - .offset:         0
        .size:           4
        .value_kind:     by_value
      - .offset:         4
        .size:           4
        .value_kind:     by_value
      - .offset:         8
        .size:           4
        .value_kind:     by_value
      - .offset:         12
        .size:           4
        .value_kind:     by_value
      - .offset:         16
        .size:           4
        .value_kind:     by_value
      - .offset:         24
        .size:           8
        .value_kind:     by_value
      - .address_space:  global
        .offset:         32
        .size:           8
        .value_kind:     global_buffer
      - .offset:         40
        .size:           8
        .value_kind:     by_value
      - .offset:         48
        .size:           4
        .value_kind:     by_value
      - .offset:         56
        .size:           8
        .value_kind:     by_value
      - .address_space:  global
        .offset:         64
        .size:           8
        .value_kind:     global_buffer
      - .offset:         72
        .size:           8
        .value_kind:     by_value
      - .offset:         80
        .size:           4
        .value_kind:     by_value
      - .offset:         88
        .size:           8
        .value_kind:     by_value
      - .offset:         96
        .size:           4
        .value_kind:     by_value
      - .offset:         104
        .size:           4
        .value_kind:     hidden_block_count_x
      - .offset:         108
        .size:           4
        .value_kind:     hidden_block_count_y
      - .offset:         112
        .size:           4
        .value_kind:     hidden_block_count_z
      - .offset:         116
        .size:           2
        .value_kind:     hidden_group_size_x
      - .offset:         118
        .size:           2
        .value_kind:     hidden_group_size_y
      - .offset:         120
        .size:           2
        .value_kind:     hidden_group_size_z
      - .offset:         122
        .size:           2
        .value_kind:     hidden_remainder_x
      - .offset:         124
        .size:           2
        .value_kind:     hidden_remainder_y
      - .offset:         126
        .size:           2
        .value_kind:     hidden_remainder_z
      - .offset:         144
        .size:           8
        .value_kind:     hidden_global_offset_x
      - .offset:         152
        .size:           8
        .value_kind:     hidden_global_offset_y
      - .offset:         160
        .size:           8
        .value_kind:     hidden_global_offset_z
      - .offset:         168
        .size:           2
        .value_kind:     hidden_grid_dims
    .group_segment_fixed_size: 6400
    .kernarg_segment_align: 8
    .kernarg_segment_size: 360
    .language:       OpenCL C
    .language_version:
      - 2
      - 0
    .max_flat_workgroup_size: 20
    .name:           _ZL38rocblas_trsm_small_left_device_sharedBILi20ELi20ELb0EddPKdPdEv13rocblas_fill_18rocblas_operation_17rocblas_diagonal_iiT3_T4_lilT5_lili
    .private_segment_fixed_size: 176
    .sgpr_count:     40
    .sgpr_spill_count: 0
    .symbol:         _ZL38rocblas_trsm_small_left_device_sharedBILi20ELi20ELb0EddPKdPdEv13rocblas_fill_18rocblas_operation_17rocblas_diagonal_iiT3_T4_lilT5_lili.kd
    .uniform_work_group_size: 1
    .uses_dynamic_stack: false
    .vgpr_count:     18
    .vgpr_spill_count: 0
    .wavefront_size: 32
  - .args:
      - .offset:         0
        .size:           4
        .value_kind:     by_value
      - .offset:         4
        .size:           4
        .value_kind:     by_value
      - .offset:         8
        .size:           4
        .value_kind:     by_value
      - .offset:         12
        .size:           4
        .value_kind:     by_value
      - .offset:         16
        .size:           4
        .value_kind:     by_value
      - .offset:         24
        .size:           8
        .value_kind:     by_value
      - .address_space:  global
        .offset:         32
        .size:           8
        .value_kind:     global_buffer
      - .offset:         40
        .size:           8
        .value_kind:     by_value
      - .offset:         48
        .size:           4
        .value_kind:     by_value
      - .offset:         56
        .size:           8
        .value_kind:     by_value
      - .address_space:  global
        .offset:         64
        .size:           8
        .value_kind:     global_buffer
      - .offset:         72
        .size:           8
        .value_kind:     by_value
      - .offset:         80
        .size:           4
        .value_kind:     by_value
      - .offset:         88
        .size:           8
        .value_kind:     by_value
      - .offset:         96
        .size:           4
        .value_kind:     by_value
      - .offset:         104
        .size:           4
        .value_kind:     hidden_block_count_x
      - .offset:         108
        .size:           4
        .value_kind:     hidden_block_count_y
      - .offset:         112
        .size:           4
        .value_kind:     hidden_block_count_z
      - .offset:         116
        .size:           2
        .value_kind:     hidden_group_size_x
      - .offset:         118
        .size:           2
        .value_kind:     hidden_group_size_y
      - .offset:         120
        .size:           2
        .value_kind:     hidden_group_size_z
      - .offset:         122
        .size:           2
        .value_kind:     hidden_remainder_x
      - .offset:         124
        .size:           2
        .value_kind:     hidden_remainder_y
      - .offset:         126
        .size:           2
        .value_kind:     hidden_remainder_z
      - .offset:         144
        .size:           8
        .value_kind:     hidden_global_offset_x
      - .offset:         152
        .size:           8
        .value_kind:     hidden_global_offset_y
      - .offset:         160
        .size:           8
        .value_kind:     hidden_global_offset_z
      - .offset:         168
        .size:           2
        .value_kind:     hidden_grid_dims
    .group_segment_fixed_size: 3200
    .kernarg_segment_align: 8
    .kernarg_segment_size: 360
    .language:       OpenCL C
    .language_version:
      - 2
      - 0
    .max_flat_workgroup_size: 20
    .name:           _ZL30rocblas_trsm_small_left_deviceILi20ELi20ELb0EddPKdPdEv13rocblas_fill_18rocblas_operation_17rocblas_diagonal_iiT3_T4_lilT5_lili
    .private_segment_fixed_size: 176
    .sgpr_count:     49
    .sgpr_spill_count: 0
    .symbol:         _ZL30rocblas_trsm_small_left_deviceILi20ELi20ELb0EddPKdPdEv13rocblas_fill_18rocblas_operation_17rocblas_diagonal_iiT3_T4_lilT5_lili.kd
    .uniform_work_group_size: 1
    .uses_dynamic_stack: false
    .vgpr_count:     20
    .vgpr_spill_count: 0
    .wavefront_size: 32
  - .args:
      - .offset:         0
        .size:           4
        .value_kind:     by_value
      - .offset:         4
        .size:           4
        .value_kind:     by_value
      - .offset:         8
        .size:           4
        .value_kind:     by_value
      - .offset:         12
        .size:           4
        .value_kind:     by_value
      - .offset:         16
        .size:           4
        .value_kind:     by_value
      - .offset:         24
        .size:           8
        .value_kind:     by_value
      - .address_space:  global
        .offset:         32
        .size:           8
        .value_kind:     global_buffer
      - .offset:         40
        .size:           8
        .value_kind:     by_value
      - .offset:         48
        .size:           4
        .value_kind:     by_value
      - .offset:         56
        .size:           8
        .value_kind:     by_value
      - .address_space:  global
        .offset:         64
        .size:           8
        .value_kind:     global_buffer
      - .offset:         72
        .size:           8
        .value_kind:     by_value
      - .offset:         80
        .size:           4
        .value_kind:     by_value
      - .offset:         88
        .size:           8
        .value_kind:     by_value
      - .offset:         96
        .size:           4
        .value_kind:     by_value
      - .offset:         104
        .size:           4
        .value_kind:     hidden_block_count_x
      - .offset:         108
        .size:           4
        .value_kind:     hidden_block_count_y
      - .offset:         112
        .size:           4
        .value_kind:     hidden_block_count_z
      - .offset:         116
        .size:           2
        .value_kind:     hidden_group_size_x
      - .offset:         118
        .size:           2
        .value_kind:     hidden_group_size_y
      - .offset:         120
        .size:           2
        .value_kind:     hidden_group_size_z
      - .offset:         122
        .size:           2
        .value_kind:     hidden_remainder_x
      - .offset:         124
        .size:           2
        .value_kind:     hidden_remainder_y
      - .offset:         126
        .size:           2
        .value_kind:     hidden_remainder_z
      - .offset:         144
        .size:           8
        .value_kind:     hidden_global_offset_x
      - .offset:         152
        .size:           8
        .value_kind:     hidden_global_offset_y
      - .offset:         160
        .size:           8
        .value_kind:     hidden_global_offset_z
      - .offset:         168
        .size:           2
        .value_kind:     hidden_grid_dims
    .group_segment_fixed_size: 6400
    .kernarg_segment_align: 8
    .kernarg_segment_size: 360
    .language:       OpenCL C
    .language_version:
      - 2
      - 0
    .max_flat_workgroup_size: 20
    .name:           _ZL38rocblas_trsm_small_left_device_sharedBILi20ELi20ELb1EddPKdPdEv13rocblas_fill_18rocblas_operation_17rocblas_diagonal_iiT3_T4_lilT5_lili
    .private_segment_fixed_size: 176
    .sgpr_count:     40
    .sgpr_spill_count: 0
    .symbol:         _ZL38rocblas_trsm_small_left_device_sharedBILi20ELi20ELb1EddPKdPdEv13rocblas_fill_18rocblas_operation_17rocblas_diagonal_iiT3_T4_lilT5_lili.kd
    .uniform_work_group_size: 1
    .uses_dynamic_stack: false
    .vgpr_count:     18
    .vgpr_spill_count: 0
    .wavefront_size: 32
  - .args:
      - .offset:         0
        .size:           4
        .value_kind:     by_value
      - .offset:         4
        .size:           4
        .value_kind:     by_value
      - .offset:         8
        .size:           4
        .value_kind:     by_value
      - .offset:         12
        .size:           4
        .value_kind:     by_value
      - .offset:         16
        .size:           4
        .value_kind:     by_value
      - .offset:         24
        .size:           8
        .value_kind:     by_value
      - .address_space:  global
        .offset:         32
        .size:           8
        .value_kind:     global_buffer
      - .offset:         40
        .size:           8
        .value_kind:     by_value
      - .offset:         48
        .size:           4
        .value_kind:     by_value
      - .offset:         56
        .size:           8
        .value_kind:     by_value
      - .address_space:  global
        .offset:         64
        .size:           8
        .value_kind:     global_buffer
      - .offset:         72
        .size:           8
        .value_kind:     by_value
      - .offset:         80
        .size:           4
        .value_kind:     by_value
      - .offset:         88
        .size:           8
        .value_kind:     by_value
      - .offset:         96
        .size:           4
        .value_kind:     by_value
      - .offset:         104
        .size:           4
        .value_kind:     hidden_block_count_x
      - .offset:         108
        .size:           4
        .value_kind:     hidden_block_count_y
      - .offset:         112
        .size:           4
        .value_kind:     hidden_block_count_z
      - .offset:         116
        .size:           2
        .value_kind:     hidden_group_size_x
      - .offset:         118
        .size:           2
        .value_kind:     hidden_group_size_y
      - .offset:         120
        .size:           2
        .value_kind:     hidden_group_size_z
      - .offset:         122
        .size:           2
        .value_kind:     hidden_remainder_x
      - .offset:         124
        .size:           2
        .value_kind:     hidden_remainder_y
      - .offset:         126
        .size:           2
        .value_kind:     hidden_remainder_z
      - .offset:         144
        .size:           8
        .value_kind:     hidden_global_offset_x
      - .offset:         152
        .size:           8
        .value_kind:     hidden_global_offset_y
      - .offset:         160
        .size:           8
        .value_kind:     hidden_global_offset_z
      - .offset:         168
        .size:           2
        .value_kind:     hidden_grid_dims
    .group_segment_fixed_size: 3200
    .kernarg_segment_align: 8
    .kernarg_segment_size: 360
    .language:       OpenCL C
    .language_version:
      - 2
      - 0
    .max_flat_workgroup_size: 20
    .name:           _ZL30rocblas_trsm_small_left_deviceILi20ELi20ELb1EddPKdPdEv13rocblas_fill_18rocblas_operation_17rocblas_diagonal_iiT3_T4_lilT5_lili
    .private_segment_fixed_size: 176
    .sgpr_count:     47
    .sgpr_spill_count: 0
    .symbol:         _ZL30rocblas_trsm_small_left_deviceILi20ELi20ELb1EddPKdPdEv13rocblas_fill_18rocblas_operation_17rocblas_diagonal_iiT3_T4_lilT5_lili.kd
    .uniform_work_group_size: 1
    .uses_dynamic_stack: false
    .vgpr_count:     20
    .vgpr_spill_count: 0
    .wavefront_size: 32
  - .args:
      - .offset:         0
        .size:           4
        .value_kind:     by_value
      - .offset:         4
        .size:           4
        .value_kind:     by_value
      - .offset:         8
        .size:           4
        .value_kind:     by_value
      - .offset:         12
        .size:           4
        .value_kind:     by_value
      - .offset:         16
        .size:           4
        .value_kind:     by_value
      - .offset:         24
        .size:           8
        .value_kind:     by_value
      - .address_space:  global
        .offset:         32
        .size:           8
        .value_kind:     global_buffer
      - .offset:         40
        .size:           8
        .value_kind:     by_value
      - .offset:         48
        .size:           4
        .value_kind:     by_value
      - .offset:         56
        .size:           8
        .value_kind:     by_value
      - .address_space:  global
        .offset:         64
        .size:           8
        .value_kind:     global_buffer
      - .offset:         72
        .size:           8
        .value_kind:     by_value
      - .offset:         80
        .size:           4
        .value_kind:     by_value
      - .offset:         88
        .size:           8
        .value_kind:     by_value
      - .offset:         96
        .size:           4
        .value_kind:     by_value
      - .offset:         104
        .size:           4
        .value_kind:     hidden_block_count_x
      - .offset:         108
        .size:           4
        .value_kind:     hidden_block_count_y
      - .offset:         112
        .size:           4
        .value_kind:     hidden_block_count_z
      - .offset:         116
        .size:           2
        .value_kind:     hidden_group_size_x
      - .offset:         118
        .size:           2
        .value_kind:     hidden_group_size_y
      - .offset:         120
        .size:           2
        .value_kind:     hidden_group_size_z
      - .offset:         122
        .size:           2
        .value_kind:     hidden_remainder_x
      - .offset:         124
        .size:           2
        .value_kind:     hidden_remainder_y
      - .offset:         126
        .size:           2
        .value_kind:     hidden_remainder_z
      - .offset:         144
        .size:           8
        .value_kind:     hidden_global_offset_x
      - .offset:         152
        .size:           8
        .value_kind:     hidden_global_offset_y
      - .offset:         160
        .size:           8
        .value_kind:     hidden_global_offset_z
      - .offset:         168
        .size:           2
        .value_kind:     hidden_grid_dims
    .group_segment_fixed_size: 6400
    .kernarg_segment_align: 8
    .kernarg_segment_size: 360
    .language:       OpenCL C
    .language_version:
      - 2
      - 0
    .max_flat_workgroup_size: 20
    .name:           _ZL31rocblas_trsm_small_right_deviceIddPKdPdLi20EEv13rocblas_fill_18rocblas_operation_17rocblas_diagonal_iiT0_T1_lilT2_lili
    .private_segment_fixed_size: 0
    .sgpr_count:     40
    .sgpr_spill_count: 0
    .symbol:         _ZL31rocblas_trsm_small_right_deviceIddPKdPdLi20EEv13rocblas_fill_18rocblas_operation_17rocblas_diagonal_iiT0_T1_lilT2_lili.kd
    .uniform_work_group_size: 1
    .uses_dynamic_stack: false
    .vgpr_count:     44
    .vgpr_spill_count: 0
    .wavefront_size: 32
  - .args:
      - .offset:         0
        .size:           4
        .value_kind:     by_value
      - .offset:         4
        .size:           4
        .value_kind:     by_value
      - .offset:         8
        .size:           4
        .value_kind:     by_value
      - .offset:         12
        .size:           4
        .value_kind:     by_value
      - .offset:         16
        .size:           4
        .value_kind:     by_value
      - .offset:         24
        .size:           8
        .value_kind:     by_value
      - .address_space:  global
        .offset:         32
        .size:           8
        .value_kind:     global_buffer
      - .offset:         40
        .size:           8
        .value_kind:     by_value
      - .offset:         48
        .size:           4
        .value_kind:     by_value
      - .offset:         56
        .size:           8
        .value_kind:     by_value
      - .address_space:  global
        .offset:         64
        .size:           8
        .value_kind:     global_buffer
      - .offset:         72
        .size:           8
        .value_kind:     by_value
      - .offset:         80
        .size:           4
        .value_kind:     by_value
      - .offset:         88
        .size:           8
        .value_kind:     by_value
      - .offset:         96
        .size:           4
        .value_kind:     by_value
      - .offset:         104
        .size:           4
        .value_kind:     hidden_block_count_x
      - .offset:         108
        .size:           4
        .value_kind:     hidden_block_count_y
      - .offset:         112
        .size:           4
        .value_kind:     hidden_block_count_z
      - .offset:         116
        .size:           2
        .value_kind:     hidden_group_size_x
      - .offset:         118
        .size:           2
        .value_kind:     hidden_group_size_y
      - .offset:         120
        .size:           2
        .value_kind:     hidden_group_size_z
      - .offset:         122
        .size:           2
        .value_kind:     hidden_remainder_x
      - .offset:         124
        .size:           2
        .value_kind:     hidden_remainder_y
      - .offset:         126
        .size:           2
        .value_kind:     hidden_remainder_z
      - .offset:         144
        .size:           8
        .value_kind:     hidden_global_offset_x
      - .offset:         152
        .size:           8
        .value_kind:     hidden_global_offset_y
      - .offset:         160
        .size:           8
        .value_kind:     hidden_global_offset_z
      - .offset:         168
        .size:           2
        .value_kind:     hidden_grid_dims
    .group_segment_fixed_size: 9216
    .kernarg_segment_align: 8
    .kernarg_segment_size: 360
    .language:       OpenCL C
    .language_version:
      - 2
      - 0
    .max_flat_workgroup_size: 24
    .name:           _ZL38rocblas_trsm_small_left_device_sharedBILi24ELi24ELb0EddPKdPdEv13rocblas_fill_18rocblas_operation_17rocblas_diagonal_iiT3_T4_lilT5_lili
    .private_segment_fixed_size: 208
    .sgpr_count:     40
    .sgpr_spill_count: 0
    .symbol:         _ZL38rocblas_trsm_small_left_device_sharedBILi24ELi24ELb0EddPKdPdEv13rocblas_fill_18rocblas_operation_17rocblas_diagonal_iiT3_T4_lilT5_lili.kd
    .uniform_work_group_size: 1
    .uses_dynamic_stack: false
    .vgpr_count:     18
    .vgpr_spill_count: 0
    .wavefront_size: 32
  - .args:
      - .offset:         0
        .size:           4
        .value_kind:     by_value
      - .offset:         4
        .size:           4
        .value_kind:     by_value
      - .offset:         8
        .size:           4
        .value_kind:     by_value
      - .offset:         12
        .size:           4
        .value_kind:     by_value
      - .offset:         16
        .size:           4
        .value_kind:     by_value
      - .offset:         24
        .size:           8
        .value_kind:     by_value
      - .address_space:  global
        .offset:         32
        .size:           8
        .value_kind:     global_buffer
      - .offset:         40
        .size:           8
        .value_kind:     by_value
      - .offset:         48
        .size:           4
        .value_kind:     by_value
      - .offset:         56
        .size:           8
        .value_kind:     by_value
      - .address_space:  global
        .offset:         64
        .size:           8
        .value_kind:     global_buffer
      - .offset:         72
        .size:           8
        .value_kind:     by_value
      - .offset:         80
        .size:           4
        .value_kind:     by_value
      - .offset:         88
        .size:           8
        .value_kind:     by_value
      - .offset:         96
        .size:           4
        .value_kind:     by_value
      - .offset:         104
        .size:           4
        .value_kind:     hidden_block_count_x
      - .offset:         108
        .size:           4
        .value_kind:     hidden_block_count_y
      - .offset:         112
        .size:           4
        .value_kind:     hidden_block_count_z
      - .offset:         116
        .size:           2
        .value_kind:     hidden_group_size_x
      - .offset:         118
        .size:           2
        .value_kind:     hidden_group_size_y
      - .offset:         120
        .size:           2
        .value_kind:     hidden_group_size_z
      - .offset:         122
        .size:           2
        .value_kind:     hidden_remainder_x
      - .offset:         124
        .size:           2
        .value_kind:     hidden_remainder_y
      - .offset:         126
        .size:           2
        .value_kind:     hidden_remainder_z
      - .offset:         144
        .size:           8
        .value_kind:     hidden_global_offset_x
      - .offset:         152
        .size:           8
        .value_kind:     hidden_global_offset_y
      - .offset:         160
        .size:           8
        .value_kind:     hidden_global_offset_z
      - .offset:         168
        .size:           2
        .value_kind:     hidden_grid_dims
    .group_segment_fixed_size: 4608
    .kernarg_segment_align: 8
    .kernarg_segment_size: 360
    .language:       OpenCL C
    .language_version:
      - 2
      - 0
    .max_flat_workgroup_size: 24
    .name:           _ZL30rocblas_trsm_small_left_deviceILi24ELi24ELb0EddPKdPdEv13rocblas_fill_18rocblas_operation_17rocblas_diagonal_iiT3_T4_lilT5_lili
    .private_segment_fixed_size: 208
    .sgpr_count:     49
    .sgpr_spill_count: 0
    .symbol:         _ZL30rocblas_trsm_small_left_deviceILi24ELi24ELb0EddPKdPdEv13rocblas_fill_18rocblas_operation_17rocblas_diagonal_iiT3_T4_lilT5_lili.kd
    .uniform_work_group_size: 1
    .uses_dynamic_stack: false
    .vgpr_count:     20
    .vgpr_spill_count: 0
    .wavefront_size: 32
  - .args:
      - .offset:         0
        .size:           4
        .value_kind:     by_value
      - .offset:         4
        .size:           4
        .value_kind:     by_value
      - .offset:         8
        .size:           4
        .value_kind:     by_value
      - .offset:         12
        .size:           4
        .value_kind:     by_value
      - .offset:         16
        .size:           4
        .value_kind:     by_value
      - .offset:         24
        .size:           8
        .value_kind:     by_value
      - .address_space:  global
        .offset:         32
        .size:           8
        .value_kind:     global_buffer
      - .offset:         40
        .size:           8
        .value_kind:     by_value
      - .offset:         48
        .size:           4
        .value_kind:     by_value
      - .offset:         56
        .size:           8
        .value_kind:     by_value
      - .address_space:  global
        .offset:         64
        .size:           8
        .value_kind:     global_buffer
      - .offset:         72
        .size:           8
        .value_kind:     by_value
      - .offset:         80
        .size:           4
        .value_kind:     by_value
      - .offset:         88
        .size:           8
        .value_kind:     by_value
      - .offset:         96
        .size:           4
        .value_kind:     by_value
      - .offset:         104
        .size:           4
        .value_kind:     hidden_block_count_x
      - .offset:         108
        .size:           4
        .value_kind:     hidden_block_count_y
      - .offset:         112
        .size:           4
        .value_kind:     hidden_block_count_z
      - .offset:         116
        .size:           2
        .value_kind:     hidden_group_size_x
      - .offset:         118
        .size:           2
        .value_kind:     hidden_group_size_y
      - .offset:         120
        .size:           2
        .value_kind:     hidden_group_size_z
      - .offset:         122
        .size:           2
        .value_kind:     hidden_remainder_x
      - .offset:         124
        .size:           2
        .value_kind:     hidden_remainder_y
      - .offset:         126
        .size:           2
        .value_kind:     hidden_remainder_z
      - .offset:         144
        .size:           8
        .value_kind:     hidden_global_offset_x
      - .offset:         152
        .size:           8
        .value_kind:     hidden_global_offset_y
      - .offset:         160
        .size:           8
        .value_kind:     hidden_global_offset_z
      - .offset:         168
        .size:           2
        .value_kind:     hidden_grid_dims
    .group_segment_fixed_size: 9216
    .kernarg_segment_align: 8
    .kernarg_segment_size: 360
    .language:       OpenCL C
    .language_version:
      - 2
      - 0
    .max_flat_workgroup_size: 24
    .name:           _ZL38rocblas_trsm_small_left_device_sharedBILi24ELi24ELb1EddPKdPdEv13rocblas_fill_18rocblas_operation_17rocblas_diagonal_iiT3_T4_lilT5_lili
    .private_segment_fixed_size: 208
    .sgpr_count:     40
    .sgpr_spill_count: 0
    .symbol:         _ZL38rocblas_trsm_small_left_device_sharedBILi24ELi24ELb1EddPKdPdEv13rocblas_fill_18rocblas_operation_17rocblas_diagonal_iiT3_T4_lilT5_lili.kd
    .uniform_work_group_size: 1
    .uses_dynamic_stack: false
    .vgpr_count:     18
    .vgpr_spill_count: 0
    .wavefront_size: 32
  - .args:
      - .offset:         0
        .size:           4
        .value_kind:     by_value
      - .offset:         4
        .size:           4
        .value_kind:     by_value
      - .offset:         8
        .size:           4
        .value_kind:     by_value
      - .offset:         12
        .size:           4
        .value_kind:     by_value
      - .offset:         16
        .size:           4
        .value_kind:     by_value
      - .offset:         24
        .size:           8
        .value_kind:     by_value
      - .address_space:  global
        .offset:         32
        .size:           8
        .value_kind:     global_buffer
      - .offset:         40
        .size:           8
        .value_kind:     by_value
      - .offset:         48
        .size:           4
        .value_kind:     by_value
      - .offset:         56
        .size:           8
        .value_kind:     by_value
      - .address_space:  global
        .offset:         64
        .size:           8
        .value_kind:     global_buffer
      - .offset:         72
        .size:           8
        .value_kind:     by_value
      - .offset:         80
        .size:           4
        .value_kind:     by_value
      - .offset:         88
        .size:           8
        .value_kind:     by_value
      - .offset:         96
        .size:           4
        .value_kind:     by_value
      - .offset:         104
        .size:           4
        .value_kind:     hidden_block_count_x
      - .offset:         108
        .size:           4
        .value_kind:     hidden_block_count_y
      - .offset:         112
        .size:           4
        .value_kind:     hidden_block_count_z
      - .offset:         116
        .size:           2
        .value_kind:     hidden_group_size_x
      - .offset:         118
        .size:           2
        .value_kind:     hidden_group_size_y
      - .offset:         120
        .size:           2
        .value_kind:     hidden_group_size_z
      - .offset:         122
        .size:           2
        .value_kind:     hidden_remainder_x
      - .offset:         124
        .size:           2
        .value_kind:     hidden_remainder_y
      - .offset:         126
        .size:           2
        .value_kind:     hidden_remainder_z
      - .offset:         144
        .size:           8
        .value_kind:     hidden_global_offset_x
      - .offset:         152
        .size:           8
        .value_kind:     hidden_global_offset_y
      - .offset:         160
        .size:           8
        .value_kind:     hidden_global_offset_z
      - .offset:         168
        .size:           2
        .value_kind:     hidden_grid_dims
    .group_segment_fixed_size: 4608
    .kernarg_segment_align: 8
    .kernarg_segment_size: 360
    .language:       OpenCL C
    .language_version:
      - 2
      - 0
    .max_flat_workgroup_size: 24
    .name:           _ZL30rocblas_trsm_small_left_deviceILi24ELi24ELb1EddPKdPdEv13rocblas_fill_18rocblas_operation_17rocblas_diagonal_iiT3_T4_lilT5_lili
    .private_segment_fixed_size: 208
    .sgpr_count:     47
    .sgpr_spill_count: 0
    .symbol:         _ZL30rocblas_trsm_small_left_deviceILi24ELi24ELb1EddPKdPdEv13rocblas_fill_18rocblas_operation_17rocblas_diagonal_iiT3_T4_lilT5_lili.kd
    .uniform_work_group_size: 1
    .uses_dynamic_stack: false
    .vgpr_count:     20
    .vgpr_spill_count: 0
    .wavefront_size: 32
  - .args:
      - .offset:         0
        .size:           4
        .value_kind:     by_value
      - .offset:         4
        .size:           4
        .value_kind:     by_value
      - .offset:         8
        .size:           4
        .value_kind:     by_value
      - .offset:         12
        .size:           4
        .value_kind:     by_value
      - .offset:         16
        .size:           4
        .value_kind:     by_value
      - .offset:         24
        .size:           8
        .value_kind:     by_value
      - .address_space:  global
        .offset:         32
        .size:           8
        .value_kind:     global_buffer
      - .offset:         40
        .size:           8
        .value_kind:     by_value
      - .offset:         48
        .size:           4
        .value_kind:     by_value
      - .offset:         56
        .size:           8
        .value_kind:     by_value
      - .address_space:  global
        .offset:         64
        .size:           8
        .value_kind:     global_buffer
      - .offset:         72
        .size:           8
        .value_kind:     by_value
      - .offset:         80
        .size:           4
        .value_kind:     by_value
      - .offset:         88
        .size:           8
        .value_kind:     by_value
      - .offset:         96
        .size:           4
        .value_kind:     by_value
      - .offset:         104
        .size:           4
        .value_kind:     hidden_block_count_x
      - .offset:         108
        .size:           4
        .value_kind:     hidden_block_count_y
      - .offset:         112
        .size:           4
        .value_kind:     hidden_block_count_z
      - .offset:         116
        .size:           2
        .value_kind:     hidden_group_size_x
      - .offset:         118
        .size:           2
        .value_kind:     hidden_group_size_y
      - .offset:         120
        .size:           2
        .value_kind:     hidden_group_size_z
      - .offset:         122
        .size:           2
        .value_kind:     hidden_remainder_x
      - .offset:         124
        .size:           2
        .value_kind:     hidden_remainder_y
      - .offset:         126
        .size:           2
        .value_kind:     hidden_remainder_z
      - .offset:         144
        .size:           8
        .value_kind:     hidden_global_offset_x
      - .offset:         152
        .size:           8
        .value_kind:     hidden_global_offset_y
      - .offset:         160
        .size:           8
        .value_kind:     hidden_global_offset_z
      - .offset:         168
        .size:           2
        .value_kind:     hidden_grid_dims
    .group_segment_fixed_size: 9216
    .kernarg_segment_align: 8
    .kernarg_segment_size: 360
    .language:       OpenCL C
    .language_version:
      - 2
      - 0
    .max_flat_workgroup_size: 24
    .name:           _ZL31rocblas_trsm_small_right_deviceIddPKdPdLi24EEv13rocblas_fill_18rocblas_operation_17rocblas_diagonal_iiT0_T1_lilT2_lili
    .private_segment_fixed_size: 0
    .sgpr_count:     40
    .sgpr_spill_count: 0
    .symbol:         _ZL31rocblas_trsm_small_right_deviceIddPKdPdLi24EEv13rocblas_fill_18rocblas_operation_17rocblas_diagonal_iiT0_T1_lilT2_lili.kd
    .uniform_work_group_size: 1
    .uses_dynamic_stack: false
    .vgpr_count:     44
    .vgpr_spill_count: 0
    .wavefront_size: 32
  - .args:
      - .offset:         0
        .size:           4
        .value_kind:     by_value
      - .offset:         4
        .size:           4
        .value_kind:     by_value
      - .offset:         8
        .size:           4
        .value_kind:     by_value
      - .offset:         12
        .size:           4
        .value_kind:     by_value
      - .offset:         16
        .size:           4
        .value_kind:     by_value
      - .offset:         24
        .size:           8
        .value_kind:     by_value
      - .address_space:  global
        .offset:         32
        .size:           8
        .value_kind:     global_buffer
      - .offset:         40
        .size:           8
        .value_kind:     by_value
      - .offset:         48
        .size:           4
        .value_kind:     by_value
      - .offset:         56
        .size:           8
        .value_kind:     by_value
      - .address_space:  global
        .offset:         64
        .size:           8
        .value_kind:     global_buffer
      - .offset:         72
        .size:           8
        .value_kind:     by_value
      - .offset:         80
        .size:           4
        .value_kind:     by_value
      - .offset:         88
        .size:           8
        .value_kind:     by_value
      - .offset:         96
        .size:           4
        .value_kind:     by_value
      - .offset:         104
        .size:           4
        .value_kind:     hidden_block_count_x
      - .offset:         108
        .size:           4
        .value_kind:     hidden_block_count_y
      - .offset:         112
        .size:           4
        .value_kind:     hidden_block_count_z
      - .offset:         116
        .size:           2
        .value_kind:     hidden_group_size_x
      - .offset:         118
        .size:           2
        .value_kind:     hidden_group_size_y
      - .offset:         120
        .size:           2
        .value_kind:     hidden_group_size_z
      - .offset:         122
        .size:           2
        .value_kind:     hidden_remainder_x
      - .offset:         124
        .size:           2
        .value_kind:     hidden_remainder_y
      - .offset:         126
        .size:           2
        .value_kind:     hidden_remainder_z
      - .offset:         144
        .size:           8
        .value_kind:     hidden_global_offset_x
      - .offset:         152
        .size:           8
        .value_kind:     hidden_global_offset_y
      - .offset:         160
        .size:           8
        .value_kind:     hidden_global_offset_z
      - .offset:         168
        .size:           2
        .value_kind:     hidden_grid_dims
    .group_segment_fixed_size: 12544
    .kernarg_segment_align: 8
    .kernarg_segment_size: 360
    .language:       OpenCL C
    .language_version:
      - 2
      - 0
    .max_flat_workgroup_size: 28
    .name:           _ZL38rocblas_trsm_small_left_device_sharedBILi28ELi28ELb0EddPKdPdEv13rocblas_fill_18rocblas_operation_17rocblas_diagonal_iiT3_T4_lilT5_lili
    .private_segment_fixed_size: 240
    .sgpr_count:     40
    .sgpr_spill_count: 0
    .symbol:         _ZL38rocblas_trsm_small_left_device_sharedBILi28ELi28ELb0EddPKdPdEv13rocblas_fill_18rocblas_operation_17rocblas_diagonal_iiT3_T4_lilT5_lili.kd
    .uniform_work_group_size: 1
    .uses_dynamic_stack: false
    .vgpr_count:     18
    .vgpr_spill_count: 0
    .wavefront_size: 32
  - .args:
      - .offset:         0
        .size:           4
        .value_kind:     by_value
      - .offset:         4
        .size:           4
        .value_kind:     by_value
      - .offset:         8
        .size:           4
        .value_kind:     by_value
      - .offset:         12
        .size:           4
        .value_kind:     by_value
      - .offset:         16
        .size:           4
        .value_kind:     by_value
      - .offset:         24
        .size:           8
        .value_kind:     by_value
      - .address_space:  global
        .offset:         32
        .size:           8
        .value_kind:     global_buffer
      - .offset:         40
        .size:           8
        .value_kind:     by_value
      - .offset:         48
        .size:           4
        .value_kind:     by_value
      - .offset:         56
        .size:           8
        .value_kind:     by_value
      - .address_space:  global
        .offset:         64
        .size:           8
        .value_kind:     global_buffer
      - .offset:         72
        .size:           8
        .value_kind:     by_value
      - .offset:         80
        .size:           4
        .value_kind:     by_value
      - .offset:         88
        .size:           8
        .value_kind:     by_value
      - .offset:         96
        .size:           4
        .value_kind:     by_value
      - .offset:         104
        .size:           4
        .value_kind:     hidden_block_count_x
      - .offset:         108
        .size:           4
        .value_kind:     hidden_block_count_y
      - .offset:         112
        .size:           4
        .value_kind:     hidden_block_count_z
      - .offset:         116
        .size:           2
        .value_kind:     hidden_group_size_x
      - .offset:         118
        .size:           2
        .value_kind:     hidden_group_size_y
      - .offset:         120
        .size:           2
        .value_kind:     hidden_group_size_z
      - .offset:         122
        .size:           2
        .value_kind:     hidden_remainder_x
      - .offset:         124
        .size:           2
        .value_kind:     hidden_remainder_y
      - .offset:         126
        .size:           2
        .value_kind:     hidden_remainder_z
      - .offset:         144
        .size:           8
        .value_kind:     hidden_global_offset_x
      - .offset:         152
        .size:           8
        .value_kind:     hidden_global_offset_y
      - .offset:         160
        .size:           8
        .value_kind:     hidden_global_offset_z
      - .offset:         168
        .size:           2
        .value_kind:     hidden_grid_dims
    .group_segment_fixed_size: 6272
    .kernarg_segment_align: 8
    .kernarg_segment_size: 360
    .language:       OpenCL C
    .language_version:
      - 2
      - 0
    .max_flat_workgroup_size: 28
    .name:           _ZL30rocblas_trsm_small_left_deviceILi28ELi28ELb0EddPKdPdEv13rocblas_fill_18rocblas_operation_17rocblas_diagonal_iiT3_T4_lilT5_lili
    .private_segment_fixed_size: 240
    .sgpr_count:     49
    .sgpr_spill_count: 0
    .symbol:         _ZL30rocblas_trsm_small_left_deviceILi28ELi28ELb0EddPKdPdEv13rocblas_fill_18rocblas_operation_17rocblas_diagonal_iiT3_T4_lilT5_lili.kd
    .uniform_work_group_size: 1
    .uses_dynamic_stack: false
    .vgpr_count:     20
    .vgpr_spill_count: 0
    .wavefront_size: 32
  - .args:
      - .offset:         0
        .size:           4
        .value_kind:     by_value
      - .offset:         4
        .size:           4
        .value_kind:     by_value
      - .offset:         8
        .size:           4
        .value_kind:     by_value
      - .offset:         12
        .size:           4
        .value_kind:     by_value
      - .offset:         16
        .size:           4
        .value_kind:     by_value
      - .offset:         24
        .size:           8
        .value_kind:     by_value
      - .address_space:  global
        .offset:         32
        .size:           8
        .value_kind:     global_buffer
      - .offset:         40
        .size:           8
        .value_kind:     by_value
      - .offset:         48
        .size:           4
        .value_kind:     by_value
      - .offset:         56
        .size:           8
        .value_kind:     by_value
      - .address_space:  global
        .offset:         64
        .size:           8
        .value_kind:     global_buffer
      - .offset:         72
        .size:           8
        .value_kind:     by_value
      - .offset:         80
        .size:           4
        .value_kind:     by_value
      - .offset:         88
        .size:           8
        .value_kind:     by_value
      - .offset:         96
        .size:           4
        .value_kind:     by_value
      - .offset:         104
        .size:           4
        .value_kind:     hidden_block_count_x
      - .offset:         108
        .size:           4
        .value_kind:     hidden_block_count_y
      - .offset:         112
        .size:           4
        .value_kind:     hidden_block_count_z
      - .offset:         116
        .size:           2
        .value_kind:     hidden_group_size_x
      - .offset:         118
        .size:           2
        .value_kind:     hidden_group_size_y
      - .offset:         120
        .size:           2
        .value_kind:     hidden_group_size_z
      - .offset:         122
        .size:           2
        .value_kind:     hidden_remainder_x
      - .offset:         124
        .size:           2
        .value_kind:     hidden_remainder_y
      - .offset:         126
        .size:           2
        .value_kind:     hidden_remainder_z
      - .offset:         144
        .size:           8
        .value_kind:     hidden_global_offset_x
      - .offset:         152
        .size:           8
        .value_kind:     hidden_global_offset_y
      - .offset:         160
        .size:           8
        .value_kind:     hidden_global_offset_z
      - .offset:         168
        .size:           2
        .value_kind:     hidden_grid_dims
    .group_segment_fixed_size: 12544
    .kernarg_segment_align: 8
    .kernarg_segment_size: 360
    .language:       OpenCL C
    .language_version:
      - 2
      - 0
    .max_flat_workgroup_size: 28
    .name:           _ZL38rocblas_trsm_small_left_device_sharedBILi28ELi28ELb1EddPKdPdEv13rocblas_fill_18rocblas_operation_17rocblas_diagonal_iiT3_T4_lilT5_lili
    .private_segment_fixed_size: 240
    .sgpr_count:     40
    .sgpr_spill_count: 0
    .symbol:         _ZL38rocblas_trsm_small_left_device_sharedBILi28ELi28ELb1EddPKdPdEv13rocblas_fill_18rocblas_operation_17rocblas_diagonal_iiT3_T4_lilT5_lili.kd
    .uniform_work_group_size: 1
    .uses_dynamic_stack: false
    .vgpr_count:     18
    .vgpr_spill_count: 0
    .wavefront_size: 32
  - .args:
      - .offset:         0
        .size:           4
        .value_kind:     by_value
      - .offset:         4
        .size:           4
        .value_kind:     by_value
      - .offset:         8
        .size:           4
        .value_kind:     by_value
      - .offset:         12
        .size:           4
        .value_kind:     by_value
      - .offset:         16
        .size:           4
        .value_kind:     by_value
      - .offset:         24
        .size:           8
        .value_kind:     by_value
      - .address_space:  global
        .offset:         32
        .size:           8
        .value_kind:     global_buffer
      - .offset:         40
        .size:           8
        .value_kind:     by_value
      - .offset:         48
        .size:           4
        .value_kind:     by_value
      - .offset:         56
        .size:           8
        .value_kind:     by_value
      - .address_space:  global
        .offset:         64
        .size:           8
        .value_kind:     global_buffer
      - .offset:         72
        .size:           8
        .value_kind:     by_value
      - .offset:         80
        .size:           4
        .value_kind:     by_value
      - .offset:         88
        .size:           8
        .value_kind:     by_value
      - .offset:         96
        .size:           4
        .value_kind:     by_value
      - .offset:         104
        .size:           4
        .value_kind:     hidden_block_count_x
      - .offset:         108
        .size:           4
        .value_kind:     hidden_block_count_y
      - .offset:         112
        .size:           4
        .value_kind:     hidden_block_count_z
      - .offset:         116
        .size:           2
        .value_kind:     hidden_group_size_x
      - .offset:         118
        .size:           2
        .value_kind:     hidden_group_size_y
      - .offset:         120
        .size:           2
        .value_kind:     hidden_group_size_z
      - .offset:         122
        .size:           2
        .value_kind:     hidden_remainder_x
      - .offset:         124
        .size:           2
        .value_kind:     hidden_remainder_y
      - .offset:         126
        .size:           2
        .value_kind:     hidden_remainder_z
      - .offset:         144
        .size:           8
        .value_kind:     hidden_global_offset_x
      - .offset:         152
        .size:           8
        .value_kind:     hidden_global_offset_y
      - .offset:         160
        .size:           8
        .value_kind:     hidden_global_offset_z
      - .offset:         168
        .size:           2
        .value_kind:     hidden_grid_dims
    .group_segment_fixed_size: 6272
    .kernarg_segment_align: 8
    .kernarg_segment_size: 360
    .language:       OpenCL C
    .language_version:
      - 2
      - 0
    .max_flat_workgroup_size: 28
    .name:           _ZL30rocblas_trsm_small_left_deviceILi28ELi28ELb1EddPKdPdEv13rocblas_fill_18rocblas_operation_17rocblas_diagonal_iiT3_T4_lilT5_lili
    .private_segment_fixed_size: 240
    .sgpr_count:     47
    .sgpr_spill_count: 0
    .symbol:         _ZL30rocblas_trsm_small_left_deviceILi28ELi28ELb1EddPKdPdEv13rocblas_fill_18rocblas_operation_17rocblas_diagonal_iiT3_T4_lilT5_lili.kd
    .uniform_work_group_size: 1
    .uses_dynamic_stack: false
    .vgpr_count:     20
    .vgpr_spill_count: 0
    .wavefront_size: 32
  - .args:
      - .offset:         0
        .size:           4
        .value_kind:     by_value
      - .offset:         4
        .size:           4
        .value_kind:     by_value
      - .offset:         8
        .size:           4
        .value_kind:     by_value
      - .offset:         12
        .size:           4
        .value_kind:     by_value
      - .offset:         16
        .size:           4
        .value_kind:     by_value
      - .offset:         24
        .size:           8
        .value_kind:     by_value
      - .address_space:  global
        .offset:         32
        .size:           8
        .value_kind:     global_buffer
      - .offset:         40
        .size:           8
        .value_kind:     by_value
      - .offset:         48
        .size:           4
        .value_kind:     by_value
      - .offset:         56
        .size:           8
        .value_kind:     by_value
      - .address_space:  global
        .offset:         64
        .size:           8
        .value_kind:     global_buffer
      - .offset:         72
        .size:           8
        .value_kind:     by_value
      - .offset:         80
        .size:           4
        .value_kind:     by_value
      - .offset:         88
        .size:           8
        .value_kind:     by_value
      - .offset:         96
        .size:           4
        .value_kind:     by_value
      - .offset:         104
        .size:           4
        .value_kind:     hidden_block_count_x
      - .offset:         108
        .size:           4
        .value_kind:     hidden_block_count_y
      - .offset:         112
        .size:           4
        .value_kind:     hidden_block_count_z
      - .offset:         116
        .size:           2
        .value_kind:     hidden_group_size_x
      - .offset:         118
        .size:           2
        .value_kind:     hidden_group_size_y
      - .offset:         120
        .size:           2
        .value_kind:     hidden_group_size_z
      - .offset:         122
        .size:           2
        .value_kind:     hidden_remainder_x
      - .offset:         124
        .size:           2
        .value_kind:     hidden_remainder_y
      - .offset:         126
        .size:           2
        .value_kind:     hidden_remainder_z
      - .offset:         144
        .size:           8
        .value_kind:     hidden_global_offset_x
      - .offset:         152
        .size:           8
        .value_kind:     hidden_global_offset_y
      - .offset:         160
        .size:           8
        .value_kind:     hidden_global_offset_z
      - .offset:         168
        .size:           2
        .value_kind:     hidden_grid_dims
    .group_segment_fixed_size: 12544
    .kernarg_segment_align: 8
    .kernarg_segment_size: 360
    .language:       OpenCL C
    .language_version:
      - 2
      - 0
    .max_flat_workgroup_size: 28
    .name:           _ZL31rocblas_trsm_small_right_deviceIddPKdPdLi28EEv13rocblas_fill_18rocblas_operation_17rocblas_diagonal_iiT0_T1_lilT2_lili
    .private_segment_fixed_size: 0
    .sgpr_count:     40
    .sgpr_spill_count: 0
    .symbol:         _ZL31rocblas_trsm_small_right_deviceIddPKdPdLi28EEv13rocblas_fill_18rocblas_operation_17rocblas_diagonal_iiT0_T1_lilT2_lili.kd
    .uniform_work_group_size: 1
    .uses_dynamic_stack: false
    .vgpr_count:     44
    .vgpr_spill_count: 0
    .wavefront_size: 32
  - .args:
      - .offset:         0
        .size:           4
        .value_kind:     by_value
      - .offset:         4
        .size:           4
        .value_kind:     by_value
      - .offset:         8
        .size:           4
        .value_kind:     by_value
      - .offset:         12
        .size:           4
        .value_kind:     by_value
      - .offset:         16
        .size:           4
        .value_kind:     by_value
      - .offset:         24
        .size:           8
        .value_kind:     by_value
      - .address_space:  global
        .offset:         32
        .size:           8
        .value_kind:     global_buffer
      - .offset:         40
        .size:           8
        .value_kind:     by_value
      - .offset:         48
        .size:           4
        .value_kind:     by_value
      - .offset:         56
        .size:           8
        .value_kind:     by_value
      - .address_space:  global
        .offset:         64
        .size:           8
        .value_kind:     global_buffer
      - .offset:         72
        .size:           8
        .value_kind:     by_value
      - .offset:         80
        .size:           4
        .value_kind:     by_value
      - .offset:         88
        .size:           8
        .value_kind:     by_value
      - .offset:         96
        .size:           4
        .value_kind:     by_value
      - .offset:         104
        .size:           4
        .value_kind:     hidden_block_count_x
      - .offset:         108
        .size:           4
        .value_kind:     hidden_block_count_y
      - .offset:         112
        .size:           4
        .value_kind:     hidden_block_count_z
      - .offset:         116
        .size:           2
        .value_kind:     hidden_group_size_x
      - .offset:         118
        .size:           2
        .value_kind:     hidden_group_size_y
      - .offset:         120
        .size:           2
        .value_kind:     hidden_group_size_z
      - .offset:         122
        .size:           2
        .value_kind:     hidden_remainder_x
      - .offset:         124
        .size:           2
        .value_kind:     hidden_remainder_y
      - .offset:         126
        .size:           2
        .value_kind:     hidden_remainder_z
      - .offset:         144
        .size:           8
        .value_kind:     hidden_global_offset_x
      - .offset:         152
        .size:           8
        .value_kind:     hidden_global_offset_y
      - .offset:         160
        .size:           8
        .value_kind:     hidden_global_offset_z
      - .offset:         168
        .size:           2
        .value_kind:     hidden_grid_dims
    .group_segment_fixed_size: 16384
    .kernarg_segment_align: 8
    .kernarg_segment_size: 360
    .language:       OpenCL C
    .language_version:
      - 2
      - 0
    .max_flat_workgroup_size: 32
    .name:           _ZL38rocblas_trsm_small_left_device_sharedBILi32ELi32ELb0EddPKdPdEv13rocblas_fill_18rocblas_operation_17rocblas_diagonal_iiT3_T4_lilT5_lili
    .private_segment_fixed_size: 272
    .sgpr_count:     40
    .sgpr_spill_count: 0
    .symbol:         _ZL38rocblas_trsm_small_left_device_sharedBILi32ELi32ELb0EddPKdPdEv13rocblas_fill_18rocblas_operation_17rocblas_diagonal_iiT3_T4_lilT5_lili.kd
    .uniform_work_group_size: 1
    .uses_dynamic_stack: false
    .vgpr_count:     18
    .vgpr_spill_count: 0
    .wavefront_size: 32
  - .args:
      - .offset:         0
        .size:           4
        .value_kind:     by_value
      - .offset:         4
        .size:           4
        .value_kind:     by_value
      - .offset:         8
        .size:           4
        .value_kind:     by_value
      - .offset:         12
        .size:           4
        .value_kind:     by_value
      - .offset:         16
        .size:           4
        .value_kind:     by_value
      - .offset:         24
        .size:           8
        .value_kind:     by_value
      - .address_space:  global
        .offset:         32
        .size:           8
        .value_kind:     global_buffer
      - .offset:         40
        .size:           8
        .value_kind:     by_value
      - .offset:         48
        .size:           4
        .value_kind:     by_value
      - .offset:         56
        .size:           8
        .value_kind:     by_value
      - .address_space:  global
        .offset:         64
        .size:           8
        .value_kind:     global_buffer
      - .offset:         72
        .size:           8
        .value_kind:     by_value
      - .offset:         80
        .size:           4
        .value_kind:     by_value
      - .offset:         88
        .size:           8
        .value_kind:     by_value
      - .offset:         96
        .size:           4
        .value_kind:     by_value
      - .offset:         104
        .size:           4
        .value_kind:     hidden_block_count_x
      - .offset:         108
        .size:           4
        .value_kind:     hidden_block_count_y
      - .offset:         112
        .size:           4
        .value_kind:     hidden_block_count_z
      - .offset:         116
        .size:           2
        .value_kind:     hidden_group_size_x
      - .offset:         118
        .size:           2
        .value_kind:     hidden_group_size_y
      - .offset:         120
        .size:           2
        .value_kind:     hidden_group_size_z
      - .offset:         122
        .size:           2
        .value_kind:     hidden_remainder_x
      - .offset:         124
        .size:           2
        .value_kind:     hidden_remainder_y
      - .offset:         126
        .size:           2
        .value_kind:     hidden_remainder_z
      - .offset:         144
        .size:           8
        .value_kind:     hidden_global_offset_x
      - .offset:         152
        .size:           8
        .value_kind:     hidden_global_offset_y
      - .offset:         160
        .size:           8
        .value_kind:     hidden_global_offset_z
      - .offset:         168
        .size:           2
        .value_kind:     hidden_grid_dims
    .group_segment_fixed_size: 8192
    .kernarg_segment_align: 8
    .kernarg_segment_size: 360
    .language:       OpenCL C
    .language_version:
      - 2
      - 0
    .max_flat_workgroup_size: 32
    .name:           _ZL30rocblas_trsm_small_left_deviceILi32ELi32ELb0EddPKdPdEv13rocblas_fill_18rocblas_operation_17rocblas_diagonal_iiT3_T4_lilT5_lili
    .private_segment_fixed_size: 272
    .sgpr_count:     49
    .sgpr_spill_count: 0
    .symbol:         _ZL30rocblas_trsm_small_left_deviceILi32ELi32ELb0EddPKdPdEv13rocblas_fill_18rocblas_operation_17rocblas_diagonal_iiT3_T4_lilT5_lili.kd
    .uniform_work_group_size: 1
    .uses_dynamic_stack: false
    .vgpr_count:     20
    .vgpr_spill_count: 0
    .wavefront_size: 32
  - .args:
      - .offset:         0
        .size:           4
        .value_kind:     by_value
      - .offset:         4
        .size:           4
        .value_kind:     by_value
      - .offset:         8
        .size:           4
        .value_kind:     by_value
      - .offset:         12
        .size:           4
        .value_kind:     by_value
      - .offset:         16
        .size:           4
        .value_kind:     by_value
      - .offset:         24
        .size:           8
        .value_kind:     by_value
      - .address_space:  global
        .offset:         32
        .size:           8
        .value_kind:     global_buffer
      - .offset:         40
        .size:           8
        .value_kind:     by_value
      - .offset:         48
        .size:           4
        .value_kind:     by_value
      - .offset:         56
        .size:           8
        .value_kind:     by_value
      - .address_space:  global
        .offset:         64
        .size:           8
        .value_kind:     global_buffer
      - .offset:         72
        .size:           8
        .value_kind:     by_value
      - .offset:         80
        .size:           4
        .value_kind:     by_value
      - .offset:         88
        .size:           8
        .value_kind:     by_value
      - .offset:         96
        .size:           4
        .value_kind:     by_value
      - .offset:         104
        .size:           4
        .value_kind:     hidden_block_count_x
      - .offset:         108
        .size:           4
        .value_kind:     hidden_block_count_y
      - .offset:         112
        .size:           4
        .value_kind:     hidden_block_count_z
      - .offset:         116
        .size:           2
        .value_kind:     hidden_group_size_x
      - .offset:         118
        .size:           2
        .value_kind:     hidden_group_size_y
      - .offset:         120
        .size:           2
        .value_kind:     hidden_group_size_z
      - .offset:         122
        .size:           2
        .value_kind:     hidden_remainder_x
      - .offset:         124
        .size:           2
        .value_kind:     hidden_remainder_y
      - .offset:         126
        .size:           2
        .value_kind:     hidden_remainder_z
      - .offset:         144
        .size:           8
        .value_kind:     hidden_global_offset_x
      - .offset:         152
        .size:           8
        .value_kind:     hidden_global_offset_y
      - .offset:         160
        .size:           8
        .value_kind:     hidden_global_offset_z
      - .offset:         168
        .size:           2
        .value_kind:     hidden_grid_dims
    .group_segment_fixed_size: 16384
    .kernarg_segment_align: 8
    .kernarg_segment_size: 360
    .language:       OpenCL C
    .language_version:
      - 2
      - 0
    .max_flat_workgroup_size: 32
    .name:           _ZL38rocblas_trsm_small_left_device_sharedBILi32ELi32ELb1EddPKdPdEv13rocblas_fill_18rocblas_operation_17rocblas_diagonal_iiT3_T4_lilT5_lili
    .private_segment_fixed_size: 272
    .sgpr_count:     40
    .sgpr_spill_count: 0
    .symbol:         _ZL38rocblas_trsm_small_left_device_sharedBILi32ELi32ELb1EddPKdPdEv13rocblas_fill_18rocblas_operation_17rocblas_diagonal_iiT3_T4_lilT5_lili.kd
    .uniform_work_group_size: 1
    .uses_dynamic_stack: false
    .vgpr_count:     18
    .vgpr_spill_count: 0
    .wavefront_size: 32
  - .args:
      - .offset:         0
        .size:           4
        .value_kind:     by_value
      - .offset:         4
        .size:           4
        .value_kind:     by_value
      - .offset:         8
        .size:           4
        .value_kind:     by_value
      - .offset:         12
        .size:           4
        .value_kind:     by_value
      - .offset:         16
        .size:           4
        .value_kind:     by_value
      - .offset:         24
        .size:           8
        .value_kind:     by_value
      - .address_space:  global
        .offset:         32
        .size:           8
        .value_kind:     global_buffer
      - .offset:         40
        .size:           8
        .value_kind:     by_value
      - .offset:         48
        .size:           4
        .value_kind:     by_value
      - .offset:         56
        .size:           8
        .value_kind:     by_value
      - .address_space:  global
        .offset:         64
        .size:           8
        .value_kind:     global_buffer
      - .offset:         72
        .size:           8
        .value_kind:     by_value
      - .offset:         80
        .size:           4
        .value_kind:     by_value
      - .offset:         88
        .size:           8
        .value_kind:     by_value
      - .offset:         96
        .size:           4
        .value_kind:     by_value
      - .offset:         104
        .size:           4
        .value_kind:     hidden_block_count_x
      - .offset:         108
        .size:           4
        .value_kind:     hidden_block_count_y
      - .offset:         112
        .size:           4
        .value_kind:     hidden_block_count_z
      - .offset:         116
        .size:           2
        .value_kind:     hidden_group_size_x
      - .offset:         118
        .size:           2
        .value_kind:     hidden_group_size_y
      - .offset:         120
        .size:           2
        .value_kind:     hidden_group_size_z
      - .offset:         122
        .size:           2
        .value_kind:     hidden_remainder_x
      - .offset:         124
        .size:           2
        .value_kind:     hidden_remainder_y
      - .offset:         126
        .size:           2
        .value_kind:     hidden_remainder_z
      - .offset:         144
        .size:           8
        .value_kind:     hidden_global_offset_x
      - .offset:         152
        .size:           8
        .value_kind:     hidden_global_offset_y
      - .offset:         160
        .size:           8
        .value_kind:     hidden_global_offset_z
      - .offset:         168
        .size:           2
        .value_kind:     hidden_grid_dims
    .group_segment_fixed_size: 8192
    .kernarg_segment_align: 8
    .kernarg_segment_size: 360
    .language:       OpenCL C
    .language_version:
      - 2
      - 0
    .max_flat_workgroup_size: 32
    .name:           _ZL30rocblas_trsm_small_left_deviceILi32ELi32ELb1EddPKdPdEv13rocblas_fill_18rocblas_operation_17rocblas_diagonal_iiT3_T4_lilT5_lili
    .private_segment_fixed_size: 272
    .sgpr_count:     47
    .sgpr_spill_count: 0
    .symbol:         _ZL30rocblas_trsm_small_left_deviceILi32ELi32ELb1EddPKdPdEv13rocblas_fill_18rocblas_operation_17rocblas_diagonal_iiT3_T4_lilT5_lili.kd
    .uniform_work_group_size: 1
    .uses_dynamic_stack: false
    .vgpr_count:     20
    .vgpr_spill_count: 0
    .wavefront_size: 32
  - .args:
      - .offset:         0
        .size:           4
        .value_kind:     by_value
      - .offset:         4
        .size:           4
        .value_kind:     by_value
      - .offset:         8
        .size:           4
        .value_kind:     by_value
      - .offset:         12
        .size:           4
        .value_kind:     by_value
      - .offset:         16
        .size:           4
        .value_kind:     by_value
      - .offset:         24
        .size:           8
        .value_kind:     by_value
      - .address_space:  global
        .offset:         32
        .size:           8
        .value_kind:     global_buffer
      - .offset:         40
        .size:           8
        .value_kind:     by_value
      - .offset:         48
        .size:           4
        .value_kind:     by_value
      - .offset:         56
        .size:           8
        .value_kind:     by_value
      - .address_space:  global
        .offset:         64
        .size:           8
        .value_kind:     global_buffer
      - .offset:         72
        .size:           8
        .value_kind:     by_value
      - .offset:         80
        .size:           4
        .value_kind:     by_value
      - .offset:         88
        .size:           8
        .value_kind:     by_value
      - .offset:         96
        .size:           4
        .value_kind:     by_value
      - .offset:         104
        .size:           4
        .value_kind:     hidden_block_count_x
      - .offset:         108
        .size:           4
        .value_kind:     hidden_block_count_y
      - .offset:         112
        .size:           4
        .value_kind:     hidden_block_count_z
      - .offset:         116
        .size:           2
        .value_kind:     hidden_group_size_x
      - .offset:         118
        .size:           2
        .value_kind:     hidden_group_size_y
      - .offset:         120
        .size:           2
        .value_kind:     hidden_group_size_z
      - .offset:         122
        .size:           2
        .value_kind:     hidden_remainder_x
      - .offset:         124
        .size:           2
        .value_kind:     hidden_remainder_y
      - .offset:         126
        .size:           2
        .value_kind:     hidden_remainder_z
      - .offset:         144
        .size:           8
        .value_kind:     hidden_global_offset_x
      - .offset:         152
        .size:           8
        .value_kind:     hidden_global_offset_y
      - .offset:         160
        .size:           8
        .value_kind:     hidden_global_offset_z
      - .offset:         168
        .size:           2
        .value_kind:     hidden_grid_dims
    .group_segment_fixed_size: 16384
    .kernarg_segment_align: 8
    .kernarg_segment_size: 360
    .language:       OpenCL C
    .language_version:
      - 2
      - 0
    .max_flat_workgroup_size: 32
    .name:           _ZL31rocblas_trsm_small_right_deviceIddPKdPdLi32EEv13rocblas_fill_18rocblas_operation_17rocblas_diagonal_iiT0_T1_lilT2_lili
    .private_segment_fixed_size: 0
    .sgpr_count:     40
    .sgpr_spill_count: 0
    .symbol:         _ZL31rocblas_trsm_small_right_deviceIddPKdPdLi32EEv13rocblas_fill_18rocblas_operation_17rocblas_diagonal_iiT0_T1_lilT2_lili.kd
    .uniform_work_group_size: 1
    .uses_dynamic_stack: false
    .vgpr_count:     46
    .vgpr_spill_count: 0
    .wavefront_size: 32
  - .args:
      - .offset:         0
        .size:           4
        .value_kind:     by_value
      - .offset:         4
        .size:           4
        .value_kind:     by_value
      - .offset:         8
        .size:           4
        .value_kind:     by_value
      - .offset:         12
        .size:           4
        .value_kind:     by_value
      - .offset:         16
        .size:           4
        .value_kind:     by_value
      - .offset:         24
        .size:           8
        .value_kind:     by_value
      - .address_space:  global
        .offset:         32
        .size:           8
        .value_kind:     global_buffer
      - .offset:         40
        .size:           8
        .value_kind:     by_value
      - .offset:         48
        .size:           4
        .value_kind:     by_value
      - .offset:         56
        .size:           8
        .value_kind:     by_value
      - .address_space:  global
        .offset:         64
        .size:           8
        .value_kind:     global_buffer
      - .offset:         72
        .size:           8
        .value_kind:     by_value
      - .offset:         80
        .size:           4
        .value_kind:     by_value
      - .offset:         88
        .size:           8
        .value_kind:     by_value
      - .offset:         96
        .size:           4
        .value_kind:     by_value
      - .offset:         104
        .size:           4
        .value_kind:     hidden_block_count_x
      - .offset:         108
        .size:           4
        .value_kind:     hidden_block_count_y
      - .offset:         112
        .size:           4
        .value_kind:     hidden_block_count_z
      - .offset:         116
        .size:           2
        .value_kind:     hidden_group_size_x
      - .offset:         118
        .size:           2
        .value_kind:     hidden_group_size_y
      - .offset:         120
        .size:           2
        .value_kind:     hidden_group_size_z
      - .offset:         122
        .size:           2
        .value_kind:     hidden_remainder_x
      - .offset:         124
        .size:           2
        .value_kind:     hidden_remainder_y
      - .offset:         126
        .size:           2
        .value_kind:     hidden_remainder_z
      - .offset:         144
        .size:           8
        .value_kind:     hidden_global_offset_x
      - .offset:         152
        .size:           8
        .value_kind:     hidden_global_offset_y
      - .offset:         160
        .size:           8
        .value_kind:     hidden_global_offset_z
      - .offset:         168
        .size:           2
        .value_kind:     hidden_grid_dims
    .group_segment_fixed_size: 65536
    .kernarg_segment_align: 8
    .kernarg_segment_size: 360
    .language:       OpenCL C
    .language_version:
      - 2
      - 0
    .max_flat_workgroup_size: 64
    .name:           _ZL38rocblas_trsm_small_left_device_sharedBILi64ELi32ELb0EddPKdPdEv13rocblas_fill_18rocblas_operation_17rocblas_diagonal_iiT3_T4_lilT5_lili
    .private_segment_fixed_size: 272
    .sgpr_count:     40
    .sgpr_spill_count: 0
    .symbol:         _ZL38rocblas_trsm_small_left_device_sharedBILi64ELi32ELb0EddPKdPdEv13rocblas_fill_18rocblas_operation_17rocblas_diagonal_iiT3_T4_lilT5_lili.kd
    .uniform_work_group_size: 1
    .uses_dynamic_stack: false
    .vgpr_count:     18
    .vgpr_spill_count: 0
    .wavefront_size: 32
  - .args:
      - .offset:         0
        .size:           4
        .value_kind:     by_value
      - .offset:         4
        .size:           4
        .value_kind:     by_value
      - .offset:         8
        .size:           4
        .value_kind:     by_value
      - .offset:         12
        .size:           4
        .value_kind:     by_value
      - .offset:         16
        .size:           4
        .value_kind:     by_value
      - .offset:         24
        .size:           8
        .value_kind:     by_value
      - .address_space:  global
        .offset:         32
        .size:           8
        .value_kind:     global_buffer
      - .offset:         40
        .size:           8
        .value_kind:     by_value
      - .offset:         48
        .size:           4
        .value_kind:     by_value
      - .offset:         56
        .size:           8
        .value_kind:     by_value
      - .address_space:  global
        .offset:         64
        .size:           8
        .value_kind:     global_buffer
      - .offset:         72
        .size:           8
        .value_kind:     by_value
      - .offset:         80
        .size:           4
        .value_kind:     by_value
      - .offset:         88
        .size:           8
        .value_kind:     by_value
      - .offset:         96
        .size:           4
        .value_kind:     by_value
      - .offset:         104
        .size:           4
        .value_kind:     hidden_block_count_x
      - .offset:         108
        .size:           4
        .value_kind:     hidden_block_count_y
      - .offset:         112
        .size:           4
        .value_kind:     hidden_block_count_z
      - .offset:         116
        .size:           2
        .value_kind:     hidden_group_size_x
      - .offset:         118
        .size:           2
        .value_kind:     hidden_group_size_y
      - .offset:         120
        .size:           2
        .value_kind:     hidden_group_size_z
      - .offset:         122
        .size:           2
        .value_kind:     hidden_remainder_x
      - .offset:         124
        .size:           2
        .value_kind:     hidden_remainder_y
      - .offset:         126
        .size:           2
        .value_kind:     hidden_remainder_z
      - .offset:         144
        .size:           8
        .value_kind:     hidden_global_offset_x
      - .offset:         152
        .size:           8
        .value_kind:     hidden_global_offset_y
      - .offset:         160
        .size:           8
        .value_kind:     hidden_global_offset_z
      - .offset:         168
        .size:           2
        .value_kind:     hidden_grid_dims
    .group_segment_fixed_size: 32768
    .kernarg_segment_align: 8
    .kernarg_segment_size: 360
    .language:       OpenCL C
    .language_version:
      - 2
      - 0
    .max_flat_workgroup_size: 64
    .name:           _ZL30rocblas_trsm_small_left_deviceILi64ELi32ELb0EddPKdPdEv13rocblas_fill_18rocblas_operation_17rocblas_diagonal_iiT3_T4_lilT5_lili
    .private_segment_fixed_size: 272
    .sgpr_count:     49
    .sgpr_spill_count: 0
    .symbol:         _ZL30rocblas_trsm_small_left_deviceILi64ELi32ELb0EddPKdPdEv13rocblas_fill_18rocblas_operation_17rocblas_diagonal_iiT3_T4_lilT5_lili.kd
    .uniform_work_group_size: 1
    .uses_dynamic_stack: false
    .vgpr_count:     20
    .vgpr_spill_count: 0
    .wavefront_size: 32
  - .args:
      - .offset:         0
        .size:           4
        .value_kind:     by_value
      - .offset:         4
        .size:           4
        .value_kind:     by_value
      - .offset:         8
        .size:           4
        .value_kind:     by_value
      - .offset:         12
        .size:           4
        .value_kind:     by_value
      - .offset:         16
        .size:           4
        .value_kind:     by_value
      - .offset:         24
        .size:           8
        .value_kind:     by_value
      - .address_space:  global
        .offset:         32
        .size:           8
        .value_kind:     global_buffer
      - .offset:         40
        .size:           8
        .value_kind:     by_value
      - .offset:         48
        .size:           4
        .value_kind:     by_value
      - .offset:         56
        .size:           8
        .value_kind:     by_value
      - .address_space:  global
        .offset:         64
        .size:           8
        .value_kind:     global_buffer
      - .offset:         72
        .size:           8
        .value_kind:     by_value
      - .offset:         80
        .size:           4
        .value_kind:     by_value
      - .offset:         88
        .size:           8
        .value_kind:     by_value
      - .offset:         96
        .size:           4
        .value_kind:     by_value
      - .offset:         104
        .size:           4
        .value_kind:     hidden_block_count_x
      - .offset:         108
        .size:           4
        .value_kind:     hidden_block_count_y
      - .offset:         112
        .size:           4
        .value_kind:     hidden_block_count_z
      - .offset:         116
        .size:           2
        .value_kind:     hidden_group_size_x
      - .offset:         118
        .size:           2
        .value_kind:     hidden_group_size_y
      - .offset:         120
        .size:           2
        .value_kind:     hidden_group_size_z
      - .offset:         122
        .size:           2
        .value_kind:     hidden_remainder_x
      - .offset:         124
        .size:           2
        .value_kind:     hidden_remainder_y
      - .offset:         126
        .size:           2
        .value_kind:     hidden_remainder_z
      - .offset:         144
        .size:           8
        .value_kind:     hidden_global_offset_x
      - .offset:         152
        .size:           8
        .value_kind:     hidden_global_offset_y
      - .offset:         160
        .size:           8
        .value_kind:     hidden_global_offset_z
      - .offset:         168
        .size:           2
        .value_kind:     hidden_grid_dims
    .group_segment_fixed_size: 65536
    .kernarg_segment_align: 8
    .kernarg_segment_size: 360
    .language:       OpenCL C
    .language_version:
      - 2
      - 0
    .max_flat_workgroup_size: 64
    .name:           _ZL38rocblas_trsm_small_left_device_sharedBILi64ELi32ELb1EddPKdPdEv13rocblas_fill_18rocblas_operation_17rocblas_diagonal_iiT3_T4_lilT5_lili
    .private_segment_fixed_size: 272
    .sgpr_count:     40
    .sgpr_spill_count: 0
    .symbol:         _ZL38rocblas_trsm_small_left_device_sharedBILi64ELi32ELb1EddPKdPdEv13rocblas_fill_18rocblas_operation_17rocblas_diagonal_iiT3_T4_lilT5_lili.kd
    .uniform_work_group_size: 1
    .uses_dynamic_stack: false
    .vgpr_count:     18
    .vgpr_spill_count: 0
    .wavefront_size: 32
  - .args:
      - .offset:         0
        .size:           4
        .value_kind:     by_value
      - .offset:         4
        .size:           4
        .value_kind:     by_value
      - .offset:         8
        .size:           4
        .value_kind:     by_value
      - .offset:         12
        .size:           4
        .value_kind:     by_value
      - .offset:         16
        .size:           4
        .value_kind:     by_value
      - .offset:         24
        .size:           8
        .value_kind:     by_value
      - .address_space:  global
        .offset:         32
        .size:           8
        .value_kind:     global_buffer
      - .offset:         40
        .size:           8
        .value_kind:     by_value
      - .offset:         48
        .size:           4
        .value_kind:     by_value
      - .offset:         56
        .size:           8
        .value_kind:     by_value
      - .address_space:  global
        .offset:         64
        .size:           8
        .value_kind:     global_buffer
      - .offset:         72
        .size:           8
        .value_kind:     by_value
      - .offset:         80
        .size:           4
        .value_kind:     by_value
      - .offset:         88
        .size:           8
        .value_kind:     by_value
      - .offset:         96
        .size:           4
        .value_kind:     by_value
      - .offset:         104
        .size:           4
        .value_kind:     hidden_block_count_x
      - .offset:         108
        .size:           4
        .value_kind:     hidden_block_count_y
      - .offset:         112
        .size:           4
        .value_kind:     hidden_block_count_z
      - .offset:         116
        .size:           2
        .value_kind:     hidden_group_size_x
      - .offset:         118
        .size:           2
        .value_kind:     hidden_group_size_y
      - .offset:         120
        .size:           2
        .value_kind:     hidden_group_size_z
      - .offset:         122
        .size:           2
        .value_kind:     hidden_remainder_x
      - .offset:         124
        .size:           2
        .value_kind:     hidden_remainder_y
      - .offset:         126
        .size:           2
        .value_kind:     hidden_remainder_z
      - .offset:         144
        .size:           8
        .value_kind:     hidden_global_offset_x
      - .offset:         152
        .size:           8
        .value_kind:     hidden_global_offset_y
      - .offset:         160
        .size:           8
        .value_kind:     hidden_global_offset_z
      - .offset:         168
        .size:           2
        .value_kind:     hidden_grid_dims
    .group_segment_fixed_size: 32768
    .kernarg_segment_align: 8
    .kernarg_segment_size: 360
    .language:       OpenCL C
    .language_version:
      - 2
      - 0
    .max_flat_workgroup_size: 64
    .name:           _ZL30rocblas_trsm_small_left_deviceILi64ELi32ELb1EddPKdPdEv13rocblas_fill_18rocblas_operation_17rocblas_diagonal_iiT3_T4_lilT5_lili
    .private_segment_fixed_size: 272
    .sgpr_count:     47
    .sgpr_spill_count: 0
    .symbol:         _ZL30rocblas_trsm_small_left_deviceILi64ELi32ELb1EddPKdPdEv13rocblas_fill_18rocblas_operation_17rocblas_diagonal_iiT3_T4_lilT5_lili.kd
    .uniform_work_group_size: 1
    .uses_dynamic_stack: false
    .vgpr_count:     20
    .vgpr_spill_count: 0
    .wavefront_size: 32
  - .args:
      - .offset:         0
        .size:           4
        .value_kind:     by_value
      - .offset:         4
        .size:           4
        .value_kind:     by_value
      - .offset:         8
        .size:           4
        .value_kind:     by_value
      - .offset:         12
        .size:           4
        .value_kind:     by_value
      - .offset:         16
        .size:           4
        .value_kind:     by_value
      - .offset:         24
        .size:           8
        .value_kind:     by_value
      - .address_space:  global
        .offset:         32
        .size:           8
        .value_kind:     global_buffer
      - .offset:         40
        .size:           8
        .value_kind:     by_value
      - .offset:         48
        .size:           4
        .value_kind:     by_value
      - .offset:         56
        .size:           8
        .value_kind:     by_value
      - .address_space:  global
        .offset:         64
        .size:           8
        .value_kind:     global_buffer
      - .offset:         72
        .size:           8
        .value_kind:     by_value
      - .offset:         80
        .size:           4
        .value_kind:     by_value
      - .offset:         88
        .size:           8
        .value_kind:     by_value
      - .offset:         96
        .size:           4
        .value_kind:     by_value
      - .offset:         104
        .size:           4
        .value_kind:     hidden_block_count_x
      - .offset:         108
        .size:           4
        .value_kind:     hidden_block_count_y
      - .offset:         112
        .size:           4
        .value_kind:     hidden_block_count_z
      - .offset:         116
        .size:           2
        .value_kind:     hidden_group_size_x
      - .offset:         118
        .size:           2
        .value_kind:     hidden_group_size_y
      - .offset:         120
        .size:           2
        .value_kind:     hidden_group_size_z
      - .offset:         122
        .size:           2
        .value_kind:     hidden_remainder_x
      - .offset:         124
        .size:           2
        .value_kind:     hidden_remainder_y
      - .offset:         126
        .size:           2
        .value_kind:     hidden_remainder_z
      - .offset:         144
        .size:           8
        .value_kind:     hidden_global_offset_x
      - .offset:         152
        .size:           8
        .value_kind:     hidden_global_offset_y
      - .offset:         160
        .size:           8
        .value_kind:     hidden_global_offset_z
      - .offset:         168
        .size:           2
        .value_kind:     hidden_grid_dims
    .group_segment_fixed_size: 65536
    .kernarg_segment_align: 8
    .kernarg_segment_size: 360
    .language:       OpenCL C
    .language_version:
      - 2
      - 0
    .max_flat_workgroup_size: 64
    .name:           _ZL31rocblas_trsm_small_right_deviceIddPKdPdLi64EEv13rocblas_fill_18rocblas_operation_17rocblas_diagonal_iiT0_T1_lilT2_lili
    .private_segment_fixed_size: 0
    .sgpr_count:     40
    .sgpr_spill_count: 0
    .symbol:         _ZL31rocblas_trsm_small_right_deviceIddPKdPdLi64EEv13rocblas_fill_18rocblas_operation_17rocblas_diagonal_iiT0_T1_lilT2_lili.kd
    .uniform_work_group_size: 1
    .uses_dynamic_stack: false
    .vgpr_count:     46
    .vgpr_spill_count: 0
    .wavefront_size: 32
  - .args:
      - .offset:         0
        .size:           4
        .value_kind:     by_value
      - .offset:         8
        .size:           8
        .value_kind:     by_value
      - .offset:         16
        .size:           8
        .value_kind:     by_value
      - .offset:         24
        .size:           8
        .value_kind:     by_value
      - .address_space:  global
        .offset:         32
        .size:           8
        .value_kind:     global_buffer
      - .offset:         40
        .size:           8
        .value_kind:     by_value
      - .offset:         48
        .size:           8
        .value_kind:     by_value
      - .offset:         56
        .size:           8
        .value_kind:     by_value
      - .address_space:  global
        .offset:         64
        .size:           8
        .value_kind:     global_buffer
      - .offset:         72
        .size:           8
        .value_kind:     by_value
      - .offset:         80
        .size:           8
        .value_kind:     by_value
      - .offset:         88
        .size:           8
        .value_kind:     by_value
      - .offset:         96
        .size:           4
        .value_kind:     by_value
      - .offset:         100
        .size:           1
        .value_kind:     by_value
      - .offset:         104
        .size:           4
        .value_kind:     hidden_block_count_x
      - .offset:         108
        .size:           4
        .value_kind:     hidden_block_count_y
      - .offset:         112
        .size:           4
        .value_kind:     hidden_block_count_z
      - .offset:         116
        .size:           2
        .value_kind:     hidden_group_size_x
      - .offset:         118
        .size:           2
        .value_kind:     hidden_group_size_y
      - .offset:         120
        .size:           2
        .value_kind:     hidden_group_size_z
      - .offset:         122
        .size:           2
        .value_kind:     hidden_remainder_x
      - .offset:         124
        .size:           2
        .value_kind:     hidden_remainder_y
      - .offset:         126
        .size:           2
        .value_kind:     hidden_remainder_z
      - .offset:         144
        .size:           8
        .value_kind:     hidden_global_offset_x
      - .offset:         152
        .size:           8
        .value_kind:     hidden_global_offset_y
      - .offset:         160
        .size:           8
        .value_kind:     hidden_global_offset_z
      - .offset:         168
        .size:           2
        .value_kind:     hidden_grid_dims
      - .offset:         224
        .size:           4
        .value_kind:     hidden_dynamic_lds_size
    .group_segment_fixed_size: 0
    .kernarg_segment_align: 8
    .kernarg_segment_size: 360
    .language:       OpenCL C
    .language_version:
      - 2
      - 0
    .max_flat_workgroup_size: 1024
    .name:           _ZL39rocblas_trsm_block_forward_substitutionIddPKdPdLb0ELb0ELb0EEv18rocblas_operation_llT0_T1_lllT2_lllib
    .private_segment_fixed_size: 0
    .sgpr_count:     40
    .sgpr_spill_count: 0
    .symbol:         _ZL39rocblas_trsm_block_forward_substitutionIddPKdPdLb0ELb0ELb0EEv18rocblas_operation_llT0_T1_lllT2_lllib.kd
    .uniform_work_group_size: 1
    .uses_dynamic_stack: false
    .vgpr_count:     28
    .vgpr_spill_count: 0
    .wavefront_size: 32
  - .args:
      - .offset:         0
        .size:           4
        .value_kind:     by_value
      - .offset:         8
        .size:           8
        .value_kind:     by_value
      - .offset:         16
        .size:           8
        .value_kind:     by_value
      - .offset:         24
        .size:           8
        .value_kind:     by_value
      - .address_space:  global
        .offset:         32
        .size:           8
        .value_kind:     global_buffer
      - .offset:         40
        .size:           8
        .value_kind:     by_value
      - .offset:         48
        .size:           8
        .value_kind:     by_value
      - .offset:         56
        .size:           8
        .value_kind:     by_value
      - .address_space:  global
        .offset:         64
        .size:           8
        .value_kind:     global_buffer
      - .offset:         72
        .size:           8
        .value_kind:     by_value
      - .offset:         80
        .size:           8
        .value_kind:     by_value
      - .offset:         88
        .size:           8
        .value_kind:     by_value
      - .offset:         96
        .size:           4
        .value_kind:     by_value
      - .offset:         100
        .size:           1
        .value_kind:     by_value
      - .offset:         104
        .size:           4
        .value_kind:     hidden_block_count_x
      - .offset:         108
        .size:           4
        .value_kind:     hidden_block_count_y
      - .offset:         112
        .size:           4
        .value_kind:     hidden_block_count_z
      - .offset:         116
        .size:           2
        .value_kind:     hidden_group_size_x
      - .offset:         118
        .size:           2
        .value_kind:     hidden_group_size_y
      - .offset:         120
        .size:           2
        .value_kind:     hidden_group_size_z
      - .offset:         122
        .size:           2
        .value_kind:     hidden_remainder_x
      - .offset:         124
        .size:           2
        .value_kind:     hidden_remainder_y
      - .offset:         126
        .size:           2
        .value_kind:     hidden_remainder_z
      - .offset:         144
        .size:           8
        .value_kind:     hidden_global_offset_x
      - .offset:         152
        .size:           8
        .value_kind:     hidden_global_offset_y
      - .offset:         160
        .size:           8
        .value_kind:     hidden_global_offset_z
      - .offset:         168
        .size:           2
        .value_kind:     hidden_grid_dims
      - .offset:         224
        .size:           4
        .value_kind:     hidden_dynamic_lds_size
    .group_segment_fixed_size: 0
    .kernarg_segment_align: 8
    .kernarg_segment_size: 360
    .language:       OpenCL C
    .language_version:
      - 2
      - 0
    .max_flat_workgroup_size: 1024
    .name:           _ZL40rocblas_trsm_block_backward_substitutionIddPKdPdLb0ELb0ELb0EEv18rocblas_operation_llT0_T1_lllT2_lllib
    .private_segment_fixed_size: 0
    .sgpr_count:     48
    .sgpr_spill_count: 0
    .symbol:         _ZL40rocblas_trsm_block_backward_substitutionIddPKdPdLb0ELb0ELb0EEv18rocblas_operation_llT0_T1_lllT2_lllib.kd
    .uniform_work_group_size: 1
    .uses_dynamic_stack: false
    .vgpr_count:     30
    .vgpr_spill_count: 0
    .wavefront_size: 32
  - .args:
      - .offset:         0
        .size:           4
        .value_kind:     by_value
      - .offset:         8
        .size:           8
        .value_kind:     by_value
      - .offset:         16
        .size:           8
        .value_kind:     by_value
      - .offset:         24
        .size:           8
        .value_kind:     by_value
      - .address_space:  global
        .offset:         32
        .size:           8
        .value_kind:     global_buffer
      - .offset:         40
        .size:           8
        .value_kind:     by_value
      - .offset:         48
        .size:           8
        .value_kind:     by_value
      - .offset:         56
        .size:           8
        .value_kind:     by_value
      - .address_space:  global
        .offset:         64
        .size:           8
        .value_kind:     global_buffer
      - .offset:         72
        .size:           8
        .value_kind:     by_value
      - .offset:         80
        .size:           8
        .value_kind:     by_value
      - .offset:         88
        .size:           8
        .value_kind:     by_value
      - .offset:         96
        .size:           4
        .value_kind:     by_value
      - .offset:         100
        .size:           1
        .value_kind:     by_value
      - .offset:         104
        .size:           4
        .value_kind:     hidden_block_count_x
      - .offset:         108
        .size:           4
        .value_kind:     hidden_block_count_y
      - .offset:         112
        .size:           4
        .value_kind:     hidden_block_count_z
      - .offset:         116
        .size:           2
        .value_kind:     hidden_group_size_x
      - .offset:         118
        .size:           2
        .value_kind:     hidden_group_size_y
      - .offset:         120
        .size:           2
        .value_kind:     hidden_group_size_z
      - .offset:         122
        .size:           2
        .value_kind:     hidden_remainder_x
      - .offset:         124
        .size:           2
        .value_kind:     hidden_remainder_y
      - .offset:         126
        .size:           2
        .value_kind:     hidden_remainder_z
      - .offset:         144
        .size:           8
        .value_kind:     hidden_global_offset_x
      - .offset:         152
        .size:           8
        .value_kind:     hidden_global_offset_y
      - .offset:         160
        .size:           8
        .value_kind:     hidden_global_offset_z
      - .offset:         168
        .size:           2
        .value_kind:     hidden_grid_dims
      - .offset:         224
        .size:           4
        .value_kind:     hidden_dynamic_lds_size
    .group_segment_fixed_size: 0
    .kernarg_segment_align: 8
    .kernarg_segment_size: 360
    .language:       OpenCL C
    .language_version:
      - 2
      - 0
    .max_flat_workgroup_size: 1024
    .name:           _ZL39rocblas_trsm_block_forward_substitutionIddPKdPdLb0ELb0ELb1EEv18rocblas_operation_llT0_T1_lllT2_lllib
    .private_segment_fixed_size: 0
    .sgpr_count:     38
    .sgpr_spill_count: 0
    .symbol:         _ZL39rocblas_trsm_block_forward_substitutionIddPKdPdLb0ELb0ELb1EEv18rocblas_operation_llT0_T1_lllT2_lllib.kd
    .uniform_work_group_size: 1
    .uses_dynamic_stack: false
    .vgpr_count:     20
    .vgpr_spill_count: 0
    .wavefront_size: 32
  - .args:
      - .offset:         0
        .size:           4
        .value_kind:     by_value
      - .offset:         8
        .size:           8
        .value_kind:     by_value
      - .offset:         16
        .size:           8
        .value_kind:     by_value
      - .offset:         24
        .size:           8
        .value_kind:     by_value
      - .address_space:  global
        .offset:         32
        .size:           8
        .value_kind:     global_buffer
      - .offset:         40
        .size:           8
        .value_kind:     by_value
      - .offset:         48
        .size:           8
        .value_kind:     by_value
      - .offset:         56
        .size:           8
        .value_kind:     by_value
      - .address_space:  global
        .offset:         64
        .size:           8
        .value_kind:     global_buffer
      - .offset:         72
        .size:           8
        .value_kind:     by_value
      - .offset:         80
        .size:           8
        .value_kind:     by_value
      - .offset:         88
        .size:           8
        .value_kind:     by_value
      - .offset:         96
        .size:           4
        .value_kind:     by_value
      - .offset:         100
        .size:           1
        .value_kind:     by_value
      - .offset:         104
        .size:           4
        .value_kind:     hidden_block_count_x
      - .offset:         108
        .size:           4
        .value_kind:     hidden_block_count_y
      - .offset:         112
        .size:           4
        .value_kind:     hidden_block_count_z
      - .offset:         116
        .size:           2
        .value_kind:     hidden_group_size_x
      - .offset:         118
        .size:           2
        .value_kind:     hidden_group_size_y
      - .offset:         120
        .size:           2
        .value_kind:     hidden_group_size_z
      - .offset:         122
        .size:           2
        .value_kind:     hidden_remainder_x
      - .offset:         124
        .size:           2
        .value_kind:     hidden_remainder_y
      - .offset:         126
        .size:           2
        .value_kind:     hidden_remainder_z
      - .offset:         144
        .size:           8
        .value_kind:     hidden_global_offset_x
      - .offset:         152
        .size:           8
        .value_kind:     hidden_global_offset_y
      - .offset:         160
        .size:           8
        .value_kind:     hidden_global_offset_z
      - .offset:         168
        .size:           2
        .value_kind:     hidden_grid_dims
      - .offset:         224
        .size:           4
        .value_kind:     hidden_dynamic_lds_size
    .group_segment_fixed_size: 0
    .kernarg_segment_align: 8
    .kernarg_segment_size: 360
    .language:       OpenCL C
    .language_version:
      - 2
      - 0
    .max_flat_workgroup_size: 1024
    .name:           _ZL40rocblas_trsm_block_backward_substitutionIddPKdPdLb0ELb0ELb1EEv18rocblas_operation_llT0_T1_lllT2_lllib
    .private_segment_fixed_size: 0
    .sgpr_count:     42
    .sgpr_spill_count: 0
    .symbol:         _ZL40rocblas_trsm_block_backward_substitutionIddPKdPdLb0ELb0ELb1EEv18rocblas_operation_llT0_T1_lllT2_lllib.kd
    .uniform_work_group_size: 1
    .uses_dynamic_stack: false
    .vgpr_count:     20
    .vgpr_spill_count: 0
    .wavefront_size: 32
  - .args:
      - .offset:         0
        .size:           4
        .value_kind:     by_value
      - .offset:         8
        .size:           8
        .value_kind:     by_value
      - .offset:         16
        .size:           8
        .value_kind:     by_value
      - .offset:         24
        .size:           8
        .value_kind:     by_value
      - .address_space:  global
        .offset:         32
        .size:           8
        .value_kind:     global_buffer
      - .offset:         40
        .size:           8
        .value_kind:     by_value
      - .offset:         48
        .size:           8
        .value_kind:     by_value
      - .offset:         56
        .size:           8
        .value_kind:     by_value
      - .address_space:  global
        .offset:         64
        .size:           8
        .value_kind:     global_buffer
      - .offset:         72
        .size:           8
        .value_kind:     by_value
      - .offset:         80
        .size:           8
        .value_kind:     by_value
      - .offset:         88
        .size:           8
        .value_kind:     by_value
      - .offset:         96
        .size:           4
        .value_kind:     by_value
      - .offset:         100
        .size:           1
        .value_kind:     by_value
      - .offset:         104
        .size:           4
        .value_kind:     hidden_block_count_x
      - .offset:         108
        .size:           4
        .value_kind:     hidden_block_count_y
      - .offset:         112
        .size:           4
        .value_kind:     hidden_block_count_z
      - .offset:         116
        .size:           2
        .value_kind:     hidden_group_size_x
      - .offset:         118
        .size:           2
        .value_kind:     hidden_group_size_y
      - .offset:         120
        .size:           2
        .value_kind:     hidden_group_size_z
      - .offset:         122
        .size:           2
        .value_kind:     hidden_remainder_x
      - .offset:         124
        .size:           2
        .value_kind:     hidden_remainder_y
      - .offset:         126
        .size:           2
        .value_kind:     hidden_remainder_z
      - .offset:         144
        .size:           8
        .value_kind:     hidden_global_offset_x
      - .offset:         152
        .size:           8
        .value_kind:     hidden_global_offset_y
      - .offset:         160
        .size:           8
        .value_kind:     hidden_global_offset_z
      - .offset:         168
        .size:           2
        .value_kind:     hidden_grid_dims
      - .offset:         224
        .size:           4
        .value_kind:     hidden_dynamic_lds_size
    .group_segment_fixed_size: 0
    .kernarg_segment_align: 8
    .kernarg_segment_size: 360
    .language:       OpenCL C
    .language_version:
      - 2
      - 0
    .max_flat_workgroup_size: 1024
    .name:           _ZL39rocblas_trsm_block_forward_substitutionIddPKdPdLb0ELb1ELb0EEv18rocblas_operation_llT0_T1_lllT2_lllib
    .private_segment_fixed_size: 0
    .sgpr_count:     39
    .sgpr_spill_count: 0
    .symbol:         _ZL39rocblas_trsm_block_forward_substitutionIddPKdPdLb0ELb1ELb0EEv18rocblas_operation_llT0_T1_lllT2_lllib.kd
    .uniform_work_group_size: 1
    .uses_dynamic_stack: false
    .vgpr_count:     28
    .vgpr_spill_count: 0
    .wavefront_size: 32
  - .args:
      - .offset:         0
        .size:           4
        .value_kind:     by_value
      - .offset:         8
        .size:           8
        .value_kind:     by_value
      - .offset:         16
        .size:           8
        .value_kind:     by_value
      - .offset:         24
        .size:           8
        .value_kind:     by_value
      - .address_space:  global
        .offset:         32
        .size:           8
        .value_kind:     global_buffer
      - .offset:         40
        .size:           8
        .value_kind:     by_value
      - .offset:         48
        .size:           8
        .value_kind:     by_value
      - .offset:         56
        .size:           8
        .value_kind:     by_value
      - .address_space:  global
        .offset:         64
        .size:           8
        .value_kind:     global_buffer
      - .offset:         72
        .size:           8
        .value_kind:     by_value
      - .offset:         80
        .size:           8
        .value_kind:     by_value
      - .offset:         88
        .size:           8
        .value_kind:     by_value
      - .offset:         96
        .size:           4
        .value_kind:     by_value
      - .offset:         100
        .size:           1
        .value_kind:     by_value
      - .offset:         104
        .size:           4
        .value_kind:     hidden_block_count_x
      - .offset:         108
        .size:           4
        .value_kind:     hidden_block_count_y
      - .offset:         112
        .size:           4
        .value_kind:     hidden_block_count_z
      - .offset:         116
        .size:           2
        .value_kind:     hidden_group_size_x
      - .offset:         118
        .size:           2
        .value_kind:     hidden_group_size_y
      - .offset:         120
        .size:           2
        .value_kind:     hidden_group_size_z
      - .offset:         122
        .size:           2
        .value_kind:     hidden_remainder_x
      - .offset:         124
        .size:           2
        .value_kind:     hidden_remainder_y
      - .offset:         126
        .size:           2
        .value_kind:     hidden_remainder_z
      - .offset:         144
        .size:           8
        .value_kind:     hidden_global_offset_x
      - .offset:         152
        .size:           8
        .value_kind:     hidden_global_offset_y
      - .offset:         160
        .size:           8
        .value_kind:     hidden_global_offset_z
      - .offset:         168
        .size:           2
        .value_kind:     hidden_grid_dims
      - .offset:         224
        .size:           4
        .value_kind:     hidden_dynamic_lds_size
    .group_segment_fixed_size: 0
    .kernarg_segment_align: 8
    .kernarg_segment_size: 360
    .language:       OpenCL C
    .language_version:
      - 2
      - 0
    .max_flat_workgroup_size: 1024
    .name:           _ZL40rocblas_trsm_block_backward_substitutionIddPKdPdLb0ELb1ELb0EEv18rocblas_operation_llT0_T1_lllT2_lllib
    .private_segment_fixed_size: 0
    .sgpr_count:     48
    .sgpr_spill_count: 0
    .symbol:         _ZL40rocblas_trsm_block_backward_substitutionIddPKdPdLb0ELb1ELb0EEv18rocblas_operation_llT0_T1_lllT2_lllib.kd
    .uniform_work_group_size: 1
    .uses_dynamic_stack: false
    .vgpr_count:     32
    .vgpr_spill_count: 0
    .wavefront_size: 32
  - .args:
      - .offset:         0
        .size:           4
        .value_kind:     by_value
      - .offset:         8
        .size:           8
        .value_kind:     by_value
      - .offset:         16
        .size:           8
        .value_kind:     by_value
      - .offset:         24
        .size:           8
        .value_kind:     by_value
      - .address_space:  global
        .offset:         32
        .size:           8
        .value_kind:     global_buffer
      - .offset:         40
        .size:           8
        .value_kind:     by_value
      - .offset:         48
        .size:           8
        .value_kind:     by_value
      - .offset:         56
        .size:           8
        .value_kind:     by_value
      - .address_space:  global
        .offset:         64
        .size:           8
        .value_kind:     global_buffer
      - .offset:         72
        .size:           8
        .value_kind:     by_value
      - .offset:         80
        .size:           8
        .value_kind:     by_value
      - .offset:         88
        .size:           8
        .value_kind:     by_value
      - .offset:         96
        .size:           4
        .value_kind:     by_value
      - .offset:         100
        .size:           1
        .value_kind:     by_value
      - .offset:         104
        .size:           4
        .value_kind:     hidden_block_count_x
      - .offset:         108
        .size:           4
        .value_kind:     hidden_block_count_y
      - .offset:         112
        .size:           4
        .value_kind:     hidden_block_count_z
      - .offset:         116
        .size:           2
        .value_kind:     hidden_group_size_x
      - .offset:         118
        .size:           2
        .value_kind:     hidden_group_size_y
      - .offset:         120
        .size:           2
        .value_kind:     hidden_group_size_z
      - .offset:         122
        .size:           2
        .value_kind:     hidden_remainder_x
      - .offset:         124
        .size:           2
        .value_kind:     hidden_remainder_y
      - .offset:         126
        .size:           2
        .value_kind:     hidden_remainder_z
      - .offset:         144
        .size:           8
        .value_kind:     hidden_global_offset_x
      - .offset:         152
        .size:           8
        .value_kind:     hidden_global_offset_y
      - .offset:         160
        .size:           8
        .value_kind:     hidden_global_offset_z
      - .offset:         168
        .size:           2
        .value_kind:     hidden_grid_dims
      - .offset:         224
        .size:           4
        .value_kind:     hidden_dynamic_lds_size
    .group_segment_fixed_size: 0
    .kernarg_segment_align: 8
    .kernarg_segment_size: 360
    .language:       OpenCL C
    .language_version:
      - 2
      - 0
    .max_flat_workgroup_size: 1024
    .name:           _ZL39rocblas_trsm_block_forward_substitutionIddPKdPdLb0ELb1ELb1EEv18rocblas_operation_llT0_T1_lllT2_lllib
    .private_segment_fixed_size: 0
    .sgpr_count:     38
    .sgpr_spill_count: 0
    .symbol:         _ZL39rocblas_trsm_block_forward_substitutionIddPKdPdLb0ELb1ELb1EEv18rocblas_operation_llT0_T1_lllT2_lllib.kd
    .uniform_work_group_size: 1
    .uses_dynamic_stack: false
    .vgpr_count:     20
    .vgpr_spill_count: 0
    .wavefront_size: 32
  - .args:
      - .offset:         0
        .size:           4
        .value_kind:     by_value
      - .offset:         8
        .size:           8
        .value_kind:     by_value
      - .offset:         16
        .size:           8
        .value_kind:     by_value
      - .offset:         24
        .size:           8
        .value_kind:     by_value
      - .address_space:  global
        .offset:         32
        .size:           8
        .value_kind:     global_buffer
      - .offset:         40
        .size:           8
        .value_kind:     by_value
      - .offset:         48
        .size:           8
        .value_kind:     by_value
      - .offset:         56
        .size:           8
        .value_kind:     by_value
      - .address_space:  global
        .offset:         64
        .size:           8
        .value_kind:     global_buffer
      - .offset:         72
        .size:           8
        .value_kind:     by_value
      - .offset:         80
        .size:           8
        .value_kind:     by_value
      - .offset:         88
        .size:           8
        .value_kind:     by_value
      - .offset:         96
        .size:           4
        .value_kind:     by_value
      - .offset:         100
        .size:           1
        .value_kind:     by_value
      - .offset:         104
        .size:           4
        .value_kind:     hidden_block_count_x
      - .offset:         108
        .size:           4
        .value_kind:     hidden_block_count_y
      - .offset:         112
        .size:           4
        .value_kind:     hidden_block_count_z
      - .offset:         116
        .size:           2
        .value_kind:     hidden_group_size_x
      - .offset:         118
        .size:           2
        .value_kind:     hidden_group_size_y
      - .offset:         120
        .size:           2
        .value_kind:     hidden_group_size_z
      - .offset:         122
        .size:           2
        .value_kind:     hidden_remainder_x
      - .offset:         124
        .size:           2
        .value_kind:     hidden_remainder_y
      - .offset:         126
        .size:           2
        .value_kind:     hidden_remainder_z
      - .offset:         144
        .size:           8
        .value_kind:     hidden_global_offset_x
      - .offset:         152
        .size:           8
        .value_kind:     hidden_global_offset_y
      - .offset:         160
        .size:           8
        .value_kind:     hidden_global_offset_z
      - .offset:         168
        .size:           2
        .value_kind:     hidden_grid_dims
      - .offset:         224
        .size:           4
        .value_kind:     hidden_dynamic_lds_size
    .group_segment_fixed_size: 0
    .kernarg_segment_align: 8
    .kernarg_segment_size: 360
    .language:       OpenCL C
    .language_version:
      - 2
      - 0
    .max_flat_workgroup_size: 1024
    .name:           _ZL40rocblas_trsm_block_backward_substitutionIddPKdPdLb0ELb1ELb1EEv18rocblas_operation_llT0_T1_lllT2_lllib
    .private_segment_fixed_size: 0
    .sgpr_count:     42
    .sgpr_spill_count: 0
    .symbol:         _ZL40rocblas_trsm_block_backward_substitutionIddPKdPdLb0ELb1ELb1EEv18rocblas_operation_llT0_T1_lllT2_lllib.kd
    .uniform_work_group_size: 1
    .uses_dynamic_stack: false
    .vgpr_count:     22
    .vgpr_spill_count: 0
    .wavefront_size: 32
  - .args:
      - .offset:         0
        .size:           4
        .value_kind:     by_value
      - .offset:         8
        .size:           8
        .value_kind:     by_value
      - .offset:         16
        .size:           8
        .value_kind:     by_value
      - .offset:         24
        .size:           8
        .value_kind:     by_value
      - .address_space:  global
        .offset:         32
        .size:           8
        .value_kind:     global_buffer
      - .offset:         40
        .size:           8
        .value_kind:     by_value
      - .offset:         48
        .size:           8
        .value_kind:     by_value
      - .offset:         56
        .size:           8
        .value_kind:     by_value
      - .address_space:  global
        .offset:         64
        .size:           8
        .value_kind:     global_buffer
      - .offset:         72
        .size:           8
        .value_kind:     by_value
      - .offset:         80
        .size:           8
        .value_kind:     by_value
      - .offset:         88
        .size:           8
        .value_kind:     by_value
      - .offset:         96
        .size:           4
        .value_kind:     by_value
      - .offset:         100
        .size:           1
        .value_kind:     by_value
      - .offset:         104
        .size:           4
        .value_kind:     hidden_block_count_x
      - .offset:         108
        .size:           4
        .value_kind:     hidden_block_count_y
      - .offset:         112
        .size:           4
        .value_kind:     hidden_block_count_z
      - .offset:         116
        .size:           2
        .value_kind:     hidden_group_size_x
      - .offset:         118
        .size:           2
        .value_kind:     hidden_group_size_y
      - .offset:         120
        .size:           2
        .value_kind:     hidden_group_size_z
      - .offset:         122
        .size:           2
        .value_kind:     hidden_remainder_x
      - .offset:         124
        .size:           2
        .value_kind:     hidden_remainder_y
      - .offset:         126
        .size:           2
        .value_kind:     hidden_remainder_z
      - .offset:         144
        .size:           8
        .value_kind:     hidden_global_offset_x
      - .offset:         152
        .size:           8
        .value_kind:     hidden_global_offset_y
      - .offset:         160
        .size:           8
        .value_kind:     hidden_global_offset_z
      - .offset:         168
        .size:           2
        .value_kind:     hidden_grid_dims
      - .offset:         224
        .size:           4
        .value_kind:     hidden_dynamic_lds_size
    .group_segment_fixed_size: 0
    .kernarg_segment_align: 8
    .kernarg_segment_size: 360
    .language:       OpenCL C
    .language_version:
      - 2
      - 0
    .max_flat_workgroup_size: 1024
    .name:           _ZL39rocblas_trsm_block_forward_substitutionIddPKdPdLb1ELb1ELb0EEv18rocblas_operation_llT0_T1_lllT2_lllib
    .private_segment_fixed_size: 0
    .sgpr_count:     41
    .sgpr_spill_count: 0
    .symbol:         _ZL39rocblas_trsm_block_forward_substitutionIddPKdPdLb1ELb1ELb0EEv18rocblas_operation_llT0_T1_lllT2_lllib.kd
    .uniform_work_group_size: 1
    .uses_dynamic_stack: false
    .vgpr_count:     26
    .vgpr_spill_count: 0
    .wavefront_size: 32
  - .args:
      - .offset:         0
        .size:           4
        .value_kind:     by_value
      - .offset:         8
        .size:           8
        .value_kind:     by_value
      - .offset:         16
        .size:           8
        .value_kind:     by_value
      - .offset:         24
        .size:           8
        .value_kind:     by_value
      - .address_space:  global
        .offset:         32
        .size:           8
        .value_kind:     global_buffer
      - .offset:         40
        .size:           8
        .value_kind:     by_value
      - .offset:         48
        .size:           8
        .value_kind:     by_value
      - .offset:         56
        .size:           8
        .value_kind:     by_value
      - .address_space:  global
        .offset:         64
        .size:           8
        .value_kind:     global_buffer
      - .offset:         72
        .size:           8
        .value_kind:     by_value
      - .offset:         80
        .size:           8
        .value_kind:     by_value
      - .offset:         88
        .size:           8
        .value_kind:     by_value
      - .offset:         96
        .size:           4
        .value_kind:     by_value
      - .offset:         100
        .size:           1
        .value_kind:     by_value
      - .offset:         104
        .size:           4
        .value_kind:     hidden_block_count_x
      - .offset:         108
        .size:           4
        .value_kind:     hidden_block_count_y
      - .offset:         112
        .size:           4
        .value_kind:     hidden_block_count_z
      - .offset:         116
        .size:           2
        .value_kind:     hidden_group_size_x
      - .offset:         118
        .size:           2
        .value_kind:     hidden_group_size_y
      - .offset:         120
        .size:           2
        .value_kind:     hidden_group_size_z
      - .offset:         122
        .size:           2
        .value_kind:     hidden_remainder_x
      - .offset:         124
        .size:           2
        .value_kind:     hidden_remainder_y
      - .offset:         126
        .size:           2
        .value_kind:     hidden_remainder_z
      - .offset:         144
        .size:           8
        .value_kind:     hidden_global_offset_x
      - .offset:         152
        .size:           8
        .value_kind:     hidden_global_offset_y
      - .offset:         160
        .size:           8
        .value_kind:     hidden_global_offset_z
      - .offset:         168
        .size:           2
        .value_kind:     hidden_grid_dims
      - .offset:         224
        .size:           4
        .value_kind:     hidden_dynamic_lds_size
    .group_segment_fixed_size: 0
    .kernarg_segment_align: 8
    .kernarg_segment_size: 360
    .language:       OpenCL C
    .language_version:
      - 2
      - 0
    .max_flat_workgroup_size: 1024
    .name:           _ZL40rocblas_trsm_block_backward_substitutionIddPKdPdLb1ELb1ELb0EEv18rocblas_operation_llT0_T1_lllT2_lllib
    .private_segment_fixed_size: 0
    .sgpr_count:     46
    .sgpr_spill_count: 0
    .symbol:         _ZL40rocblas_trsm_block_backward_substitutionIddPKdPdLb1ELb1ELb0EEv18rocblas_operation_llT0_T1_lllT2_lllib.kd
    .uniform_work_group_size: 1
    .uses_dynamic_stack: false
    .vgpr_count:     32
    .vgpr_spill_count: 0
    .wavefront_size: 32
  - .args:
      - .offset:         0
        .size:           4
        .value_kind:     by_value
      - .offset:         8
        .size:           8
        .value_kind:     by_value
      - .offset:         16
        .size:           8
        .value_kind:     by_value
      - .offset:         24
        .size:           8
        .value_kind:     by_value
      - .address_space:  global
        .offset:         32
        .size:           8
        .value_kind:     global_buffer
      - .offset:         40
        .size:           8
        .value_kind:     by_value
      - .offset:         48
        .size:           8
        .value_kind:     by_value
      - .offset:         56
        .size:           8
        .value_kind:     by_value
      - .address_space:  global
        .offset:         64
        .size:           8
        .value_kind:     global_buffer
      - .offset:         72
        .size:           8
        .value_kind:     by_value
      - .offset:         80
        .size:           8
        .value_kind:     by_value
      - .offset:         88
        .size:           8
        .value_kind:     by_value
      - .offset:         96
        .size:           4
        .value_kind:     by_value
      - .offset:         100
        .size:           1
        .value_kind:     by_value
      - .offset:         104
        .size:           4
        .value_kind:     hidden_block_count_x
      - .offset:         108
        .size:           4
        .value_kind:     hidden_block_count_y
      - .offset:         112
        .size:           4
        .value_kind:     hidden_block_count_z
      - .offset:         116
        .size:           2
        .value_kind:     hidden_group_size_x
      - .offset:         118
        .size:           2
        .value_kind:     hidden_group_size_y
      - .offset:         120
        .size:           2
        .value_kind:     hidden_group_size_z
      - .offset:         122
        .size:           2
        .value_kind:     hidden_remainder_x
      - .offset:         124
        .size:           2
        .value_kind:     hidden_remainder_y
      - .offset:         126
        .size:           2
        .value_kind:     hidden_remainder_z
      - .offset:         144
        .size:           8
        .value_kind:     hidden_global_offset_x
      - .offset:         152
        .size:           8
        .value_kind:     hidden_global_offset_y
      - .offset:         160
        .size:           8
        .value_kind:     hidden_global_offset_z
      - .offset:         168
        .size:           2
        .value_kind:     hidden_grid_dims
      - .offset:         224
        .size:           4
        .value_kind:     hidden_dynamic_lds_size
    .group_segment_fixed_size: 0
    .kernarg_segment_align: 8
    .kernarg_segment_size: 360
    .language:       OpenCL C
    .language_version:
      - 2
      - 0
    .max_flat_workgroup_size: 1024
    .name:           _ZL39rocblas_trsm_block_forward_substitutionIddPKdPdLb1ELb1ELb1EEv18rocblas_operation_llT0_T1_lllT2_lllib
    .private_segment_fixed_size: 0
    .sgpr_count:     40
    .sgpr_spill_count: 0
    .symbol:         _ZL39rocblas_trsm_block_forward_substitutionIddPKdPdLb1ELb1ELb1EEv18rocblas_operation_llT0_T1_lllT2_lllib.kd
    .uniform_work_group_size: 1
    .uses_dynamic_stack: false
    .vgpr_count:     18
    .vgpr_spill_count: 0
    .wavefront_size: 32
  - .args:
      - .offset:         0
        .size:           4
        .value_kind:     by_value
      - .offset:         8
        .size:           8
        .value_kind:     by_value
      - .offset:         16
        .size:           8
        .value_kind:     by_value
      - .offset:         24
        .size:           8
        .value_kind:     by_value
      - .address_space:  global
        .offset:         32
        .size:           8
        .value_kind:     global_buffer
      - .offset:         40
        .size:           8
        .value_kind:     by_value
      - .offset:         48
        .size:           8
        .value_kind:     by_value
      - .offset:         56
        .size:           8
        .value_kind:     by_value
      - .address_space:  global
        .offset:         64
        .size:           8
        .value_kind:     global_buffer
      - .offset:         72
        .size:           8
        .value_kind:     by_value
      - .offset:         80
        .size:           8
        .value_kind:     by_value
      - .offset:         88
        .size:           8
        .value_kind:     by_value
      - .offset:         96
        .size:           4
        .value_kind:     by_value
      - .offset:         100
        .size:           1
        .value_kind:     by_value
      - .offset:         104
        .size:           4
        .value_kind:     hidden_block_count_x
      - .offset:         108
        .size:           4
        .value_kind:     hidden_block_count_y
      - .offset:         112
        .size:           4
        .value_kind:     hidden_block_count_z
      - .offset:         116
        .size:           2
        .value_kind:     hidden_group_size_x
      - .offset:         118
        .size:           2
        .value_kind:     hidden_group_size_y
      - .offset:         120
        .size:           2
        .value_kind:     hidden_group_size_z
      - .offset:         122
        .size:           2
        .value_kind:     hidden_remainder_x
      - .offset:         124
        .size:           2
        .value_kind:     hidden_remainder_y
      - .offset:         126
        .size:           2
        .value_kind:     hidden_remainder_z
      - .offset:         144
        .size:           8
        .value_kind:     hidden_global_offset_x
      - .offset:         152
        .size:           8
        .value_kind:     hidden_global_offset_y
      - .offset:         160
        .size:           8
        .value_kind:     hidden_global_offset_z
      - .offset:         168
        .size:           2
        .value_kind:     hidden_grid_dims
      - .offset:         224
        .size:           4
        .value_kind:     hidden_dynamic_lds_size
    .group_segment_fixed_size: 0
    .kernarg_segment_align: 8
    .kernarg_segment_size: 360
    .language:       OpenCL C
    .language_version:
      - 2
      - 0
    .max_flat_workgroup_size: 1024
    .name:           _ZL40rocblas_trsm_block_backward_substitutionIddPKdPdLb1ELb1ELb1EEv18rocblas_operation_llT0_T1_lllT2_lllib
    .private_segment_fixed_size: 0
    .sgpr_count:     40
    .sgpr_spill_count: 0
    .symbol:         _ZL40rocblas_trsm_block_backward_substitutionIddPKdPdLb1ELb1ELb1EEv18rocblas_operation_llT0_T1_lllT2_lllib.kd
    .uniform_work_group_size: 1
    .uses_dynamic_stack: false
    .vgpr_count:     22
    .vgpr_spill_count: 0
    .wavefront_size: 32
  - .args:
      - .offset:         0
        .size:           4
        .value_kind:     by_value
      - .offset:         8
        .size:           8
        .value_kind:     by_value
      - .offset:         16
        .size:           8
        .value_kind:     by_value
      - .offset:         24
        .size:           8
        .value_kind:     by_value
      - .address_space:  global
        .offset:         32
        .size:           8
        .value_kind:     global_buffer
      - .offset:         40
        .size:           8
        .value_kind:     by_value
      - .offset:         48
        .size:           8
        .value_kind:     by_value
      - .offset:         56
        .size:           8
        .value_kind:     by_value
      - .address_space:  global
        .offset:         64
        .size:           8
        .value_kind:     global_buffer
      - .offset:         72
        .size:           8
        .value_kind:     by_value
      - .offset:         80
        .size:           8
        .value_kind:     by_value
      - .offset:         88
        .size:           8
        .value_kind:     by_value
      - .offset:         96
        .size:           4
        .value_kind:     by_value
      - .offset:         100
        .size:           1
        .value_kind:     by_value
      - .offset:         104
        .size:           4
        .value_kind:     hidden_block_count_x
      - .offset:         108
        .size:           4
        .value_kind:     hidden_block_count_y
      - .offset:         112
        .size:           4
        .value_kind:     hidden_block_count_z
      - .offset:         116
        .size:           2
        .value_kind:     hidden_group_size_x
      - .offset:         118
        .size:           2
        .value_kind:     hidden_group_size_y
      - .offset:         120
        .size:           2
        .value_kind:     hidden_group_size_z
      - .offset:         122
        .size:           2
        .value_kind:     hidden_remainder_x
      - .offset:         124
        .size:           2
        .value_kind:     hidden_remainder_y
      - .offset:         126
        .size:           2
        .value_kind:     hidden_remainder_z
      - .offset:         144
        .size:           8
        .value_kind:     hidden_global_offset_x
      - .offset:         152
        .size:           8
        .value_kind:     hidden_global_offset_y
      - .offset:         160
        .size:           8
        .value_kind:     hidden_global_offset_z
      - .offset:         168
        .size:           2
        .value_kind:     hidden_grid_dims
      - .offset:         224
        .size:           4
        .value_kind:     hidden_dynamic_lds_size
    .group_segment_fixed_size: 0
    .kernarg_segment_align: 8
    .kernarg_segment_size: 360
    .language:       OpenCL C
    .language_version:
      - 2
      - 0
    .max_flat_workgroup_size: 1024
    .name:           _ZL39rocblas_trsm_block_forward_substitutionIddPKdPdLb1ELb0ELb0EEv18rocblas_operation_llT0_T1_lllT2_lllib
    .private_segment_fixed_size: 0
    .sgpr_count:     41
    .sgpr_spill_count: 0
    .symbol:         _ZL39rocblas_trsm_block_forward_substitutionIddPKdPdLb1ELb0ELb0EEv18rocblas_operation_llT0_T1_lllT2_lllib.kd
    .uniform_work_group_size: 1
    .uses_dynamic_stack: false
    .vgpr_count:     26
    .vgpr_spill_count: 0
    .wavefront_size: 32
  - .args:
      - .offset:         0
        .size:           4
        .value_kind:     by_value
      - .offset:         8
        .size:           8
        .value_kind:     by_value
      - .offset:         16
        .size:           8
        .value_kind:     by_value
      - .offset:         24
        .size:           8
        .value_kind:     by_value
      - .address_space:  global
        .offset:         32
        .size:           8
        .value_kind:     global_buffer
      - .offset:         40
        .size:           8
        .value_kind:     by_value
      - .offset:         48
        .size:           8
        .value_kind:     by_value
      - .offset:         56
        .size:           8
        .value_kind:     by_value
      - .address_space:  global
        .offset:         64
        .size:           8
        .value_kind:     global_buffer
      - .offset:         72
        .size:           8
        .value_kind:     by_value
      - .offset:         80
        .size:           8
        .value_kind:     by_value
      - .offset:         88
        .size:           8
        .value_kind:     by_value
      - .offset:         96
        .size:           4
        .value_kind:     by_value
      - .offset:         100
        .size:           1
        .value_kind:     by_value
      - .offset:         104
        .size:           4
        .value_kind:     hidden_block_count_x
      - .offset:         108
        .size:           4
        .value_kind:     hidden_block_count_y
      - .offset:         112
        .size:           4
        .value_kind:     hidden_block_count_z
      - .offset:         116
        .size:           2
        .value_kind:     hidden_group_size_x
      - .offset:         118
        .size:           2
        .value_kind:     hidden_group_size_y
      - .offset:         120
        .size:           2
        .value_kind:     hidden_group_size_z
      - .offset:         122
        .size:           2
        .value_kind:     hidden_remainder_x
      - .offset:         124
        .size:           2
        .value_kind:     hidden_remainder_y
      - .offset:         126
        .size:           2
        .value_kind:     hidden_remainder_z
      - .offset:         144
        .size:           8
        .value_kind:     hidden_global_offset_x
      - .offset:         152
        .size:           8
        .value_kind:     hidden_global_offset_y
      - .offset:         160
        .size:           8
        .value_kind:     hidden_global_offset_z
      - .offset:         168
        .size:           2
        .value_kind:     hidden_grid_dims
      - .offset:         224
        .size:           4
        .value_kind:     hidden_dynamic_lds_size
    .group_segment_fixed_size: 0
    .kernarg_segment_align: 8
    .kernarg_segment_size: 360
    .language:       OpenCL C
    .language_version:
      - 2
      - 0
    .max_flat_workgroup_size: 1024
    .name:           _ZL40rocblas_trsm_block_backward_substitutionIddPKdPdLb1ELb0ELb0EEv18rocblas_operation_llT0_T1_lllT2_lllib
    .private_segment_fixed_size: 0
    .sgpr_count:     46
    .sgpr_spill_count: 0
    .symbol:         _ZL40rocblas_trsm_block_backward_substitutionIddPKdPdLb1ELb0ELb0EEv18rocblas_operation_llT0_T1_lllT2_lllib.kd
    .uniform_work_group_size: 1
    .uses_dynamic_stack: false
    .vgpr_count:     32
    .vgpr_spill_count: 0
    .wavefront_size: 32
  - .args:
      - .offset:         0
        .size:           4
        .value_kind:     by_value
      - .offset:         8
        .size:           8
        .value_kind:     by_value
      - .offset:         16
        .size:           8
        .value_kind:     by_value
      - .offset:         24
        .size:           8
        .value_kind:     by_value
      - .address_space:  global
        .offset:         32
        .size:           8
        .value_kind:     global_buffer
      - .offset:         40
        .size:           8
        .value_kind:     by_value
      - .offset:         48
        .size:           8
        .value_kind:     by_value
      - .offset:         56
        .size:           8
        .value_kind:     by_value
      - .address_space:  global
        .offset:         64
        .size:           8
        .value_kind:     global_buffer
      - .offset:         72
        .size:           8
        .value_kind:     by_value
      - .offset:         80
        .size:           8
        .value_kind:     by_value
      - .offset:         88
        .size:           8
        .value_kind:     by_value
      - .offset:         96
        .size:           4
        .value_kind:     by_value
      - .offset:         100
        .size:           1
        .value_kind:     by_value
      - .offset:         104
        .size:           4
        .value_kind:     hidden_block_count_x
      - .offset:         108
        .size:           4
        .value_kind:     hidden_block_count_y
      - .offset:         112
        .size:           4
        .value_kind:     hidden_block_count_z
      - .offset:         116
        .size:           2
        .value_kind:     hidden_group_size_x
      - .offset:         118
        .size:           2
        .value_kind:     hidden_group_size_y
      - .offset:         120
        .size:           2
        .value_kind:     hidden_group_size_z
      - .offset:         122
        .size:           2
        .value_kind:     hidden_remainder_x
      - .offset:         124
        .size:           2
        .value_kind:     hidden_remainder_y
      - .offset:         126
        .size:           2
        .value_kind:     hidden_remainder_z
      - .offset:         144
        .size:           8
        .value_kind:     hidden_global_offset_x
      - .offset:         152
        .size:           8
        .value_kind:     hidden_global_offset_y
      - .offset:         160
        .size:           8
        .value_kind:     hidden_global_offset_z
      - .offset:         168
        .size:           2
        .value_kind:     hidden_grid_dims
      - .offset:         224
        .size:           4
        .value_kind:     hidden_dynamic_lds_size
    .group_segment_fixed_size: 0
    .kernarg_segment_align: 8
    .kernarg_segment_size: 360
    .language:       OpenCL C
    .language_version:
      - 2
      - 0
    .max_flat_workgroup_size: 1024
    .name:           _ZL39rocblas_trsm_block_forward_substitutionIddPKdPdLb1ELb0ELb1EEv18rocblas_operation_llT0_T1_lllT2_lllib
    .private_segment_fixed_size: 0
    .sgpr_count:     40
    .sgpr_spill_count: 0
    .symbol:         _ZL39rocblas_trsm_block_forward_substitutionIddPKdPdLb1ELb0ELb1EEv18rocblas_operation_llT0_T1_lllT2_lllib.kd
    .uniform_work_group_size: 1
    .uses_dynamic_stack: false
    .vgpr_count:     18
    .vgpr_spill_count: 0
    .wavefront_size: 32
  - .args:
      - .offset:         0
        .size:           4
        .value_kind:     by_value
      - .offset:         8
        .size:           8
        .value_kind:     by_value
      - .offset:         16
        .size:           8
        .value_kind:     by_value
      - .offset:         24
        .size:           8
        .value_kind:     by_value
      - .address_space:  global
        .offset:         32
        .size:           8
        .value_kind:     global_buffer
      - .offset:         40
        .size:           8
        .value_kind:     by_value
      - .offset:         48
        .size:           8
        .value_kind:     by_value
      - .offset:         56
        .size:           8
        .value_kind:     by_value
      - .address_space:  global
        .offset:         64
        .size:           8
        .value_kind:     global_buffer
      - .offset:         72
        .size:           8
        .value_kind:     by_value
      - .offset:         80
        .size:           8
        .value_kind:     by_value
      - .offset:         88
        .size:           8
        .value_kind:     by_value
      - .offset:         96
        .size:           4
        .value_kind:     by_value
      - .offset:         100
        .size:           1
        .value_kind:     by_value
      - .offset:         104
        .size:           4
        .value_kind:     hidden_block_count_x
      - .offset:         108
        .size:           4
        .value_kind:     hidden_block_count_y
      - .offset:         112
        .size:           4
        .value_kind:     hidden_block_count_z
      - .offset:         116
        .size:           2
        .value_kind:     hidden_group_size_x
      - .offset:         118
        .size:           2
        .value_kind:     hidden_group_size_y
      - .offset:         120
        .size:           2
        .value_kind:     hidden_group_size_z
      - .offset:         122
        .size:           2
        .value_kind:     hidden_remainder_x
      - .offset:         124
        .size:           2
        .value_kind:     hidden_remainder_y
      - .offset:         126
        .size:           2
        .value_kind:     hidden_remainder_z
      - .offset:         144
        .size:           8
        .value_kind:     hidden_global_offset_x
      - .offset:         152
        .size:           8
        .value_kind:     hidden_global_offset_y
      - .offset:         160
        .size:           8
        .value_kind:     hidden_global_offset_z
      - .offset:         168
        .size:           2
        .value_kind:     hidden_grid_dims
      - .offset:         224
        .size:           4
        .value_kind:     hidden_dynamic_lds_size
    .group_segment_fixed_size: 0
    .kernarg_segment_align: 8
    .kernarg_segment_size: 360
    .language:       OpenCL C
    .language_version:
      - 2
      - 0
    .max_flat_workgroup_size: 1024
    .name:           _ZL40rocblas_trsm_block_backward_substitutionIddPKdPdLb1ELb0ELb1EEv18rocblas_operation_llT0_T1_lllT2_lllib
    .private_segment_fixed_size: 0
    .sgpr_count:     40
    .sgpr_spill_count: 0
    .symbol:         _ZL40rocblas_trsm_block_backward_substitutionIddPKdPdLb1ELb0ELb1EEv18rocblas_operation_llT0_T1_lllT2_lllib.kd
    .uniform_work_group_size: 1
    .uses_dynamic_stack: false
    .vgpr_count:     22
    .vgpr_spill_count: 0
    .wavefront_size: 32
  - .args:
      - .address_space:  global
        .offset:         0
        .size:           8
        .value_kind:     global_buffer
      - .offset:         8
        .size:           8
        .value_kind:     by_value
      - .address_space:  global
        .offset:         16
        .size:           8
        .value_kind:     global_buffer
    .group_segment_fixed_size: 0
    .kernarg_segment_align: 8
    .kernarg_segment_size: 24
    .language:       OpenCL C
    .language_version:
      - 2
      - 0
    .max_flat_workgroup_size: 128
    .name:           _ZL26setup_batched_array_kernelILi128EdEvPT0_lPS1_
    .private_segment_fixed_size: 0
    .sgpr_count:     9
    .sgpr_spill_count: 0
    .symbol:         _ZL26setup_batched_array_kernelILi128EdEvPT0_lPS1_.kd
    .uniform_work_group_size: 1
    .uses_dynamic_stack: false
    .vgpr_count:     3
    .vgpr_spill_count: 0
    .wavefront_size: 32
  - .args:
      - .offset:         0
        .size:           4
        .value_kind:     by_value
      - .offset:         4
        .size:           4
        .value_kind:     by_value
      - .address_space:  global
        .offset:         8
        .size:           8
        .value_kind:     global_buffer
      - .offset:         16
        .size:           8
        .value_kind:     by_value
      - .offset:         24
        .size:           4
        .value_kind:     by_value
      - .offset:         32
        .size:           8
        .value_kind:     by_value
      - .address_space:  global
        .offset:         40
        .size:           8
        .value_kind:     global_buffer
      - .offset:         48
        .size:           8
        .value_kind:     by_value
      - .offset:         56
        .size:           8
        .value_kind:     by_value
      - .offset:         64
        .size:           4
        .value_kind:     by_value
    .group_segment_fixed_size: 8192
    .kernarg_segment_align: 8
    .kernarg_segment_size: 68
    .language:       OpenCL C
    .language_version:
      - 2
      - 0
    .max_flat_workgroup_size: 256
    .name:           _ZL25rocblas_trtri_trsm_kernelILi128ELi16ELi8EdPKdPdEv13rocblas_fill_17rocblas_diagonal_T3_lilT4_lli
    .private_segment_fixed_size: 0
    .sgpr_count:     100
    .sgpr_spill_count: 0
    .symbol:         _ZL25rocblas_trtri_trsm_kernelILi128ELi16ELi8EdPKdPdEv13rocblas_fill_17rocblas_diagonal_T3_lilT4_lli.kd
    .uniform_work_group_size: 1
    .uses_dynamic_stack: false
    .vgpr_count:     62
    .vgpr_spill_count: 0
    .wavefront_size: 32
  - .args:
      - .address_space:  global
        .offset:         0
        .size:           8
        .value_kind:     global_buffer
      - .offset:         8
        .size:           4
        .value_kind:     by_value
      - .offset:         12
        .size:           4
        .value_kind:     by_value
      - .offset:         16
        .size:           8
        .value_kind:     by_value
      - .offset:         24
        .size:           4
        .value_kind:     by_value
      - .offset:         32
        .size:           8
        .value_kind:     by_value
      - .address_space:  global
        .offset:         40
        .size:           8
        .value_kind:     global_buffer
      - .offset:         48
        .size:           8
        .value_kind:     by_value
      - .offset:         56
        .size:           8
        .value_kind:     by_value
      - .offset:         64
        .size:           4
        .value_kind:     by_value
      - .offset:         68
        .size:           4
        .value_kind:     by_value
      - .offset:         72
        .size:           4
        .value_kind:     hidden_block_count_x
      - .offset:         76
        .size:           4
        .value_kind:     hidden_block_count_y
      - .offset:         80
        .size:           4
        .value_kind:     hidden_block_count_z
      - .offset:         84
        .size:           2
        .value_kind:     hidden_group_size_x
      - .offset:         86
        .size:           2
        .value_kind:     hidden_group_size_y
      - .offset:         88
        .size:           2
        .value_kind:     hidden_group_size_z
      - .offset:         90
        .size:           2
        .value_kind:     hidden_remainder_x
      - .offset:         92
        .size:           2
        .value_kind:     hidden_remainder_y
      - .offset:         94
        .size:           2
        .value_kind:     hidden_remainder_z
      - .offset:         112
        .size:           8
        .value_kind:     hidden_global_offset_x
      - .offset:         120
        .size:           8
        .value_kind:     hidden_global_offset_y
      - .offset:         128
        .size:           8
        .value_kind:     hidden_global_offset_z
      - .offset:         136
        .size:           2
        .value_kind:     hidden_grid_dims
    .group_segment_fixed_size: 0
    .kernarg_segment_align: 8
    .kernarg_segment_size: 328
    .language:       OpenCL C
    .language_version:
      - 2
      - 0
    .max_flat_workgroup_size: 128
    .name:           _ZL18rocblas_trtri_fillILi128EdPdEvP15_rocblas_handle13rocblas_fill_ililT1_llii
    .private_segment_fixed_size: 0
    .sgpr_count:     51
    .sgpr_spill_count: 0
    .symbol:         _ZL18rocblas_trtri_fillILi128EdPdEvP15_rocblas_handle13rocblas_fill_ililT1_llii.kd
    .uniform_work_group_size: 1
    .uses_dynamic_stack: false
    .vgpr_count:     26
    .vgpr_spill_count: 0
    .wavefront_size: 32
  - .args:
      - .offset:         0
        .size:           4
        .value_kind:     by_value
      - .offset:         4
        .size:           4
        .value_kind:     by_value
      - .offset:         8
        .size:           4
        .value_kind:     by_value
      - .address_space:  global
        .offset:         16
        .size:           8
        .value_kind:     global_buffer
      - .offset:         24
        .size:           4
        .value_kind:     by_value
      - .offset:         32
        .size:           8
        .value_kind:     by_value
      - .address_space:  global
        .offset:         40
        .size:           8
        .value_kind:     global_buffer
      - .offset:         48
        .size:           4
        .value_kind:     by_value
      - .offset:         56
        .size:           8
        .value_kind:     by_value
      - .offset:         64
        .size:           8
        .value_kind:     by_value
      - .offset:         72
        .size:           8
        .value_kind:     by_value
      - .offset:         80
        .size:           4
        .value_kind:     by_value
      - .offset:         88
        .size:           4
        .value_kind:     hidden_block_count_x
      - .offset:         92
        .size:           4
        .value_kind:     hidden_block_count_y
      - .offset:         96
        .size:           4
        .value_kind:     hidden_block_count_z
      - .offset:         100
        .size:           2
        .value_kind:     hidden_group_size_x
      - .offset:         102
        .size:           2
        .value_kind:     hidden_group_size_y
      - .offset:         104
        .size:           2
        .value_kind:     hidden_group_size_z
      - .offset:         106
        .size:           2
        .value_kind:     hidden_remainder_x
      - .offset:         108
        .size:           2
        .value_kind:     hidden_remainder_y
      - .offset:         110
        .size:           2
        .value_kind:     hidden_remainder_z
      - .offset:         128
        .size:           8
        .value_kind:     hidden_global_offset_x
      - .offset:         136
        .size:           8
        .value_kind:     hidden_global_offset_y
      - .offset:         144
        .size:           8
        .value_kind:     hidden_global_offset_z
      - .offset:         152
        .size:           2
        .value_kind:     hidden_grid_dims
    .group_segment_fixed_size: 0
    .kernarg_segment_align: 8
    .kernarg_segment_size: 344
    .language:       OpenCL C
    .language_version:
      - 2
      - 0
    .max_flat_workgroup_size: 1024
    .name:           _ZL24rocblas_copy_matrix_trsmILi128ELi8EdPKdPdEviiiT2_ilT3_illli
    .private_segment_fixed_size: 0
    .sgpr_count:     28
    .sgpr_spill_count: 0
    .symbol:         _ZL24rocblas_copy_matrix_trsmILi128ELi8EdPKdPdEviiiT2_ilT3_illli.kd
    .uniform_work_group_size: 1
    .uses_dynamic_stack: false
    .vgpr_count:     14
    .vgpr_spill_count: 0
    .wavefront_size: 32
  - .args:
      - .offset:         0
        .size:           8
        .value_kind:     by_value
      - .offset:         8
        .size:           8
        .value_kind:     by_value
      - .offset:         16
        .size:           4
        .value_kind:     by_value
      - .address_space:  global
        .offset:         24
        .size:           8
        .value_kind:     global_buffer
      - .offset:         32
        .size:           8
        .value_kind:     by_value
      - .offset:         40
        .size:           8
        .value_kind:     by_value
      - .offset:         48
        .size:           8
        .value_kind:     by_value
      - .offset:         56
        .size:           8
        .value_kind:     by_value
      - .offset:         64
        .size:           4
        .value_kind:     by_value
    .group_segment_fixed_size: 0
    .kernarg_segment_align: 8
    .kernarg_segment_size: 68
    .language:       OpenCL C
    .language_version:
      - 2
      - 0
    .max_flat_workgroup_size: 1024
    .name:           _ZL23rocblas_set_matrix_trsmILi128ELi8E19rocblas_complex_numIfEPS1_EvlliT2_llT1_li
    .private_segment_fixed_size: 0
    .sgpr_count:     20
    .sgpr_spill_count: 0
    .symbol:         _ZL23rocblas_set_matrix_trsmILi128ELi8E19rocblas_complex_numIfEPS1_EvlliT2_llT1_li.kd
    .uniform_work_group_size: 1
    .uses_dynamic_stack: false
    .vgpr_count:     8
    .vgpr_spill_count: 0
    .wavefront_size: 32
  - .args:
      - .offset:         0
        .size:           4
        .value_kind:     by_value
      - .offset:         4
        .size:           4
        .value_kind:     by_value
      - .offset:         8
        .size:           4
        .value_kind:     by_value
      - .offset:         12
        .size:           4
        .value_kind:     by_value
      - .offset:         16
        .size:           4
        .value_kind:     by_value
      - .offset:         20
        .size:           8
        .value_kind:     by_value
      - .address_space:  global
        .offset:         32
        .size:           8
        .value_kind:     global_buffer
      - .offset:         40
        .size:           8
        .value_kind:     by_value
      - .offset:         48
        .size:           4
        .value_kind:     by_value
      - .offset:         56
        .size:           8
        .value_kind:     by_value
      - .address_space:  global
        .offset:         64
        .size:           8
        .value_kind:     global_buffer
      - .offset:         72
        .size:           8
        .value_kind:     by_value
      - .offset:         80
        .size:           4
        .value_kind:     by_value
      - .offset:         88
        .size:           8
        .value_kind:     by_value
      - .offset:         96
        .size:           4
        .value_kind:     by_value
      - .offset:         104
        .size:           4
        .value_kind:     hidden_block_count_x
      - .offset:         108
        .size:           4
        .value_kind:     hidden_block_count_y
      - .offset:         112
        .size:           4
        .value_kind:     hidden_block_count_z
      - .offset:         116
        .size:           2
        .value_kind:     hidden_group_size_x
      - .offset:         118
        .size:           2
        .value_kind:     hidden_group_size_y
      - .offset:         120
        .size:           2
        .value_kind:     hidden_group_size_z
      - .offset:         122
        .size:           2
        .value_kind:     hidden_remainder_x
      - .offset:         124
        .size:           2
        .value_kind:     hidden_remainder_y
      - .offset:         126
        .size:           2
        .value_kind:     hidden_remainder_z
      - .offset:         144
        .size:           8
        .value_kind:     hidden_global_offset_x
      - .offset:         152
        .size:           8
        .value_kind:     hidden_global_offset_y
      - .offset:         160
        .size:           8
        .value_kind:     hidden_global_offset_z
      - .offset:         168
        .size:           2
        .value_kind:     hidden_grid_dims
    .group_segment_fixed_size: 384
    .kernarg_segment_align: 8
    .kernarg_segment_size: 360
    .language:       OpenCL C
    .language_version:
      - 2
      - 0
    .max_flat_workgroup_size: 4
    .name:           _ZL38rocblas_trsm_small_left_device_sharedBILi4ELi4ELb0E19rocblas_complex_numIfES1_PKS1_PS1_Ev13rocblas_fill_18rocblas_operation_17rocblas_diagonal_iiT3_T4_lilT5_lili
    .private_segment_fixed_size: 0
    .sgpr_count:     50
    .sgpr_spill_count: 0
    .symbol:         _ZL38rocblas_trsm_small_left_device_sharedBILi4ELi4ELb0E19rocblas_complex_numIfES1_PKS1_PS1_Ev13rocblas_fill_18rocblas_operation_17rocblas_diagonal_iiT3_T4_lilT5_lili.kd
    .uniform_work_group_size: 1
    .uses_dynamic_stack: false
    .vgpr_count:     36
    .vgpr_spill_count: 0
    .wavefront_size: 32
  - .args:
      - .offset:         0
        .size:           4
        .value_kind:     by_value
      - .offset:         4
        .size:           4
        .value_kind:     by_value
      - .offset:         8
        .size:           4
        .value_kind:     by_value
      - .offset:         12
        .size:           4
        .value_kind:     by_value
      - .offset:         16
        .size:           4
        .value_kind:     by_value
      - .offset:         20
        .size:           8
        .value_kind:     by_value
      - .address_space:  global
        .offset:         32
        .size:           8
        .value_kind:     global_buffer
      - .offset:         40
        .size:           8
        .value_kind:     by_value
      - .offset:         48
        .size:           4
        .value_kind:     by_value
      - .offset:         56
        .size:           8
        .value_kind:     by_value
      - .address_space:  global
        .offset:         64
        .size:           8
        .value_kind:     global_buffer
      - .offset:         72
        .size:           8
        .value_kind:     by_value
      - .offset:         80
        .size:           4
        .value_kind:     by_value
      - .offset:         88
        .size:           8
        .value_kind:     by_value
      - .offset:         96
        .size:           4
        .value_kind:     by_value
      - .offset:         104
        .size:           4
        .value_kind:     hidden_block_count_x
      - .offset:         108
        .size:           4
        .value_kind:     hidden_block_count_y
      - .offset:         112
        .size:           4
        .value_kind:     hidden_block_count_z
      - .offset:         116
        .size:           2
        .value_kind:     hidden_group_size_x
      - .offset:         118
        .size:           2
        .value_kind:     hidden_group_size_y
      - .offset:         120
        .size:           2
        .value_kind:     hidden_group_size_z
      - .offset:         122
        .size:           2
        .value_kind:     hidden_remainder_x
      - .offset:         124
        .size:           2
        .value_kind:     hidden_remainder_y
      - .offset:         126
        .size:           2
        .value_kind:     hidden_remainder_z
      - .offset:         144
        .size:           8
        .value_kind:     hidden_global_offset_x
      - .offset:         152
        .size:           8
        .value_kind:     hidden_global_offset_y
      - .offset:         160
        .size:           8
        .value_kind:     hidden_global_offset_z
      - .offset:         168
        .size:           2
        .value_kind:     hidden_grid_dims
    .group_segment_fixed_size: 256
    .kernarg_segment_align: 8
    .kernarg_segment_size: 360
    .language:       OpenCL C
    .language_version:
      - 2
      - 0
    .max_flat_workgroup_size: 4
    .name:           _ZL30rocblas_trsm_small_left_deviceILi4ELi4ELb0E19rocblas_complex_numIfES1_PKS1_PS1_Ev13rocblas_fill_18rocblas_operation_17rocblas_diagonal_iiT3_T4_lilT5_lili
    .private_segment_fixed_size: 0
    .sgpr_count:     58
    .sgpr_spill_count: 0
    .symbol:         _ZL30rocblas_trsm_small_left_deviceILi4ELi4ELb0E19rocblas_complex_numIfES1_PKS1_PS1_Ev13rocblas_fill_18rocblas_operation_17rocblas_diagonal_iiT3_T4_lilT5_lili.kd
    .uniform_work_group_size: 1
    .uses_dynamic_stack: false
    .vgpr_count:     38
    .vgpr_spill_count: 0
    .wavefront_size: 32
  - .args:
      - .offset:         0
        .size:           4
        .value_kind:     by_value
      - .offset:         4
        .size:           4
        .value_kind:     by_value
      - .offset:         8
        .size:           4
        .value_kind:     by_value
      - .offset:         12
        .size:           4
        .value_kind:     by_value
      - .offset:         16
        .size:           4
        .value_kind:     by_value
      - .offset:         20
        .size:           8
        .value_kind:     by_value
      - .address_space:  global
        .offset:         32
        .size:           8
        .value_kind:     global_buffer
      - .offset:         40
        .size:           8
        .value_kind:     by_value
      - .offset:         48
        .size:           4
        .value_kind:     by_value
      - .offset:         56
        .size:           8
        .value_kind:     by_value
      - .address_space:  global
        .offset:         64
        .size:           8
        .value_kind:     global_buffer
      - .offset:         72
        .size:           8
        .value_kind:     by_value
      - .offset:         80
        .size:           4
        .value_kind:     by_value
      - .offset:         88
        .size:           8
        .value_kind:     by_value
      - .offset:         96
        .size:           4
        .value_kind:     by_value
      - .offset:         104
        .size:           4
        .value_kind:     hidden_block_count_x
      - .offset:         108
        .size:           4
        .value_kind:     hidden_block_count_y
      - .offset:         112
        .size:           4
        .value_kind:     hidden_block_count_z
      - .offset:         116
        .size:           2
        .value_kind:     hidden_group_size_x
      - .offset:         118
        .size:           2
        .value_kind:     hidden_group_size_y
      - .offset:         120
        .size:           2
        .value_kind:     hidden_group_size_z
      - .offset:         122
        .size:           2
        .value_kind:     hidden_remainder_x
      - .offset:         124
        .size:           2
        .value_kind:     hidden_remainder_y
      - .offset:         126
        .size:           2
        .value_kind:     hidden_remainder_z
      - .offset:         144
        .size:           8
        .value_kind:     hidden_global_offset_x
      - .offset:         152
        .size:           8
        .value_kind:     hidden_global_offset_y
      - .offset:         160
        .size:           8
        .value_kind:     hidden_global_offset_z
      - .offset:         168
        .size:           2
        .value_kind:     hidden_grid_dims
    .group_segment_fixed_size: 384
    .kernarg_segment_align: 8
    .kernarg_segment_size: 360
    .language:       OpenCL C
    .language_version:
      - 2
      - 0
    .max_flat_workgroup_size: 4
    .name:           _ZL38rocblas_trsm_small_left_device_sharedBILi4ELi4ELb1E19rocblas_complex_numIfES1_PKS1_PS1_Ev13rocblas_fill_18rocblas_operation_17rocblas_diagonal_iiT3_T4_lilT5_lili
    .private_segment_fixed_size: 0
    .sgpr_count:     49
    .sgpr_spill_count: 0
    .symbol:         _ZL38rocblas_trsm_small_left_device_sharedBILi4ELi4ELb1E19rocblas_complex_numIfES1_PKS1_PS1_Ev13rocblas_fill_18rocblas_operation_17rocblas_diagonal_iiT3_T4_lilT5_lili.kd
    .uniform_work_group_size: 1
    .uses_dynamic_stack: false
    .vgpr_count:     36
    .vgpr_spill_count: 0
    .wavefront_size: 32
  - .args:
      - .offset:         0
        .size:           4
        .value_kind:     by_value
      - .offset:         4
        .size:           4
        .value_kind:     by_value
      - .offset:         8
        .size:           4
        .value_kind:     by_value
      - .offset:         12
        .size:           4
        .value_kind:     by_value
      - .offset:         16
        .size:           4
        .value_kind:     by_value
      - .offset:         20
        .size:           8
        .value_kind:     by_value
      - .address_space:  global
        .offset:         32
        .size:           8
        .value_kind:     global_buffer
      - .offset:         40
        .size:           8
        .value_kind:     by_value
      - .offset:         48
        .size:           4
        .value_kind:     by_value
      - .offset:         56
        .size:           8
        .value_kind:     by_value
      - .address_space:  global
        .offset:         64
        .size:           8
        .value_kind:     global_buffer
      - .offset:         72
        .size:           8
        .value_kind:     by_value
      - .offset:         80
        .size:           4
        .value_kind:     by_value
      - .offset:         88
        .size:           8
        .value_kind:     by_value
      - .offset:         96
        .size:           4
        .value_kind:     by_value
      - .offset:         104
        .size:           4
        .value_kind:     hidden_block_count_x
      - .offset:         108
        .size:           4
        .value_kind:     hidden_block_count_y
      - .offset:         112
        .size:           4
        .value_kind:     hidden_block_count_z
      - .offset:         116
        .size:           2
        .value_kind:     hidden_group_size_x
      - .offset:         118
        .size:           2
        .value_kind:     hidden_group_size_y
      - .offset:         120
        .size:           2
        .value_kind:     hidden_group_size_z
      - .offset:         122
        .size:           2
        .value_kind:     hidden_remainder_x
      - .offset:         124
        .size:           2
        .value_kind:     hidden_remainder_y
      - .offset:         126
        .size:           2
        .value_kind:     hidden_remainder_z
      - .offset:         144
        .size:           8
        .value_kind:     hidden_global_offset_x
      - .offset:         152
        .size:           8
        .value_kind:     hidden_global_offset_y
      - .offset:         160
        .size:           8
        .value_kind:     hidden_global_offset_z
      - .offset:         168
        .size:           2
        .value_kind:     hidden_grid_dims
    .group_segment_fixed_size: 256
    .kernarg_segment_align: 8
    .kernarg_segment_size: 360
    .language:       OpenCL C
    .language_version:
      - 2
      - 0
    .max_flat_workgroup_size: 4
    .name:           _ZL30rocblas_trsm_small_left_deviceILi4ELi4ELb1E19rocblas_complex_numIfES1_PKS1_PS1_Ev13rocblas_fill_18rocblas_operation_17rocblas_diagonal_iiT3_T4_lilT5_lili
    .private_segment_fixed_size: 0
    .sgpr_count:     59
    .sgpr_spill_count: 0
    .symbol:         _ZL30rocblas_trsm_small_left_deviceILi4ELi4ELb1E19rocblas_complex_numIfES1_PKS1_PS1_Ev13rocblas_fill_18rocblas_operation_17rocblas_diagonal_iiT3_T4_lilT5_lili.kd
    .uniform_work_group_size: 1
    .uses_dynamic_stack: false
    .vgpr_count:     38
    .vgpr_spill_count: 0
    .wavefront_size: 32
  - .args:
      - .offset:         0
        .size:           4
        .value_kind:     by_value
      - .offset:         4
        .size:           4
        .value_kind:     by_value
      - .offset:         8
        .size:           4
        .value_kind:     by_value
      - .offset:         12
        .size:           4
        .value_kind:     by_value
      - .offset:         16
        .size:           4
        .value_kind:     by_value
      - .offset:         20
        .size:           8
        .value_kind:     by_value
      - .address_space:  global
        .offset:         32
        .size:           8
        .value_kind:     global_buffer
      - .offset:         40
        .size:           8
        .value_kind:     by_value
      - .offset:         48
        .size:           4
        .value_kind:     by_value
      - .offset:         56
        .size:           8
        .value_kind:     by_value
      - .address_space:  global
        .offset:         64
        .size:           8
        .value_kind:     global_buffer
      - .offset:         72
        .size:           8
        .value_kind:     by_value
      - .offset:         80
        .size:           4
        .value_kind:     by_value
      - .offset:         88
        .size:           8
        .value_kind:     by_value
      - .offset:         96
        .size:           4
        .value_kind:     by_value
      - .offset:         104
        .size:           4
        .value_kind:     hidden_block_count_x
      - .offset:         108
        .size:           4
        .value_kind:     hidden_block_count_y
      - .offset:         112
        .size:           4
        .value_kind:     hidden_block_count_z
      - .offset:         116
        .size:           2
        .value_kind:     hidden_group_size_x
      - .offset:         118
        .size:           2
        .value_kind:     hidden_group_size_y
      - .offset:         120
        .size:           2
        .value_kind:     hidden_group_size_z
      - .offset:         122
        .size:           2
        .value_kind:     hidden_remainder_x
      - .offset:         124
        .size:           2
        .value_kind:     hidden_remainder_y
      - .offset:         126
        .size:           2
        .value_kind:     hidden_remainder_z
      - .offset:         144
        .size:           8
        .value_kind:     hidden_global_offset_x
      - .offset:         152
        .size:           8
        .value_kind:     hidden_global_offset_y
      - .offset:         160
        .size:           8
        .value_kind:     hidden_global_offset_z
      - .offset:         168
        .size:           2
        .value_kind:     hidden_grid_dims
    .group_segment_fixed_size: 256
    .kernarg_segment_align: 8
    .kernarg_segment_size: 360
    .language:       OpenCL C
    .language_version:
      - 2
      - 0
    .max_flat_workgroup_size: 4
    .name:           _ZL31rocblas_trsm_small_right_deviceI19rocblas_complex_numIfES1_PKS1_PS1_Li4EEv13rocblas_fill_18rocblas_operation_17rocblas_diagonal_iiT0_T1_lilT2_lili
    .private_segment_fixed_size: 0
    .sgpr_count:     71
    .sgpr_spill_count: 0
    .symbol:         _ZL31rocblas_trsm_small_right_deviceI19rocblas_complex_numIfES1_PKS1_PS1_Li4EEv13rocblas_fill_18rocblas_operation_17rocblas_diagonal_iiT0_T1_lilT2_lili.kd
    .uniform_work_group_size: 1
    .uses_dynamic_stack: false
    .vgpr_count:     46
    .vgpr_spill_count: 0
    .wavefront_size: 32
  - .args:
      - .offset:         0
        .size:           4
        .value_kind:     by_value
      - .offset:         4
        .size:           4
        .value_kind:     by_value
      - .offset:         8
        .size:           4
        .value_kind:     by_value
      - .offset:         12
        .size:           4
        .value_kind:     by_value
      - .offset:         16
        .size:           4
        .value_kind:     by_value
      - .offset:         20
        .size:           8
        .value_kind:     by_value
      - .address_space:  global
        .offset:         32
        .size:           8
        .value_kind:     global_buffer
      - .offset:         40
        .size:           8
        .value_kind:     by_value
      - .offset:         48
        .size:           4
        .value_kind:     by_value
      - .offset:         56
        .size:           8
        .value_kind:     by_value
      - .address_space:  global
        .offset:         64
        .size:           8
        .value_kind:     global_buffer
      - .offset:         72
        .size:           8
        .value_kind:     by_value
      - .offset:         80
        .size:           4
        .value_kind:     by_value
      - .offset:         88
        .size:           8
        .value_kind:     by_value
      - .offset:         96
        .size:           4
        .value_kind:     by_value
      - .offset:         104
        .size:           4
        .value_kind:     hidden_block_count_x
      - .offset:         108
        .size:           4
        .value_kind:     hidden_block_count_y
      - .offset:         112
        .size:           4
        .value_kind:     hidden_block_count_z
      - .offset:         116
        .size:           2
        .value_kind:     hidden_group_size_x
      - .offset:         118
        .size:           2
        .value_kind:     hidden_group_size_y
      - .offset:         120
        .size:           2
        .value_kind:     hidden_group_size_z
      - .offset:         122
        .size:           2
        .value_kind:     hidden_remainder_x
      - .offset:         124
        .size:           2
        .value_kind:     hidden_remainder_y
      - .offset:         126
        .size:           2
        .value_kind:     hidden_remainder_z
      - .offset:         144
        .size:           8
        .value_kind:     hidden_global_offset_x
      - .offset:         152
        .size:           8
        .value_kind:     hidden_global_offset_y
      - .offset:         160
        .size:           8
        .value_kind:     hidden_global_offset_z
      - .offset:         168
        .size:           2
        .value_kind:     hidden_grid_dims
    .group_segment_fixed_size: 1536
    .kernarg_segment_align: 8
    .kernarg_segment_size: 360
    .language:       OpenCL C
    .language_version:
      - 2
      - 0
    .max_flat_workgroup_size: 8
    .name:           _ZL38rocblas_trsm_small_left_device_sharedBILi8ELi8ELb0E19rocblas_complex_numIfES1_PKS1_PS1_Ev13rocblas_fill_18rocblas_operation_17rocblas_diagonal_iiT3_T4_lilT5_lili
    .private_segment_fixed_size: 0
    .sgpr_count:     50
    .sgpr_spill_count: 0
    .symbol:         _ZL38rocblas_trsm_small_left_device_sharedBILi8ELi8ELb0E19rocblas_complex_numIfES1_PKS1_PS1_Ev13rocblas_fill_18rocblas_operation_17rocblas_diagonal_iiT3_T4_lilT5_lili.kd
    .uniform_work_group_size: 1
    .uses_dynamic_stack: false
    .vgpr_count:     36
    .vgpr_spill_count: 0
    .wavefront_size: 32
  - .args:
      - .offset:         0
        .size:           4
        .value_kind:     by_value
      - .offset:         4
        .size:           4
        .value_kind:     by_value
      - .offset:         8
        .size:           4
        .value_kind:     by_value
      - .offset:         12
        .size:           4
        .value_kind:     by_value
      - .offset:         16
        .size:           4
        .value_kind:     by_value
      - .offset:         20
        .size:           8
        .value_kind:     by_value
      - .address_space:  global
        .offset:         32
        .size:           8
        .value_kind:     global_buffer
      - .offset:         40
        .size:           8
        .value_kind:     by_value
      - .offset:         48
        .size:           4
        .value_kind:     by_value
      - .offset:         56
        .size:           8
        .value_kind:     by_value
      - .address_space:  global
        .offset:         64
        .size:           8
        .value_kind:     global_buffer
      - .offset:         72
        .size:           8
        .value_kind:     by_value
      - .offset:         80
        .size:           4
        .value_kind:     by_value
      - .offset:         88
        .size:           8
        .value_kind:     by_value
      - .offset:         96
        .size:           4
        .value_kind:     by_value
      - .offset:         104
        .size:           4
        .value_kind:     hidden_block_count_x
      - .offset:         108
        .size:           4
        .value_kind:     hidden_block_count_y
      - .offset:         112
        .size:           4
        .value_kind:     hidden_block_count_z
      - .offset:         116
        .size:           2
        .value_kind:     hidden_group_size_x
      - .offset:         118
        .size:           2
        .value_kind:     hidden_group_size_y
      - .offset:         120
        .size:           2
        .value_kind:     hidden_group_size_z
      - .offset:         122
        .size:           2
        .value_kind:     hidden_remainder_x
      - .offset:         124
        .size:           2
        .value_kind:     hidden_remainder_y
      - .offset:         126
        .size:           2
        .value_kind:     hidden_remainder_z
      - .offset:         144
        .size:           8
        .value_kind:     hidden_global_offset_x
      - .offset:         152
        .size:           8
        .value_kind:     hidden_global_offset_y
      - .offset:         160
        .size:           8
        .value_kind:     hidden_global_offset_z
      - .offset:         168
        .size:           2
        .value_kind:     hidden_grid_dims
    .group_segment_fixed_size: 1024
    .kernarg_segment_align: 8
    .kernarg_segment_size: 360
    .language:       OpenCL C
    .language_version:
      - 2
      - 0
    .max_flat_workgroup_size: 8
    .name:           _ZL30rocblas_trsm_small_left_deviceILi8ELi8ELb0E19rocblas_complex_numIfES1_PKS1_PS1_Ev13rocblas_fill_18rocblas_operation_17rocblas_diagonal_iiT3_T4_lilT5_lili
    .private_segment_fixed_size: 0
    .sgpr_count:     58
    .sgpr_spill_count: 0
    .symbol:         _ZL30rocblas_trsm_small_left_deviceILi8ELi8ELb0E19rocblas_complex_numIfES1_PKS1_PS1_Ev13rocblas_fill_18rocblas_operation_17rocblas_diagonal_iiT3_T4_lilT5_lili.kd
    .uniform_work_group_size: 1
    .uses_dynamic_stack: false
    .vgpr_count:     38
    .vgpr_spill_count: 0
    .wavefront_size: 32
  - .args:
      - .offset:         0
        .size:           4
        .value_kind:     by_value
      - .offset:         4
        .size:           4
        .value_kind:     by_value
      - .offset:         8
        .size:           4
        .value_kind:     by_value
      - .offset:         12
        .size:           4
        .value_kind:     by_value
      - .offset:         16
        .size:           4
        .value_kind:     by_value
      - .offset:         20
        .size:           8
        .value_kind:     by_value
      - .address_space:  global
        .offset:         32
        .size:           8
        .value_kind:     global_buffer
      - .offset:         40
        .size:           8
        .value_kind:     by_value
      - .offset:         48
        .size:           4
        .value_kind:     by_value
      - .offset:         56
        .size:           8
        .value_kind:     by_value
      - .address_space:  global
        .offset:         64
        .size:           8
        .value_kind:     global_buffer
      - .offset:         72
        .size:           8
        .value_kind:     by_value
      - .offset:         80
        .size:           4
        .value_kind:     by_value
      - .offset:         88
        .size:           8
        .value_kind:     by_value
      - .offset:         96
        .size:           4
        .value_kind:     by_value
      - .offset:         104
        .size:           4
        .value_kind:     hidden_block_count_x
      - .offset:         108
        .size:           4
        .value_kind:     hidden_block_count_y
      - .offset:         112
        .size:           4
        .value_kind:     hidden_block_count_z
      - .offset:         116
        .size:           2
        .value_kind:     hidden_group_size_x
      - .offset:         118
        .size:           2
        .value_kind:     hidden_group_size_y
      - .offset:         120
        .size:           2
        .value_kind:     hidden_group_size_z
      - .offset:         122
        .size:           2
        .value_kind:     hidden_remainder_x
      - .offset:         124
        .size:           2
        .value_kind:     hidden_remainder_y
      - .offset:         126
        .size:           2
        .value_kind:     hidden_remainder_z
      - .offset:         144
        .size:           8
        .value_kind:     hidden_global_offset_x
      - .offset:         152
        .size:           8
        .value_kind:     hidden_global_offset_y
      - .offset:         160
        .size:           8
        .value_kind:     hidden_global_offset_z
      - .offset:         168
        .size:           2
        .value_kind:     hidden_grid_dims
    .group_segment_fixed_size: 1536
    .kernarg_segment_align: 8
    .kernarg_segment_size: 360
    .language:       OpenCL C
    .language_version:
      - 2
      - 0
    .max_flat_workgroup_size: 8
    .name:           _ZL38rocblas_trsm_small_left_device_sharedBILi8ELi8ELb1E19rocblas_complex_numIfES1_PKS1_PS1_Ev13rocblas_fill_18rocblas_operation_17rocblas_diagonal_iiT3_T4_lilT5_lili
    .private_segment_fixed_size: 0
    .sgpr_count:     49
    .sgpr_spill_count: 0
    .symbol:         _ZL38rocblas_trsm_small_left_device_sharedBILi8ELi8ELb1E19rocblas_complex_numIfES1_PKS1_PS1_Ev13rocblas_fill_18rocblas_operation_17rocblas_diagonal_iiT3_T4_lilT5_lili.kd
    .uniform_work_group_size: 1
    .uses_dynamic_stack: false
    .vgpr_count:     36
    .vgpr_spill_count: 0
    .wavefront_size: 32
  - .args:
      - .offset:         0
        .size:           4
        .value_kind:     by_value
      - .offset:         4
        .size:           4
        .value_kind:     by_value
      - .offset:         8
        .size:           4
        .value_kind:     by_value
      - .offset:         12
        .size:           4
        .value_kind:     by_value
      - .offset:         16
        .size:           4
        .value_kind:     by_value
      - .offset:         20
        .size:           8
        .value_kind:     by_value
      - .address_space:  global
        .offset:         32
        .size:           8
        .value_kind:     global_buffer
      - .offset:         40
        .size:           8
        .value_kind:     by_value
      - .offset:         48
        .size:           4
        .value_kind:     by_value
      - .offset:         56
        .size:           8
        .value_kind:     by_value
      - .address_space:  global
        .offset:         64
        .size:           8
        .value_kind:     global_buffer
      - .offset:         72
        .size:           8
        .value_kind:     by_value
      - .offset:         80
        .size:           4
        .value_kind:     by_value
      - .offset:         88
        .size:           8
        .value_kind:     by_value
      - .offset:         96
        .size:           4
        .value_kind:     by_value
      - .offset:         104
        .size:           4
        .value_kind:     hidden_block_count_x
      - .offset:         108
        .size:           4
        .value_kind:     hidden_block_count_y
      - .offset:         112
        .size:           4
        .value_kind:     hidden_block_count_z
      - .offset:         116
        .size:           2
        .value_kind:     hidden_group_size_x
      - .offset:         118
        .size:           2
        .value_kind:     hidden_group_size_y
      - .offset:         120
        .size:           2
        .value_kind:     hidden_group_size_z
      - .offset:         122
        .size:           2
        .value_kind:     hidden_remainder_x
      - .offset:         124
        .size:           2
        .value_kind:     hidden_remainder_y
      - .offset:         126
        .size:           2
        .value_kind:     hidden_remainder_z
      - .offset:         144
        .size:           8
        .value_kind:     hidden_global_offset_x
      - .offset:         152
        .size:           8
        .value_kind:     hidden_global_offset_y
      - .offset:         160
        .size:           8
        .value_kind:     hidden_global_offset_z
      - .offset:         168
        .size:           2
        .value_kind:     hidden_grid_dims
    .group_segment_fixed_size: 1024
    .kernarg_segment_align: 8
    .kernarg_segment_size: 360
    .language:       OpenCL C
    .language_version:
      - 2
      - 0
    .max_flat_workgroup_size: 8
    .name:           _ZL30rocblas_trsm_small_left_deviceILi8ELi8ELb1E19rocblas_complex_numIfES1_PKS1_PS1_Ev13rocblas_fill_18rocblas_operation_17rocblas_diagonal_iiT3_T4_lilT5_lili
    .private_segment_fixed_size: 0
    .sgpr_count:     59
    .sgpr_spill_count: 0
    .symbol:         _ZL30rocblas_trsm_small_left_deviceILi8ELi8ELb1E19rocblas_complex_numIfES1_PKS1_PS1_Ev13rocblas_fill_18rocblas_operation_17rocblas_diagonal_iiT3_T4_lilT5_lili.kd
    .uniform_work_group_size: 1
    .uses_dynamic_stack: false
    .vgpr_count:     38
    .vgpr_spill_count: 0
    .wavefront_size: 32
  - .args:
      - .offset:         0
        .size:           4
        .value_kind:     by_value
      - .offset:         4
        .size:           4
        .value_kind:     by_value
      - .offset:         8
        .size:           4
        .value_kind:     by_value
      - .offset:         12
        .size:           4
        .value_kind:     by_value
      - .offset:         16
        .size:           4
        .value_kind:     by_value
      - .offset:         20
        .size:           8
        .value_kind:     by_value
      - .address_space:  global
        .offset:         32
        .size:           8
        .value_kind:     global_buffer
      - .offset:         40
        .size:           8
        .value_kind:     by_value
      - .offset:         48
        .size:           4
        .value_kind:     by_value
      - .offset:         56
        .size:           8
        .value_kind:     by_value
      - .address_space:  global
        .offset:         64
        .size:           8
        .value_kind:     global_buffer
      - .offset:         72
        .size:           8
        .value_kind:     by_value
      - .offset:         80
        .size:           4
        .value_kind:     by_value
      - .offset:         88
        .size:           8
        .value_kind:     by_value
      - .offset:         96
        .size:           4
        .value_kind:     by_value
      - .offset:         104
        .size:           4
        .value_kind:     hidden_block_count_x
      - .offset:         108
        .size:           4
        .value_kind:     hidden_block_count_y
      - .offset:         112
        .size:           4
        .value_kind:     hidden_block_count_z
      - .offset:         116
        .size:           2
        .value_kind:     hidden_group_size_x
      - .offset:         118
        .size:           2
        .value_kind:     hidden_group_size_y
      - .offset:         120
        .size:           2
        .value_kind:     hidden_group_size_z
      - .offset:         122
        .size:           2
        .value_kind:     hidden_remainder_x
      - .offset:         124
        .size:           2
        .value_kind:     hidden_remainder_y
      - .offset:         126
        .size:           2
        .value_kind:     hidden_remainder_z
      - .offset:         144
        .size:           8
        .value_kind:     hidden_global_offset_x
      - .offset:         152
        .size:           8
        .value_kind:     hidden_global_offset_y
      - .offset:         160
        .size:           8
        .value_kind:     hidden_global_offset_z
      - .offset:         168
        .size:           2
        .value_kind:     hidden_grid_dims
    .group_segment_fixed_size: 1024
    .kernarg_segment_align: 8
    .kernarg_segment_size: 360
    .language:       OpenCL C
    .language_version:
      - 2
      - 0
    .max_flat_workgroup_size: 8
    .name:           _ZL31rocblas_trsm_small_right_deviceI19rocblas_complex_numIfES1_PKS1_PS1_Li8EEv13rocblas_fill_18rocblas_operation_17rocblas_diagonal_iiT0_T1_lilT2_lili
    .private_segment_fixed_size: 0
    .sgpr_count:     56
    .sgpr_spill_count: 0
    .symbol:         _ZL31rocblas_trsm_small_right_deviceI19rocblas_complex_numIfES1_PKS1_PS1_Li8EEv13rocblas_fill_18rocblas_operation_17rocblas_diagonal_iiT0_T1_lilT2_lili.kd
    .uniform_work_group_size: 1
    .uses_dynamic_stack: false
    .vgpr_count:     46
    .vgpr_spill_count: 0
    .wavefront_size: 32
  - .args:
      - .offset:         0
        .size:           4
        .value_kind:     by_value
      - .offset:         4
        .size:           4
        .value_kind:     by_value
      - .offset:         8
        .size:           4
        .value_kind:     by_value
      - .offset:         12
        .size:           4
        .value_kind:     by_value
      - .offset:         16
        .size:           4
        .value_kind:     by_value
      - .offset:         20
        .size:           8
        .value_kind:     by_value
      - .address_space:  global
        .offset:         32
        .size:           8
        .value_kind:     global_buffer
      - .offset:         40
        .size:           8
        .value_kind:     by_value
      - .offset:         48
        .size:           4
        .value_kind:     by_value
      - .offset:         56
        .size:           8
        .value_kind:     by_value
      - .address_space:  global
        .offset:         64
        .size:           8
        .value_kind:     global_buffer
      - .offset:         72
        .size:           8
        .value_kind:     by_value
      - .offset:         80
        .size:           4
        .value_kind:     by_value
      - .offset:         88
        .size:           8
        .value_kind:     by_value
      - .offset:         96
        .size:           4
        .value_kind:     by_value
      - .offset:         104
        .size:           4
        .value_kind:     hidden_block_count_x
      - .offset:         108
        .size:           4
        .value_kind:     hidden_block_count_y
      - .offset:         112
        .size:           4
        .value_kind:     hidden_block_count_z
      - .offset:         116
        .size:           2
        .value_kind:     hidden_group_size_x
      - .offset:         118
        .size:           2
        .value_kind:     hidden_group_size_y
      - .offset:         120
        .size:           2
        .value_kind:     hidden_group_size_z
      - .offset:         122
        .size:           2
        .value_kind:     hidden_remainder_x
      - .offset:         124
        .size:           2
        .value_kind:     hidden_remainder_y
      - .offset:         126
        .size:           2
        .value_kind:     hidden_remainder_z
      - .offset:         144
        .size:           8
        .value_kind:     hidden_global_offset_x
      - .offset:         152
        .size:           8
        .value_kind:     hidden_global_offset_y
      - .offset:         160
        .size:           8
        .value_kind:     hidden_global_offset_z
      - .offset:         168
        .size:           2
        .value_kind:     hidden_grid_dims
    .group_segment_fixed_size: 3456
    .kernarg_segment_align: 8
    .kernarg_segment_size: 360
    .language:       OpenCL C
    .language_version:
      - 2
      - 0
    .max_flat_workgroup_size: 12
    .name:           _ZL38rocblas_trsm_small_left_device_sharedBILi12ELi12ELb0E19rocblas_complex_numIfES1_PKS1_PS1_Ev13rocblas_fill_18rocblas_operation_17rocblas_diagonal_iiT3_T4_lilT5_lili
    .private_segment_fixed_size: 0
    .sgpr_count:     50
    .sgpr_spill_count: 0
    .symbol:         _ZL38rocblas_trsm_small_left_device_sharedBILi12ELi12ELb0E19rocblas_complex_numIfES1_PKS1_PS1_Ev13rocblas_fill_18rocblas_operation_17rocblas_diagonal_iiT3_T4_lilT5_lili.kd
    .uniform_work_group_size: 1
    .uses_dynamic_stack: false
    .vgpr_count:     36
    .vgpr_spill_count: 0
    .wavefront_size: 32
  - .args:
      - .offset:         0
        .size:           4
        .value_kind:     by_value
      - .offset:         4
        .size:           4
        .value_kind:     by_value
      - .offset:         8
        .size:           4
        .value_kind:     by_value
      - .offset:         12
        .size:           4
        .value_kind:     by_value
      - .offset:         16
        .size:           4
        .value_kind:     by_value
      - .offset:         20
        .size:           8
        .value_kind:     by_value
      - .address_space:  global
        .offset:         32
        .size:           8
        .value_kind:     global_buffer
      - .offset:         40
        .size:           8
        .value_kind:     by_value
      - .offset:         48
        .size:           4
        .value_kind:     by_value
      - .offset:         56
        .size:           8
        .value_kind:     by_value
      - .address_space:  global
        .offset:         64
        .size:           8
        .value_kind:     global_buffer
      - .offset:         72
        .size:           8
        .value_kind:     by_value
      - .offset:         80
        .size:           4
        .value_kind:     by_value
      - .offset:         88
        .size:           8
        .value_kind:     by_value
      - .offset:         96
        .size:           4
        .value_kind:     by_value
      - .offset:         104
        .size:           4
        .value_kind:     hidden_block_count_x
      - .offset:         108
        .size:           4
        .value_kind:     hidden_block_count_y
      - .offset:         112
        .size:           4
        .value_kind:     hidden_block_count_z
      - .offset:         116
        .size:           2
        .value_kind:     hidden_group_size_x
      - .offset:         118
        .size:           2
        .value_kind:     hidden_group_size_y
      - .offset:         120
        .size:           2
        .value_kind:     hidden_group_size_z
      - .offset:         122
        .size:           2
        .value_kind:     hidden_remainder_x
      - .offset:         124
        .size:           2
        .value_kind:     hidden_remainder_y
      - .offset:         126
        .size:           2
        .value_kind:     hidden_remainder_z
      - .offset:         144
        .size:           8
        .value_kind:     hidden_global_offset_x
      - .offset:         152
        .size:           8
        .value_kind:     hidden_global_offset_y
      - .offset:         160
        .size:           8
        .value_kind:     hidden_global_offset_z
      - .offset:         168
        .size:           2
        .value_kind:     hidden_grid_dims
    .group_segment_fixed_size: 2304
    .kernarg_segment_align: 8
    .kernarg_segment_size: 360
    .language:       OpenCL C
    .language_version:
      - 2
      - 0
    .max_flat_workgroup_size: 12
    .name:           _ZL30rocblas_trsm_small_left_deviceILi12ELi12ELb0E19rocblas_complex_numIfES1_PKS1_PS1_Ev13rocblas_fill_18rocblas_operation_17rocblas_diagonal_iiT3_T4_lilT5_lili
    .private_segment_fixed_size: 0
    .sgpr_count:     58
    .sgpr_spill_count: 0
    .symbol:         _ZL30rocblas_trsm_small_left_deviceILi12ELi12ELb0E19rocblas_complex_numIfES1_PKS1_PS1_Ev13rocblas_fill_18rocblas_operation_17rocblas_diagonal_iiT3_T4_lilT5_lili.kd
    .uniform_work_group_size: 1
    .uses_dynamic_stack: false
    .vgpr_count:     38
    .vgpr_spill_count: 0
    .wavefront_size: 32
  - .args:
      - .offset:         0
        .size:           4
        .value_kind:     by_value
      - .offset:         4
        .size:           4
        .value_kind:     by_value
      - .offset:         8
        .size:           4
        .value_kind:     by_value
      - .offset:         12
        .size:           4
        .value_kind:     by_value
      - .offset:         16
        .size:           4
        .value_kind:     by_value
      - .offset:         20
        .size:           8
        .value_kind:     by_value
      - .address_space:  global
        .offset:         32
        .size:           8
        .value_kind:     global_buffer
      - .offset:         40
        .size:           8
        .value_kind:     by_value
      - .offset:         48
        .size:           4
        .value_kind:     by_value
      - .offset:         56
        .size:           8
        .value_kind:     by_value
      - .address_space:  global
        .offset:         64
        .size:           8
        .value_kind:     global_buffer
      - .offset:         72
        .size:           8
        .value_kind:     by_value
      - .offset:         80
        .size:           4
        .value_kind:     by_value
      - .offset:         88
        .size:           8
        .value_kind:     by_value
      - .offset:         96
        .size:           4
        .value_kind:     by_value
      - .offset:         104
        .size:           4
        .value_kind:     hidden_block_count_x
      - .offset:         108
        .size:           4
        .value_kind:     hidden_block_count_y
      - .offset:         112
        .size:           4
        .value_kind:     hidden_block_count_z
      - .offset:         116
        .size:           2
        .value_kind:     hidden_group_size_x
      - .offset:         118
        .size:           2
        .value_kind:     hidden_group_size_y
      - .offset:         120
        .size:           2
        .value_kind:     hidden_group_size_z
      - .offset:         122
        .size:           2
        .value_kind:     hidden_remainder_x
      - .offset:         124
        .size:           2
        .value_kind:     hidden_remainder_y
      - .offset:         126
        .size:           2
        .value_kind:     hidden_remainder_z
      - .offset:         144
        .size:           8
        .value_kind:     hidden_global_offset_x
      - .offset:         152
        .size:           8
        .value_kind:     hidden_global_offset_y
      - .offset:         160
        .size:           8
        .value_kind:     hidden_global_offset_z
      - .offset:         168
        .size:           2
        .value_kind:     hidden_grid_dims
    .group_segment_fixed_size: 3456
    .kernarg_segment_align: 8
    .kernarg_segment_size: 360
    .language:       OpenCL C
    .language_version:
      - 2
      - 0
    .max_flat_workgroup_size: 12
    .name:           _ZL38rocblas_trsm_small_left_device_sharedBILi12ELi12ELb1E19rocblas_complex_numIfES1_PKS1_PS1_Ev13rocblas_fill_18rocblas_operation_17rocblas_diagonal_iiT3_T4_lilT5_lili
    .private_segment_fixed_size: 0
    .sgpr_count:     49
    .sgpr_spill_count: 0
    .symbol:         _ZL38rocblas_trsm_small_left_device_sharedBILi12ELi12ELb1E19rocblas_complex_numIfES1_PKS1_PS1_Ev13rocblas_fill_18rocblas_operation_17rocblas_diagonal_iiT3_T4_lilT5_lili.kd
    .uniform_work_group_size: 1
    .uses_dynamic_stack: false
    .vgpr_count:     36
    .vgpr_spill_count: 0
    .wavefront_size: 32
  - .args:
      - .offset:         0
        .size:           4
        .value_kind:     by_value
      - .offset:         4
        .size:           4
        .value_kind:     by_value
      - .offset:         8
        .size:           4
        .value_kind:     by_value
      - .offset:         12
        .size:           4
        .value_kind:     by_value
      - .offset:         16
        .size:           4
        .value_kind:     by_value
      - .offset:         20
        .size:           8
        .value_kind:     by_value
      - .address_space:  global
        .offset:         32
        .size:           8
        .value_kind:     global_buffer
      - .offset:         40
        .size:           8
        .value_kind:     by_value
      - .offset:         48
        .size:           4
        .value_kind:     by_value
      - .offset:         56
        .size:           8
        .value_kind:     by_value
      - .address_space:  global
        .offset:         64
        .size:           8
        .value_kind:     global_buffer
      - .offset:         72
        .size:           8
        .value_kind:     by_value
      - .offset:         80
        .size:           4
        .value_kind:     by_value
      - .offset:         88
        .size:           8
        .value_kind:     by_value
      - .offset:         96
        .size:           4
        .value_kind:     by_value
      - .offset:         104
        .size:           4
        .value_kind:     hidden_block_count_x
      - .offset:         108
        .size:           4
        .value_kind:     hidden_block_count_y
      - .offset:         112
        .size:           4
        .value_kind:     hidden_block_count_z
      - .offset:         116
        .size:           2
        .value_kind:     hidden_group_size_x
      - .offset:         118
        .size:           2
        .value_kind:     hidden_group_size_y
      - .offset:         120
        .size:           2
        .value_kind:     hidden_group_size_z
      - .offset:         122
        .size:           2
        .value_kind:     hidden_remainder_x
      - .offset:         124
        .size:           2
        .value_kind:     hidden_remainder_y
      - .offset:         126
        .size:           2
        .value_kind:     hidden_remainder_z
      - .offset:         144
        .size:           8
        .value_kind:     hidden_global_offset_x
      - .offset:         152
        .size:           8
        .value_kind:     hidden_global_offset_y
      - .offset:         160
        .size:           8
        .value_kind:     hidden_global_offset_z
      - .offset:         168
        .size:           2
        .value_kind:     hidden_grid_dims
    .group_segment_fixed_size: 2304
    .kernarg_segment_align: 8
    .kernarg_segment_size: 360
    .language:       OpenCL C
    .language_version:
      - 2
      - 0
    .max_flat_workgroup_size: 12
    .name:           _ZL30rocblas_trsm_small_left_deviceILi12ELi12ELb1E19rocblas_complex_numIfES1_PKS1_PS1_Ev13rocblas_fill_18rocblas_operation_17rocblas_diagonal_iiT3_T4_lilT5_lili
    .private_segment_fixed_size: 0
    .sgpr_count:     59
    .sgpr_spill_count: 0
    .symbol:         _ZL30rocblas_trsm_small_left_deviceILi12ELi12ELb1E19rocblas_complex_numIfES1_PKS1_PS1_Ev13rocblas_fill_18rocblas_operation_17rocblas_diagonal_iiT3_T4_lilT5_lili.kd
    .uniform_work_group_size: 1
    .uses_dynamic_stack: false
    .vgpr_count:     38
    .vgpr_spill_count: 0
    .wavefront_size: 32
  - .args:
      - .offset:         0
        .size:           4
        .value_kind:     by_value
      - .offset:         4
        .size:           4
        .value_kind:     by_value
      - .offset:         8
        .size:           4
        .value_kind:     by_value
      - .offset:         12
        .size:           4
        .value_kind:     by_value
      - .offset:         16
        .size:           4
        .value_kind:     by_value
      - .offset:         20
        .size:           8
        .value_kind:     by_value
      - .address_space:  global
        .offset:         32
        .size:           8
        .value_kind:     global_buffer
      - .offset:         40
        .size:           8
        .value_kind:     by_value
      - .offset:         48
        .size:           4
        .value_kind:     by_value
      - .offset:         56
        .size:           8
        .value_kind:     by_value
      - .address_space:  global
        .offset:         64
        .size:           8
        .value_kind:     global_buffer
      - .offset:         72
        .size:           8
        .value_kind:     by_value
      - .offset:         80
        .size:           4
        .value_kind:     by_value
      - .offset:         88
        .size:           8
        .value_kind:     by_value
      - .offset:         96
        .size:           4
        .value_kind:     by_value
      - .offset:         104
        .size:           4
        .value_kind:     hidden_block_count_x
      - .offset:         108
        .size:           4
        .value_kind:     hidden_block_count_y
      - .offset:         112
        .size:           4
        .value_kind:     hidden_block_count_z
      - .offset:         116
        .size:           2
        .value_kind:     hidden_group_size_x
      - .offset:         118
        .size:           2
        .value_kind:     hidden_group_size_y
      - .offset:         120
        .size:           2
        .value_kind:     hidden_group_size_z
      - .offset:         122
        .size:           2
        .value_kind:     hidden_remainder_x
      - .offset:         124
        .size:           2
        .value_kind:     hidden_remainder_y
      - .offset:         126
        .size:           2
        .value_kind:     hidden_remainder_z
      - .offset:         144
        .size:           8
        .value_kind:     hidden_global_offset_x
      - .offset:         152
        .size:           8
        .value_kind:     hidden_global_offset_y
      - .offset:         160
        .size:           8
        .value_kind:     hidden_global_offset_z
      - .offset:         168
        .size:           2
        .value_kind:     hidden_grid_dims
    .group_segment_fixed_size: 2304
    .kernarg_segment_align: 8
    .kernarg_segment_size: 360
    .language:       OpenCL C
    .language_version:
      - 2
      - 0
    .max_flat_workgroup_size: 12
    .name:           _ZL31rocblas_trsm_small_right_deviceI19rocblas_complex_numIfES1_PKS1_PS1_Li12EEv13rocblas_fill_18rocblas_operation_17rocblas_diagonal_iiT0_T1_lilT2_lili
    .private_segment_fixed_size: 0
    .sgpr_count:     55
    .sgpr_spill_count: 0
    .symbol:         _ZL31rocblas_trsm_small_right_deviceI19rocblas_complex_numIfES1_PKS1_PS1_Li12EEv13rocblas_fill_18rocblas_operation_17rocblas_diagonal_iiT0_T1_lilT2_lili.kd
    .uniform_work_group_size: 1
    .uses_dynamic_stack: false
    .vgpr_count:     46
    .vgpr_spill_count: 0
    .wavefront_size: 32
  - .args:
      - .offset:         0
        .size:           4
        .value_kind:     by_value
      - .offset:         4
        .size:           4
        .value_kind:     by_value
      - .offset:         8
        .size:           4
        .value_kind:     by_value
      - .offset:         12
        .size:           4
        .value_kind:     by_value
      - .offset:         16
        .size:           4
        .value_kind:     by_value
      - .offset:         20
        .size:           8
        .value_kind:     by_value
      - .address_space:  global
        .offset:         32
        .size:           8
        .value_kind:     global_buffer
      - .offset:         40
        .size:           8
        .value_kind:     by_value
      - .offset:         48
        .size:           4
        .value_kind:     by_value
      - .offset:         56
        .size:           8
        .value_kind:     by_value
      - .address_space:  global
        .offset:         64
        .size:           8
        .value_kind:     global_buffer
      - .offset:         72
        .size:           8
        .value_kind:     by_value
      - .offset:         80
        .size:           4
        .value_kind:     by_value
      - .offset:         88
        .size:           8
        .value_kind:     by_value
      - .offset:         96
        .size:           4
        .value_kind:     by_value
      - .offset:         104
        .size:           4
        .value_kind:     hidden_block_count_x
      - .offset:         108
        .size:           4
        .value_kind:     hidden_block_count_y
      - .offset:         112
        .size:           4
        .value_kind:     hidden_block_count_z
      - .offset:         116
        .size:           2
        .value_kind:     hidden_group_size_x
      - .offset:         118
        .size:           2
        .value_kind:     hidden_group_size_y
      - .offset:         120
        .size:           2
        .value_kind:     hidden_group_size_z
      - .offset:         122
        .size:           2
        .value_kind:     hidden_remainder_x
      - .offset:         124
        .size:           2
        .value_kind:     hidden_remainder_y
      - .offset:         126
        .size:           2
        .value_kind:     hidden_remainder_z
      - .offset:         144
        .size:           8
        .value_kind:     hidden_global_offset_x
      - .offset:         152
        .size:           8
        .value_kind:     hidden_global_offset_y
      - .offset:         160
        .size:           8
        .value_kind:     hidden_global_offset_z
      - .offset:         168
        .size:           2
        .value_kind:     hidden_grid_dims
    .group_segment_fixed_size: 4096
    .kernarg_segment_align: 8
    .kernarg_segment_size: 360
    .language:       OpenCL C
    .language_version:
      - 2
      - 0
    .max_flat_workgroup_size: 16
    .name:           _ZL38rocblas_trsm_small_left_device_sharedBILi16ELi16ELb0E19rocblas_complex_numIfES1_PKS1_PS1_Ev13rocblas_fill_18rocblas_operation_17rocblas_diagonal_iiT3_T4_lilT5_lili
    .private_segment_fixed_size: 144
    .sgpr_count:     63
    .sgpr_spill_count: 0
    .symbol:         _ZL38rocblas_trsm_small_left_device_sharedBILi16ELi16ELb0E19rocblas_complex_numIfES1_PKS1_PS1_Ev13rocblas_fill_18rocblas_operation_17rocblas_diagonal_iiT3_T4_lilT5_lili.kd
    .uniform_work_group_size: 1
    .uses_dynamic_stack: false
    .vgpr_count:     34
    .vgpr_spill_count: 0
    .wavefront_size: 32
  - .args:
      - .offset:         0
        .size:           4
        .value_kind:     by_value
      - .offset:         4
        .size:           4
        .value_kind:     by_value
      - .offset:         8
        .size:           4
        .value_kind:     by_value
      - .offset:         12
        .size:           4
        .value_kind:     by_value
      - .offset:         16
        .size:           4
        .value_kind:     by_value
      - .offset:         20
        .size:           8
        .value_kind:     by_value
      - .address_space:  global
        .offset:         32
        .size:           8
        .value_kind:     global_buffer
      - .offset:         40
        .size:           8
        .value_kind:     by_value
      - .offset:         48
        .size:           4
        .value_kind:     by_value
      - .offset:         56
        .size:           8
        .value_kind:     by_value
      - .address_space:  global
        .offset:         64
        .size:           8
        .value_kind:     global_buffer
      - .offset:         72
        .size:           8
        .value_kind:     by_value
      - .offset:         80
        .size:           4
        .value_kind:     by_value
      - .offset:         88
        .size:           8
        .value_kind:     by_value
      - .offset:         96
        .size:           4
        .value_kind:     by_value
      - .offset:         104
        .size:           4
        .value_kind:     hidden_block_count_x
      - .offset:         108
        .size:           4
        .value_kind:     hidden_block_count_y
      - .offset:         112
        .size:           4
        .value_kind:     hidden_block_count_z
      - .offset:         116
        .size:           2
        .value_kind:     hidden_group_size_x
      - .offset:         118
        .size:           2
        .value_kind:     hidden_group_size_y
      - .offset:         120
        .size:           2
        .value_kind:     hidden_group_size_z
      - .offset:         122
        .size:           2
        .value_kind:     hidden_remainder_x
      - .offset:         124
        .size:           2
        .value_kind:     hidden_remainder_y
      - .offset:         126
        .size:           2
        .value_kind:     hidden_remainder_z
      - .offset:         144
        .size:           8
        .value_kind:     hidden_global_offset_x
      - .offset:         152
        .size:           8
        .value_kind:     hidden_global_offset_y
      - .offset:         160
        .size:           8
        .value_kind:     hidden_global_offset_z
      - .offset:         168
        .size:           2
        .value_kind:     hidden_grid_dims
    .group_segment_fixed_size: 4096
    .kernarg_segment_align: 8
    .kernarg_segment_size: 360
    .language:       OpenCL C
    .language_version:
      - 2
      - 0
    .max_flat_workgroup_size: 16
    .name:           _ZL30rocblas_trsm_small_left_deviceILi16ELi16ELb0E19rocblas_complex_numIfES1_PKS1_PS1_Ev13rocblas_fill_18rocblas_operation_17rocblas_diagonal_iiT3_T4_lilT5_lili
    .private_segment_fixed_size: 0
    .sgpr_count:     58
    .sgpr_spill_count: 0
    .symbol:         _ZL30rocblas_trsm_small_left_deviceILi16ELi16ELb0E19rocblas_complex_numIfES1_PKS1_PS1_Ev13rocblas_fill_18rocblas_operation_17rocblas_diagonal_iiT3_T4_lilT5_lili.kd
    .uniform_work_group_size: 1
    .uses_dynamic_stack: false
    .vgpr_count:     38
    .vgpr_spill_count: 0
    .wavefront_size: 32
  - .args:
      - .offset:         0
        .size:           4
        .value_kind:     by_value
      - .offset:         4
        .size:           4
        .value_kind:     by_value
      - .offset:         8
        .size:           4
        .value_kind:     by_value
      - .offset:         12
        .size:           4
        .value_kind:     by_value
      - .offset:         16
        .size:           4
        .value_kind:     by_value
      - .offset:         20
        .size:           8
        .value_kind:     by_value
      - .address_space:  global
        .offset:         32
        .size:           8
        .value_kind:     global_buffer
      - .offset:         40
        .size:           8
        .value_kind:     by_value
      - .offset:         48
        .size:           4
        .value_kind:     by_value
      - .offset:         56
        .size:           8
        .value_kind:     by_value
      - .address_space:  global
        .offset:         64
        .size:           8
        .value_kind:     global_buffer
      - .offset:         72
        .size:           8
        .value_kind:     by_value
      - .offset:         80
        .size:           4
        .value_kind:     by_value
      - .offset:         88
        .size:           8
        .value_kind:     by_value
      - .offset:         96
        .size:           4
        .value_kind:     by_value
      - .offset:         104
        .size:           4
        .value_kind:     hidden_block_count_x
      - .offset:         108
        .size:           4
        .value_kind:     hidden_block_count_y
      - .offset:         112
        .size:           4
        .value_kind:     hidden_block_count_z
      - .offset:         116
        .size:           2
        .value_kind:     hidden_group_size_x
      - .offset:         118
        .size:           2
        .value_kind:     hidden_group_size_y
      - .offset:         120
        .size:           2
        .value_kind:     hidden_group_size_z
      - .offset:         122
        .size:           2
        .value_kind:     hidden_remainder_x
      - .offset:         124
        .size:           2
        .value_kind:     hidden_remainder_y
      - .offset:         126
        .size:           2
        .value_kind:     hidden_remainder_z
      - .offset:         144
        .size:           8
        .value_kind:     hidden_global_offset_x
      - .offset:         152
        .size:           8
        .value_kind:     hidden_global_offset_y
      - .offset:         160
        .size:           8
        .value_kind:     hidden_global_offset_z
      - .offset:         168
        .size:           2
        .value_kind:     hidden_grid_dims
    .group_segment_fixed_size: 4096
    .kernarg_segment_align: 8
    .kernarg_segment_size: 360
    .language:       OpenCL C
    .language_version:
      - 2
      - 0
    .max_flat_workgroup_size: 16
    .name:           _ZL38rocblas_trsm_small_left_device_sharedBILi16ELi16ELb1E19rocblas_complex_numIfES1_PKS1_PS1_Ev13rocblas_fill_18rocblas_operation_17rocblas_diagonal_iiT3_T4_lilT5_lili
    .private_segment_fixed_size: 144
    .sgpr_count:     62
    .sgpr_spill_count: 0
    .symbol:         _ZL38rocblas_trsm_small_left_device_sharedBILi16ELi16ELb1E19rocblas_complex_numIfES1_PKS1_PS1_Ev13rocblas_fill_18rocblas_operation_17rocblas_diagonal_iiT3_T4_lilT5_lili.kd
    .uniform_work_group_size: 1
    .uses_dynamic_stack: false
    .vgpr_count:     34
    .vgpr_spill_count: 0
    .wavefront_size: 32
  - .args:
      - .offset:         0
        .size:           4
        .value_kind:     by_value
      - .offset:         4
        .size:           4
        .value_kind:     by_value
      - .offset:         8
        .size:           4
        .value_kind:     by_value
      - .offset:         12
        .size:           4
        .value_kind:     by_value
      - .offset:         16
        .size:           4
        .value_kind:     by_value
      - .offset:         20
        .size:           8
        .value_kind:     by_value
      - .address_space:  global
        .offset:         32
        .size:           8
        .value_kind:     global_buffer
      - .offset:         40
        .size:           8
        .value_kind:     by_value
      - .offset:         48
        .size:           4
        .value_kind:     by_value
      - .offset:         56
        .size:           8
        .value_kind:     by_value
      - .address_space:  global
        .offset:         64
        .size:           8
        .value_kind:     global_buffer
      - .offset:         72
        .size:           8
        .value_kind:     by_value
      - .offset:         80
        .size:           4
        .value_kind:     by_value
      - .offset:         88
        .size:           8
        .value_kind:     by_value
      - .offset:         96
        .size:           4
        .value_kind:     by_value
      - .offset:         104
        .size:           4
        .value_kind:     hidden_block_count_x
      - .offset:         108
        .size:           4
        .value_kind:     hidden_block_count_y
      - .offset:         112
        .size:           4
        .value_kind:     hidden_block_count_z
      - .offset:         116
        .size:           2
        .value_kind:     hidden_group_size_x
      - .offset:         118
        .size:           2
        .value_kind:     hidden_group_size_y
      - .offset:         120
        .size:           2
        .value_kind:     hidden_group_size_z
      - .offset:         122
        .size:           2
        .value_kind:     hidden_remainder_x
      - .offset:         124
        .size:           2
        .value_kind:     hidden_remainder_y
      - .offset:         126
        .size:           2
        .value_kind:     hidden_remainder_z
      - .offset:         144
        .size:           8
        .value_kind:     hidden_global_offset_x
      - .offset:         152
        .size:           8
        .value_kind:     hidden_global_offset_y
      - .offset:         160
        .size:           8
        .value_kind:     hidden_global_offset_z
      - .offset:         168
        .size:           2
        .value_kind:     hidden_grid_dims
    .group_segment_fixed_size: 4096
    .kernarg_segment_align: 8
    .kernarg_segment_size: 360
    .language:       OpenCL C
    .language_version:
      - 2
      - 0
    .max_flat_workgroup_size: 16
    .name:           _ZL30rocblas_trsm_small_left_deviceILi16ELi16ELb1E19rocblas_complex_numIfES1_PKS1_PS1_Ev13rocblas_fill_18rocblas_operation_17rocblas_diagonal_iiT3_T4_lilT5_lili
    .private_segment_fixed_size: 0
    .sgpr_count:     59
    .sgpr_spill_count: 0
    .symbol:         _ZL30rocblas_trsm_small_left_deviceILi16ELi16ELb1E19rocblas_complex_numIfES1_PKS1_PS1_Ev13rocblas_fill_18rocblas_operation_17rocblas_diagonal_iiT3_T4_lilT5_lili.kd
    .uniform_work_group_size: 1
    .uses_dynamic_stack: false
    .vgpr_count:     38
    .vgpr_spill_count: 0
    .wavefront_size: 32
  - .args:
      - .offset:         0
        .size:           4
        .value_kind:     by_value
      - .offset:         4
        .size:           4
        .value_kind:     by_value
      - .offset:         8
        .size:           4
        .value_kind:     by_value
      - .offset:         12
        .size:           4
        .value_kind:     by_value
      - .offset:         16
        .size:           4
        .value_kind:     by_value
      - .offset:         20
        .size:           8
        .value_kind:     by_value
      - .address_space:  global
        .offset:         32
        .size:           8
        .value_kind:     global_buffer
      - .offset:         40
        .size:           8
        .value_kind:     by_value
      - .offset:         48
        .size:           4
        .value_kind:     by_value
      - .offset:         56
        .size:           8
        .value_kind:     by_value
      - .address_space:  global
        .offset:         64
        .size:           8
        .value_kind:     global_buffer
      - .offset:         72
        .size:           8
        .value_kind:     by_value
      - .offset:         80
        .size:           4
        .value_kind:     by_value
      - .offset:         88
        .size:           8
        .value_kind:     by_value
      - .offset:         96
        .size:           4
        .value_kind:     by_value
      - .offset:         104
        .size:           4
        .value_kind:     hidden_block_count_x
      - .offset:         108
        .size:           4
        .value_kind:     hidden_block_count_y
      - .offset:         112
        .size:           4
        .value_kind:     hidden_block_count_z
      - .offset:         116
        .size:           2
        .value_kind:     hidden_group_size_x
      - .offset:         118
        .size:           2
        .value_kind:     hidden_group_size_y
      - .offset:         120
        .size:           2
        .value_kind:     hidden_group_size_z
      - .offset:         122
        .size:           2
        .value_kind:     hidden_remainder_x
      - .offset:         124
        .size:           2
        .value_kind:     hidden_remainder_y
      - .offset:         126
        .size:           2
        .value_kind:     hidden_remainder_z
      - .offset:         144
        .size:           8
        .value_kind:     hidden_global_offset_x
      - .offset:         152
        .size:           8
        .value_kind:     hidden_global_offset_y
      - .offset:         160
        .size:           8
        .value_kind:     hidden_global_offset_z
      - .offset:         168
        .size:           2
        .value_kind:     hidden_grid_dims
    .group_segment_fixed_size: 4096
    .kernarg_segment_align: 8
    .kernarg_segment_size: 360
    .language:       OpenCL C
    .language_version:
      - 2
      - 0
    .max_flat_workgroup_size: 16
    .name:           _ZL31rocblas_trsm_small_right_deviceI19rocblas_complex_numIfES1_PKS1_PS1_Li16EEv13rocblas_fill_18rocblas_operation_17rocblas_diagonal_iiT0_T1_lilT2_lili
    .private_segment_fixed_size: 0
    .sgpr_count:     55
    .sgpr_spill_count: 0
    .symbol:         _ZL31rocblas_trsm_small_right_deviceI19rocblas_complex_numIfES1_PKS1_PS1_Li16EEv13rocblas_fill_18rocblas_operation_17rocblas_diagonal_iiT0_T1_lilT2_lili.kd
    .uniform_work_group_size: 1
    .uses_dynamic_stack: false
    .vgpr_count:     46
    .vgpr_spill_count: 0
    .wavefront_size: 32
  - .args:
      - .offset:         0
        .size:           4
        .value_kind:     by_value
      - .offset:         4
        .size:           4
        .value_kind:     by_value
      - .offset:         8
        .size:           4
        .value_kind:     by_value
      - .offset:         12
        .size:           4
        .value_kind:     by_value
      - .offset:         16
        .size:           4
        .value_kind:     by_value
      - .offset:         20
        .size:           8
        .value_kind:     by_value
      - .address_space:  global
        .offset:         32
        .size:           8
        .value_kind:     global_buffer
      - .offset:         40
        .size:           8
        .value_kind:     by_value
      - .offset:         48
        .size:           4
        .value_kind:     by_value
      - .offset:         56
        .size:           8
        .value_kind:     by_value
      - .address_space:  global
        .offset:         64
        .size:           8
        .value_kind:     global_buffer
      - .offset:         72
        .size:           8
        .value_kind:     by_value
      - .offset:         80
        .size:           4
        .value_kind:     by_value
      - .offset:         88
        .size:           8
        .value_kind:     by_value
      - .offset:         96
        .size:           4
        .value_kind:     by_value
      - .offset:         104
        .size:           4
        .value_kind:     hidden_block_count_x
      - .offset:         108
        .size:           4
        .value_kind:     hidden_block_count_y
      - .offset:         112
        .size:           4
        .value_kind:     hidden_block_count_z
      - .offset:         116
        .size:           2
        .value_kind:     hidden_group_size_x
      - .offset:         118
        .size:           2
        .value_kind:     hidden_group_size_y
      - .offset:         120
        .size:           2
        .value_kind:     hidden_group_size_z
      - .offset:         122
        .size:           2
        .value_kind:     hidden_remainder_x
      - .offset:         124
        .size:           2
        .value_kind:     hidden_remainder_y
      - .offset:         126
        .size:           2
        .value_kind:     hidden_remainder_z
      - .offset:         144
        .size:           8
        .value_kind:     hidden_global_offset_x
      - .offset:         152
        .size:           8
        .value_kind:     hidden_global_offset_y
      - .offset:         160
        .size:           8
        .value_kind:     hidden_global_offset_z
      - .offset:         168
        .size:           2
        .value_kind:     hidden_grid_dims
    .group_segment_fixed_size: 6400
    .kernarg_segment_align: 8
    .kernarg_segment_size: 360
    .language:       OpenCL C
    .language_version:
      - 2
      - 0
    .max_flat_workgroup_size: 20
    .name:           _ZL38rocblas_trsm_small_left_device_sharedBILi20ELi20ELb0E19rocblas_complex_numIfES1_PKS1_PS1_Ev13rocblas_fill_18rocblas_operation_17rocblas_diagonal_iiT3_T4_lilT5_lili
    .private_segment_fixed_size: 176
    .sgpr_count:     63
    .sgpr_spill_count: 0
    .symbol:         _ZL38rocblas_trsm_small_left_device_sharedBILi20ELi20ELb0E19rocblas_complex_numIfES1_PKS1_PS1_Ev13rocblas_fill_18rocblas_operation_17rocblas_diagonal_iiT3_T4_lilT5_lili.kd
    .uniform_work_group_size: 1
    .uses_dynamic_stack: false
    .vgpr_count:     34
    .vgpr_spill_count: 0
    .wavefront_size: 32
  - .args:
      - .offset:         0
        .size:           4
        .value_kind:     by_value
      - .offset:         4
        .size:           4
        .value_kind:     by_value
      - .offset:         8
        .size:           4
        .value_kind:     by_value
      - .offset:         12
        .size:           4
        .value_kind:     by_value
      - .offset:         16
        .size:           4
        .value_kind:     by_value
      - .offset:         20
        .size:           8
        .value_kind:     by_value
      - .address_space:  global
        .offset:         32
        .size:           8
        .value_kind:     global_buffer
      - .offset:         40
        .size:           8
        .value_kind:     by_value
      - .offset:         48
        .size:           4
        .value_kind:     by_value
      - .offset:         56
        .size:           8
        .value_kind:     by_value
      - .address_space:  global
        .offset:         64
        .size:           8
        .value_kind:     global_buffer
      - .offset:         72
        .size:           8
        .value_kind:     by_value
      - .offset:         80
        .size:           4
        .value_kind:     by_value
      - .offset:         88
        .size:           8
        .value_kind:     by_value
      - .offset:         96
        .size:           4
        .value_kind:     by_value
      - .offset:         104
        .size:           4
        .value_kind:     hidden_block_count_x
      - .offset:         108
        .size:           4
        .value_kind:     hidden_block_count_y
      - .offset:         112
        .size:           4
        .value_kind:     hidden_block_count_z
      - .offset:         116
        .size:           2
        .value_kind:     hidden_group_size_x
      - .offset:         118
        .size:           2
        .value_kind:     hidden_group_size_y
      - .offset:         120
        .size:           2
        .value_kind:     hidden_group_size_z
      - .offset:         122
        .size:           2
        .value_kind:     hidden_remainder_x
      - .offset:         124
        .size:           2
        .value_kind:     hidden_remainder_y
      - .offset:         126
        .size:           2
        .value_kind:     hidden_remainder_z
      - .offset:         144
        .size:           8
        .value_kind:     hidden_global_offset_x
      - .offset:         152
        .size:           8
        .value_kind:     hidden_global_offset_y
      - .offset:         160
        .size:           8
        .value_kind:     hidden_global_offset_z
      - .offset:         168
        .size:           2
        .value_kind:     hidden_grid_dims
    .group_segment_fixed_size: 3200
    .kernarg_segment_align: 8
    .kernarg_segment_size: 360
    .language:       OpenCL C
    .language_version:
      - 2
      - 0
    .max_flat_workgroup_size: 20
    .name:           _ZL30rocblas_trsm_small_left_deviceILi20ELi20ELb0E19rocblas_complex_numIfES1_PKS1_PS1_Ev13rocblas_fill_18rocblas_operation_17rocblas_diagonal_iiT3_T4_lilT5_lili
    .private_segment_fixed_size: 176
    .sgpr_count:     62
    .sgpr_spill_count: 0
    .symbol:         _ZL30rocblas_trsm_small_left_deviceILi20ELi20ELb0E19rocblas_complex_numIfES1_PKS1_PS1_Ev13rocblas_fill_18rocblas_operation_17rocblas_diagonal_iiT3_T4_lilT5_lili.kd
    .uniform_work_group_size: 1
    .uses_dynamic_stack: false
    .vgpr_count:     34
    .vgpr_spill_count: 0
    .wavefront_size: 32
  - .args:
      - .offset:         0
        .size:           4
        .value_kind:     by_value
      - .offset:         4
        .size:           4
        .value_kind:     by_value
      - .offset:         8
        .size:           4
        .value_kind:     by_value
      - .offset:         12
        .size:           4
        .value_kind:     by_value
      - .offset:         16
        .size:           4
        .value_kind:     by_value
      - .offset:         20
        .size:           8
        .value_kind:     by_value
      - .address_space:  global
        .offset:         32
        .size:           8
        .value_kind:     global_buffer
      - .offset:         40
        .size:           8
        .value_kind:     by_value
      - .offset:         48
        .size:           4
        .value_kind:     by_value
      - .offset:         56
        .size:           8
        .value_kind:     by_value
      - .address_space:  global
        .offset:         64
        .size:           8
        .value_kind:     global_buffer
      - .offset:         72
        .size:           8
        .value_kind:     by_value
      - .offset:         80
        .size:           4
        .value_kind:     by_value
      - .offset:         88
        .size:           8
        .value_kind:     by_value
      - .offset:         96
        .size:           4
        .value_kind:     by_value
      - .offset:         104
        .size:           4
        .value_kind:     hidden_block_count_x
      - .offset:         108
        .size:           4
        .value_kind:     hidden_block_count_y
      - .offset:         112
        .size:           4
        .value_kind:     hidden_block_count_z
      - .offset:         116
        .size:           2
        .value_kind:     hidden_group_size_x
      - .offset:         118
        .size:           2
        .value_kind:     hidden_group_size_y
      - .offset:         120
        .size:           2
        .value_kind:     hidden_group_size_z
      - .offset:         122
        .size:           2
        .value_kind:     hidden_remainder_x
      - .offset:         124
        .size:           2
        .value_kind:     hidden_remainder_y
      - .offset:         126
        .size:           2
        .value_kind:     hidden_remainder_z
      - .offset:         144
        .size:           8
        .value_kind:     hidden_global_offset_x
      - .offset:         152
        .size:           8
        .value_kind:     hidden_global_offset_y
      - .offset:         160
        .size:           8
        .value_kind:     hidden_global_offset_z
      - .offset:         168
        .size:           2
        .value_kind:     hidden_grid_dims
    .group_segment_fixed_size: 6400
    .kernarg_segment_align: 8
    .kernarg_segment_size: 360
    .language:       OpenCL C
    .language_version:
      - 2
      - 0
    .max_flat_workgroup_size: 20
    .name:           _ZL38rocblas_trsm_small_left_device_sharedBILi20ELi20ELb1E19rocblas_complex_numIfES1_PKS1_PS1_Ev13rocblas_fill_18rocblas_operation_17rocblas_diagonal_iiT3_T4_lilT5_lili
    .private_segment_fixed_size: 176
    .sgpr_count:     62
    .sgpr_spill_count: 0
    .symbol:         _ZL38rocblas_trsm_small_left_device_sharedBILi20ELi20ELb1E19rocblas_complex_numIfES1_PKS1_PS1_Ev13rocblas_fill_18rocblas_operation_17rocblas_diagonal_iiT3_T4_lilT5_lili.kd
    .uniform_work_group_size: 1
    .uses_dynamic_stack: false
    .vgpr_count:     34
    .vgpr_spill_count: 0
    .wavefront_size: 32
  - .args:
      - .offset:         0
        .size:           4
        .value_kind:     by_value
      - .offset:         4
        .size:           4
        .value_kind:     by_value
      - .offset:         8
        .size:           4
        .value_kind:     by_value
      - .offset:         12
        .size:           4
        .value_kind:     by_value
      - .offset:         16
        .size:           4
        .value_kind:     by_value
      - .offset:         20
        .size:           8
        .value_kind:     by_value
      - .address_space:  global
        .offset:         32
        .size:           8
        .value_kind:     global_buffer
      - .offset:         40
        .size:           8
        .value_kind:     by_value
      - .offset:         48
        .size:           4
        .value_kind:     by_value
      - .offset:         56
        .size:           8
        .value_kind:     by_value
      - .address_space:  global
        .offset:         64
        .size:           8
        .value_kind:     global_buffer
      - .offset:         72
        .size:           8
        .value_kind:     by_value
      - .offset:         80
        .size:           4
        .value_kind:     by_value
      - .offset:         88
        .size:           8
        .value_kind:     by_value
      - .offset:         96
        .size:           4
        .value_kind:     by_value
      - .offset:         104
        .size:           4
        .value_kind:     hidden_block_count_x
      - .offset:         108
        .size:           4
        .value_kind:     hidden_block_count_y
      - .offset:         112
        .size:           4
        .value_kind:     hidden_block_count_z
      - .offset:         116
        .size:           2
        .value_kind:     hidden_group_size_x
      - .offset:         118
        .size:           2
        .value_kind:     hidden_group_size_y
      - .offset:         120
        .size:           2
        .value_kind:     hidden_group_size_z
      - .offset:         122
        .size:           2
        .value_kind:     hidden_remainder_x
      - .offset:         124
        .size:           2
        .value_kind:     hidden_remainder_y
      - .offset:         126
        .size:           2
        .value_kind:     hidden_remainder_z
      - .offset:         144
        .size:           8
        .value_kind:     hidden_global_offset_x
      - .offset:         152
        .size:           8
        .value_kind:     hidden_global_offset_y
      - .offset:         160
        .size:           8
        .value_kind:     hidden_global_offset_z
      - .offset:         168
        .size:           2
        .value_kind:     hidden_grid_dims
    .group_segment_fixed_size: 3200
    .kernarg_segment_align: 8
    .kernarg_segment_size: 360
    .language:       OpenCL C
    .language_version:
      - 2
      - 0
    .max_flat_workgroup_size: 20
    .name:           _ZL30rocblas_trsm_small_left_deviceILi20ELi20ELb1E19rocblas_complex_numIfES1_PKS1_PS1_Ev13rocblas_fill_18rocblas_operation_17rocblas_diagonal_iiT3_T4_lilT5_lili
    .private_segment_fixed_size: 176
    .sgpr_count:     63
    .sgpr_spill_count: 0
    .symbol:         _ZL30rocblas_trsm_small_left_deviceILi20ELi20ELb1E19rocblas_complex_numIfES1_PKS1_PS1_Ev13rocblas_fill_18rocblas_operation_17rocblas_diagonal_iiT3_T4_lilT5_lili.kd
    .uniform_work_group_size: 1
    .uses_dynamic_stack: false
    .vgpr_count:     34
    .vgpr_spill_count: 0
    .wavefront_size: 32
  - .args:
      - .offset:         0
        .size:           4
        .value_kind:     by_value
      - .offset:         4
        .size:           4
        .value_kind:     by_value
      - .offset:         8
        .size:           4
        .value_kind:     by_value
      - .offset:         12
        .size:           4
        .value_kind:     by_value
      - .offset:         16
        .size:           4
        .value_kind:     by_value
      - .offset:         20
        .size:           8
        .value_kind:     by_value
      - .address_space:  global
        .offset:         32
        .size:           8
        .value_kind:     global_buffer
      - .offset:         40
        .size:           8
        .value_kind:     by_value
      - .offset:         48
        .size:           4
        .value_kind:     by_value
      - .offset:         56
        .size:           8
        .value_kind:     by_value
      - .address_space:  global
        .offset:         64
        .size:           8
        .value_kind:     global_buffer
      - .offset:         72
        .size:           8
        .value_kind:     by_value
      - .offset:         80
        .size:           4
        .value_kind:     by_value
      - .offset:         88
        .size:           8
        .value_kind:     by_value
      - .offset:         96
        .size:           4
        .value_kind:     by_value
      - .offset:         104
        .size:           4
        .value_kind:     hidden_block_count_x
      - .offset:         108
        .size:           4
        .value_kind:     hidden_block_count_y
      - .offset:         112
        .size:           4
        .value_kind:     hidden_block_count_z
      - .offset:         116
        .size:           2
        .value_kind:     hidden_group_size_x
      - .offset:         118
        .size:           2
        .value_kind:     hidden_group_size_y
      - .offset:         120
        .size:           2
        .value_kind:     hidden_group_size_z
      - .offset:         122
        .size:           2
        .value_kind:     hidden_remainder_x
      - .offset:         124
        .size:           2
        .value_kind:     hidden_remainder_y
      - .offset:         126
        .size:           2
        .value_kind:     hidden_remainder_z
      - .offset:         144
        .size:           8
        .value_kind:     hidden_global_offset_x
      - .offset:         152
        .size:           8
        .value_kind:     hidden_global_offset_y
      - .offset:         160
        .size:           8
        .value_kind:     hidden_global_offset_z
      - .offset:         168
        .size:           2
        .value_kind:     hidden_grid_dims
    .group_segment_fixed_size: 6400
    .kernarg_segment_align: 8
    .kernarg_segment_size: 360
    .language:       OpenCL C
    .language_version:
      - 2
      - 0
    .max_flat_workgroup_size: 20
    .name:           _ZL31rocblas_trsm_small_right_deviceI19rocblas_complex_numIfES1_PKS1_PS1_Li20EEv13rocblas_fill_18rocblas_operation_17rocblas_diagonal_iiT0_T1_lilT2_lili
    .private_segment_fixed_size: 0
    .sgpr_count:     55
    .sgpr_spill_count: 0
    .symbol:         _ZL31rocblas_trsm_small_right_deviceI19rocblas_complex_numIfES1_PKS1_PS1_Li20EEv13rocblas_fill_18rocblas_operation_17rocblas_diagonal_iiT0_T1_lilT2_lili.kd
    .uniform_work_group_size: 1
    .uses_dynamic_stack: false
    .vgpr_count:     46
    .vgpr_spill_count: 0
    .wavefront_size: 32
  - .args:
      - .offset:         0
        .size:           4
        .value_kind:     by_value
      - .offset:         4
        .size:           4
        .value_kind:     by_value
      - .offset:         8
        .size:           4
        .value_kind:     by_value
      - .offset:         12
        .size:           4
        .value_kind:     by_value
      - .offset:         16
        .size:           4
        .value_kind:     by_value
      - .offset:         20
        .size:           8
        .value_kind:     by_value
      - .address_space:  global
        .offset:         32
        .size:           8
        .value_kind:     global_buffer
      - .offset:         40
        .size:           8
        .value_kind:     by_value
      - .offset:         48
        .size:           4
        .value_kind:     by_value
      - .offset:         56
        .size:           8
        .value_kind:     by_value
      - .address_space:  global
        .offset:         64
        .size:           8
        .value_kind:     global_buffer
      - .offset:         72
        .size:           8
        .value_kind:     by_value
      - .offset:         80
        .size:           4
        .value_kind:     by_value
      - .offset:         88
        .size:           8
        .value_kind:     by_value
      - .offset:         96
        .size:           4
        .value_kind:     by_value
      - .offset:         104
        .size:           4
        .value_kind:     hidden_block_count_x
      - .offset:         108
        .size:           4
        .value_kind:     hidden_block_count_y
      - .offset:         112
        .size:           4
        .value_kind:     hidden_block_count_z
      - .offset:         116
        .size:           2
        .value_kind:     hidden_group_size_x
      - .offset:         118
        .size:           2
        .value_kind:     hidden_group_size_y
      - .offset:         120
        .size:           2
        .value_kind:     hidden_group_size_z
      - .offset:         122
        .size:           2
        .value_kind:     hidden_remainder_x
      - .offset:         124
        .size:           2
        .value_kind:     hidden_remainder_y
      - .offset:         126
        .size:           2
        .value_kind:     hidden_remainder_z
      - .offset:         144
        .size:           8
        .value_kind:     hidden_global_offset_x
      - .offset:         152
        .size:           8
        .value_kind:     hidden_global_offset_y
      - .offset:         160
        .size:           8
        .value_kind:     hidden_global_offset_z
      - .offset:         168
        .size:           2
        .value_kind:     hidden_grid_dims
    .group_segment_fixed_size: 9216
    .kernarg_segment_align: 8
    .kernarg_segment_size: 360
    .language:       OpenCL C
    .language_version:
      - 2
      - 0
    .max_flat_workgroup_size: 24
    .name:           _ZL38rocblas_trsm_small_left_device_sharedBILi24ELi24ELb0E19rocblas_complex_numIfES1_PKS1_PS1_Ev13rocblas_fill_18rocblas_operation_17rocblas_diagonal_iiT3_T4_lilT5_lili
    .private_segment_fixed_size: 208
    .sgpr_count:     63
    .sgpr_spill_count: 0
    .symbol:         _ZL38rocblas_trsm_small_left_device_sharedBILi24ELi24ELb0E19rocblas_complex_numIfES1_PKS1_PS1_Ev13rocblas_fill_18rocblas_operation_17rocblas_diagonal_iiT3_T4_lilT5_lili.kd
    .uniform_work_group_size: 1
    .uses_dynamic_stack: false
    .vgpr_count:     34
    .vgpr_spill_count: 0
    .wavefront_size: 32
  - .args:
      - .offset:         0
        .size:           4
        .value_kind:     by_value
      - .offset:         4
        .size:           4
        .value_kind:     by_value
      - .offset:         8
        .size:           4
        .value_kind:     by_value
      - .offset:         12
        .size:           4
        .value_kind:     by_value
      - .offset:         16
        .size:           4
        .value_kind:     by_value
      - .offset:         20
        .size:           8
        .value_kind:     by_value
      - .address_space:  global
        .offset:         32
        .size:           8
        .value_kind:     global_buffer
      - .offset:         40
        .size:           8
        .value_kind:     by_value
      - .offset:         48
        .size:           4
        .value_kind:     by_value
      - .offset:         56
        .size:           8
        .value_kind:     by_value
      - .address_space:  global
        .offset:         64
        .size:           8
        .value_kind:     global_buffer
      - .offset:         72
        .size:           8
        .value_kind:     by_value
      - .offset:         80
        .size:           4
        .value_kind:     by_value
      - .offset:         88
        .size:           8
        .value_kind:     by_value
      - .offset:         96
        .size:           4
        .value_kind:     by_value
      - .offset:         104
        .size:           4
        .value_kind:     hidden_block_count_x
      - .offset:         108
        .size:           4
        .value_kind:     hidden_block_count_y
      - .offset:         112
        .size:           4
        .value_kind:     hidden_block_count_z
      - .offset:         116
        .size:           2
        .value_kind:     hidden_group_size_x
      - .offset:         118
        .size:           2
        .value_kind:     hidden_group_size_y
      - .offset:         120
        .size:           2
        .value_kind:     hidden_group_size_z
      - .offset:         122
        .size:           2
        .value_kind:     hidden_remainder_x
      - .offset:         124
        .size:           2
        .value_kind:     hidden_remainder_y
      - .offset:         126
        .size:           2
        .value_kind:     hidden_remainder_z
      - .offset:         144
        .size:           8
        .value_kind:     hidden_global_offset_x
      - .offset:         152
        .size:           8
        .value_kind:     hidden_global_offset_y
      - .offset:         160
        .size:           8
        .value_kind:     hidden_global_offset_z
      - .offset:         168
        .size:           2
        .value_kind:     hidden_grid_dims
    .group_segment_fixed_size: 4608
    .kernarg_segment_align: 8
    .kernarg_segment_size: 360
    .language:       OpenCL C
    .language_version:
      - 2
      - 0
    .max_flat_workgroup_size: 24
    .name:           _ZL30rocblas_trsm_small_left_deviceILi24ELi24ELb0E19rocblas_complex_numIfES1_PKS1_PS1_Ev13rocblas_fill_18rocblas_operation_17rocblas_diagonal_iiT3_T4_lilT5_lili
    .private_segment_fixed_size: 208
    .sgpr_count:     62
    .sgpr_spill_count: 0
    .symbol:         _ZL30rocblas_trsm_small_left_deviceILi24ELi24ELb0E19rocblas_complex_numIfES1_PKS1_PS1_Ev13rocblas_fill_18rocblas_operation_17rocblas_diagonal_iiT3_T4_lilT5_lili.kd
    .uniform_work_group_size: 1
    .uses_dynamic_stack: false
    .vgpr_count:     34
    .vgpr_spill_count: 0
    .wavefront_size: 32
  - .args:
      - .offset:         0
        .size:           4
        .value_kind:     by_value
      - .offset:         4
        .size:           4
        .value_kind:     by_value
      - .offset:         8
        .size:           4
        .value_kind:     by_value
      - .offset:         12
        .size:           4
        .value_kind:     by_value
      - .offset:         16
        .size:           4
        .value_kind:     by_value
      - .offset:         20
        .size:           8
        .value_kind:     by_value
      - .address_space:  global
        .offset:         32
        .size:           8
        .value_kind:     global_buffer
      - .offset:         40
        .size:           8
        .value_kind:     by_value
      - .offset:         48
        .size:           4
        .value_kind:     by_value
      - .offset:         56
        .size:           8
        .value_kind:     by_value
      - .address_space:  global
        .offset:         64
        .size:           8
        .value_kind:     global_buffer
      - .offset:         72
        .size:           8
        .value_kind:     by_value
      - .offset:         80
        .size:           4
        .value_kind:     by_value
      - .offset:         88
        .size:           8
        .value_kind:     by_value
      - .offset:         96
        .size:           4
        .value_kind:     by_value
      - .offset:         104
        .size:           4
        .value_kind:     hidden_block_count_x
      - .offset:         108
        .size:           4
        .value_kind:     hidden_block_count_y
      - .offset:         112
        .size:           4
        .value_kind:     hidden_block_count_z
      - .offset:         116
        .size:           2
        .value_kind:     hidden_group_size_x
      - .offset:         118
        .size:           2
        .value_kind:     hidden_group_size_y
      - .offset:         120
        .size:           2
        .value_kind:     hidden_group_size_z
      - .offset:         122
        .size:           2
        .value_kind:     hidden_remainder_x
      - .offset:         124
        .size:           2
        .value_kind:     hidden_remainder_y
      - .offset:         126
        .size:           2
        .value_kind:     hidden_remainder_z
      - .offset:         144
        .size:           8
        .value_kind:     hidden_global_offset_x
      - .offset:         152
        .size:           8
        .value_kind:     hidden_global_offset_y
      - .offset:         160
        .size:           8
        .value_kind:     hidden_global_offset_z
      - .offset:         168
        .size:           2
        .value_kind:     hidden_grid_dims
    .group_segment_fixed_size: 9216
    .kernarg_segment_align: 8
    .kernarg_segment_size: 360
    .language:       OpenCL C
    .language_version:
      - 2
      - 0
    .max_flat_workgroup_size: 24
    .name:           _ZL38rocblas_trsm_small_left_device_sharedBILi24ELi24ELb1E19rocblas_complex_numIfES1_PKS1_PS1_Ev13rocblas_fill_18rocblas_operation_17rocblas_diagonal_iiT3_T4_lilT5_lili
    .private_segment_fixed_size: 208
    .sgpr_count:     62
    .sgpr_spill_count: 0
    .symbol:         _ZL38rocblas_trsm_small_left_device_sharedBILi24ELi24ELb1E19rocblas_complex_numIfES1_PKS1_PS1_Ev13rocblas_fill_18rocblas_operation_17rocblas_diagonal_iiT3_T4_lilT5_lili.kd
    .uniform_work_group_size: 1
    .uses_dynamic_stack: false
    .vgpr_count:     34
    .vgpr_spill_count: 0
    .wavefront_size: 32
  - .args:
      - .offset:         0
        .size:           4
        .value_kind:     by_value
      - .offset:         4
        .size:           4
        .value_kind:     by_value
      - .offset:         8
        .size:           4
        .value_kind:     by_value
      - .offset:         12
        .size:           4
        .value_kind:     by_value
      - .offset:         16
        .size:           4
        .value_kind:     by_value
      - .offset:         20
        .size:           8
        .value_kind:     by_value
      - .address_space:  global
        .offset:         32
        .size:           8
        .value_kind:     global_buffer
      - .offset:         40
        .size:           8
        .value_kind:     by_value
      - .offset:         48
        .size:           4
        .value_kind:     by_value
      - .offset:         56
        .size:           8
        .value_kind:     by_value
      - .address_space:  global
        .offset:         64
        .size:           8
        .value_kind:     global_buffer
      - .offset:         72
        .size:           8
        .value_kind:     by_value
      - .offset:         80
        .size:           4
        .value_kind:     by_value
      - .offset:         88
        .size:           8
        .value_kind:     by_value
      - .offset:         96
        .size:           4
        .value_kind:     by_value
      - .offset:         104
        .size:           4
        .value_kind:     hidden_block_count_x
      - .offset:         108
        .size:           4
        .value_kind:     hidden_block_count_y
      - .offset:         112
        .size:           4
        .value_kind:     hidden_block_count_z
      - .offset:         116
        .size:           2
        .value_kind:     hidden_group_size_x
      - .offset:         118
        .size:           2
        .value_kind:     hidden_group_size_y
      - .offset:         120
        .size:           2
        .value_kind:     hidden_group_size_z
      - .offset:         122
        .size:           2
        .value_kind:     hidden_remainder_x
      - .offset:         124
        .size:           2
        .value_kind:     hidden_remainder_y
      - .offset:         126
        .size:           2
        .value_kind:     hidden_remainder_z
      - .offset:         144
        .size:           8
        .value_kind:     hidden_global_offset_x
      - .offset:         152
        .size:           8
        .value_kind:     hidden_global_offset_y
      - .offset:         160
        .size:           8
        .value_kind:     hidden_global_offset_z
      - .offset:         168
        .size:           2
        .value_kind:     hidden_grid_dims
    .group_segment_fixed_size: 4608
    .kernarg_segment_align: 8
    .kernarg_segment_size: 360
    .language:       OpenCL C
    .language_version:
      - 2
      - 0
    .max_flat_workgroup_size: 24
    .name:           _ZL30rocblas_trsm_small_left_deviceILi24ELi24ELb1E19rocblas_complex_numIfES1_PKS1_PS1_Ev13rocblas_fill_18rocblas_operation_17rocblas_diagonal_iiT3_T4_lilT5_lili
    .private_segment_fixed_size: 208
    .sgpr_count:     63
    .sgpr_spill_count: 0
    .symbol:         _ZL30rocblas_trsm_small_left_deviceILi24ELi24ELb1E19rocblas_complex_numIfES1_PKS1_PS1_Ev13rocblas_fill_18rocblas_operation_17rocblas_diagonal_iiT3_T4_lilT5_lili.kd
    .uniform_work_group_size: 1
    .uses_dynamic_stack: false
    .vgpr_count:     34
    .vgpr_spill_count: 0
    .wavefront_size: 32
  - .args:
      - .offset:         0
        .size:           4
        .value_kind:     by_value
      - .offset:         4
        .size:           4
        .value_kind:     by_value
      - .offset:         8
        .size:           4
        .value_kind:     by_value
      - .offset:         12
        .size:           4
        .value_kind:     by_value
      - .offset:         16
        .size:           4
        .value_kind:     by_value
      - .offset:         20
        .size:           8
        .value_kind:     by_value
      - .address_space:  global
        .offset:         32
        .size:           8
        .value_kind:     global_buffer
      - .offset:         40
        .size:           8
        .value_kind:     by_value
      - .offset:         48
        .size:           4
        .value_kind:     by_value
      - .offset:         56
        .size:           8
        .value_kind:     by_value
      - .address_space:  global
        .offset:         64
        .size:           8
        .value_kind:     global_buffer
      - .offset:         72
        .size:           8
        .value_kind:     by_value
      - .offset:         80
        .size:           4
        .value_kind:     by_value
      - .offset:         88
        .size:           8
        .value_kind:     by_value
      - .offset:         96
        .size:           4
        .value_kind:     by_value
      - .offset:         104
        .size:           4
        .value_kind:     hidden_block_count_x
      - .offset:         108
        .size:           4
        .value_kind:     hidden_block_count_y
      - .offset:         112
        .size:           4
        .value_kind:     hidden_block_count_z
      - .offset:         116
        .size:           2
        .value_kind:     hidden_group_size_x
      - .offset:         118
        .size:           2
        .value_kind:     hidden_group_size_y
      - .offset:         120
        .size:           2
        .value_kind:     hidden_group_size_z
      - .offset:         122
        .size:           2
        .value_kind:     hidden_remainder_x
      - .offset:         124
        .size:           2
        .value_kind:     hidden_remainder_y
      - .offset:         126
        .size:           2
        .value_kind:     hidden_remainder_z
      - .offset:         144
        .size:           8
        .value_kind:     hidden_global_offset_x
      - .offset:         152
        .size:           8
        .value_kind:     hidden_global_offset_y
      - .offset:         160
        .size:           8
        .value_kind:     hidden_global_offset_z
      - .offset:         168
        .size:           2
        .value_kind:     hidden_grid_dims
    .group_segment_fixed_size: 9216
    .kernarg_segment_align: 8
    .kernarg_segment_size: 360
    .language:       OpenCL C
    .language_version:
      - 2
      - 0
    .max_flat_workgroup_size: 24
    .name:           _ZL31rocblas_trsm_small_right_deviceI19rocblas_complex_numIfES1_PKS1_PS1_Li24EEv13rocblas_fill_18rocblas_operation_17rocblas_diagonal_iiT0_T1_lilT2_lili
    .private_segment_fixed_size: 0
    .sgpr_count:     55
    .sgpr_spill_count: 0
    .symbol:         _ZL31rocblas_trsm_small_right_deviceI19rocblas_complex_numIfES1_PKS1_PS1_Li24EEv13rocblas_fill_18rocblas_operation_17rocblas_diagonal_iiT0_T1_lilT2_lili.kd
    .uniform_work_group_size: 1
    .uses_dynamic_stack: false
    .vgpr_count:     46
    .vgpr_spill_count: 0
    .wavefront_size: 32
  - .args:
      - .offset:         0
        .size:           4
        .value_kind:     by_value
      - .offset:         4
        .size:           4
        .value_kind:     by_value
      - .offset:         8
        .size:           4
        .value_kind:     by_value
      - .offset:         12
        .size:           4
        .value_kind:     by_value
      - .offset:         16
        .size:           4
        .value_kind:     by_value
      - .offset:         20
        .size:           8
        .value_kind:     by_value
      - .address_space:  global
        .offset:         32
        .size:           8
        .value_kind:     global_buffer
      - .offset:         40
        .size:           8
        .value_kind:     by_value
      - .offset:         48
        .size:           4
        .value_kind:     by_value
      - .offset:         56
        .size:           8
        .value_kind:     by_value
      - .address_space:  global
        .offset:         64
        .size:           8
        .value_kind:     global_buffer
      - .offset:         72
        .size:           8
        .value_kind:     by_value
      - .offset:         80
        .size:           4
        .value_kind:     by_value
      - .offset:         88
        .size:           8
        .value_kind:     by_value
      - .offset:         96
        .size:           4
        .value_kind:     by_value
      - .offset:         104
        .size:           4
        .value_kind:     hidden_block_count_x
      - .offset:         108
        .size:           4
        .value_kind:     hidden_block_count_y
      - .offset:         112
        .size:           4
        .value_kind:     hidden_block_count_z
      - .offset:         116
        .size:           2
        .value_kind:     hidden_group_size_x
      - .offset:         118
        .size:           2
        .value_kind:     hidden_group_size_y
      - .offset:         120
        .size:           2
        .value_kind:     hidden_group_size_z
      - .offset:         122
        .size:           2
        .value_kind:     hidden_remainder_x
      - .offset:         124
        .size:           2
        .value_kind:     hidden_remainder_y
      - .offset:         126
        .size:           2
        .value_kind:     hidden_remainder_z
      - .offset:         144
        .size:           8
        .value_kind:     hidden_global_offset_x
      - .offset:         152
        .size:           8
        .value_kind:     hidden_global_offset_y
      - .offset:         160
        .size:           8
        .value_kind:     hidden_global_offset_z
      - .offset:         168
        .size:           2
        .value_kind:     hidden_grid_dims
    .group_segment_fixed_size: 12544
    .kernarg_segment_align: 8
    .kernarg_segment_size: 360
    .language:       OpenCL C
    .language_version:
      - 2
      - 0
    .max_flat_workgroup_size: 28
    .name:           _ZL38rocblas_trsm_small_left_device_sharedBILi28ELi28ELb0E19rocblas_complex_numIfES1_PKS1_PS1_Ev13rocblas_fill_18rocblas_operation_17rocblas_diagonal_iiT3_T4_lilT5_lili
    .private_segment_fixed_size: 240
    .sgpr_count:     63
    .sgpr_spill_count: 0
    .symbol:         _ZL38rocblas_trsm_small_left_device_sharedBILi28ELi28ELb0E19rocblas_complex_numIfES1_PKS1_PS1_Ev13rocblas_fill_18rocblas_operation_17rocblas_diagonal_iiT3_T4_lilT5_lili.kd
    .uniform_work_group_size: 1
    .uses_dynamic_stack: false
    .vgpr_count:     34
    .vgpr_spill_count: 0
    .wavefront_size: 32
  - .args:
      - .offset:         0
        .size:           4
        .value_kind:     by_value
      - .offset:         4
        .size:           4
        .value_kind:     by_value
      - .offset:         8
        .size:           4
        .value_kind:     by_value
      - .offset:         12
        .size:           4
        .value_kind:     by_value
      - .offset:         16
        .size:           4
        .value_kind:     by_value
      - .offset:         20
        .size:           8
        .value_kind:     by_value
      - .address_space:  global
        .offset:         32
        .size:           8
        .value_kind:     global_buffer
      - .offset:         40
        .size:           8
        .value_kind:     by_value
      - .offset:         48
        .size:           4
        .value_kind:     by_value
      - .offset:         56
        .size:           8
        .value_kind:     by_value
      - .address_space:  global
        .offset:         64
        .size:           8
        .value_kind:     global_buffer
      - .offset:         72
        .size:           8
        .value_kind:     by_value
      - .offset:         80
        .size:           4
        .value_kind:     by_value
      - .offset:         88
        .size:           8
        .value_kind:     by_value
      - .offset:         96
        .size:           4
        .value_kind:     by_value
      - .offset:         104
        .size:           4
        .value_kind:     hidden_block_count_x
      - .offset:         108
        .size:           4
        .value_kind:     hidden_block_count_y
      - .offset:         112
        .size:           4
        .value_kind:     hidden_block_count_z
      - .offset:         116
        .size:           2
        .value_kind:     hidden_group_size_x
      - .offset:         118
        .size:           2
        .value_kind:     hidden_group_size_y
      - .offset:         120
        .size:           2
        .value_kind:     hidden_group_size_z
      - .offset:         122
        .size:           2
        .value_kind:     hidden_remainder_x
      - .offset:         124
        .size:           2
        .value_kind:     hidden_remainder_y
      - .offset:         126
        .size:           2
        .value_kind:     hidden_remainder_z
      - .offset:         144
        .size:           8
        .value_kind:     hidden_global_offset_x
      - .offset:         152
        .size:           8
        .value_kind:     hidden_global_offset_y
      - .offset:         160
        .size:           8
        .value_kind:     hidden_global_offset_z
      - .offset:         168
        .size:           2
        .value_kind:     hidden_grid_dims
    .group_segment_fixed_size: 6272
    .kernarg_segment_align: 8
    .kernarg_segment_size: 360
    .language:       OpenCL C
    .language_version:
      - 2
      - 0
    .max_flat_workgroup_size: 28
    .name:           _ZL30rocblas_trsm_small_left_deviceILi28ELi28ELb0E19rocblas_complex_numIfES1_PKS1_PS1_Ev13rocblas_fill_18rocblas_operation_17rocblas_diagonal_iiT3_T4_lilT5_lili
    .private_segment_fixed_size: 240
    .sgpr_count:     62
    .sgpr_spill_count: 0
    .symbol:         _ZL30rocblas_trsm_small_left_deviceILi28ELi28ELb0E19rocblas_complex_numIfES1_PKS1_PS1_Ev13rocblas_fill_18rocblas_operation_17rocblas_diagonal_iiT3_T4_lilT5_lili.kd
    .uniform_work_group_size: 1
    .uses_dynamic_stack: false
    .vgpr_count:     34
    .vgpr_spill_count: 0
    .wavefront_size: 32
  - .args:
      - .offset:         0
        .size:           4
        .value_kind:     by_value
      - .offset:         4
        .size:           4
        .value_kind:     by_value
      - .offset:         8
        .size:           4
        .value_kind:     by_value
      - .offset:         12
        .size:           4
        .value_kind:     by_value
      - .offset:         16
        .size:           4
        .value_kind:     by_value
      - .offset:         20
        .size:           8
        .value_kind:     by_value
      - .address_space:  global
        .offset:         32
        .size:           8
        .value_kind:     global_buffer
      - .offset:         40
        .size:           8
        .value_kind:     by_value
      - .offset:         48
        .size:           4
        .value_kind:     by_value
      - .offset:         56
        .size:           8
        .value_kind:     by_value
      - .address_space:  global
        .offset:         64
        .size:           8
        .value_kind:     global_buffer
      - .offset:         72
        .size:           8
        .value_kind:     by_value
      - .offset:         80
        .size:           4
        .value_kind:     by_value
      - .offset:         88
        .size:           8
        .value_kind:     by_value
      - .offset:         96
        .size:           4
        .value_kind:     by_value
      - .offset:         104
        .size:           4
        .value_kind:     hidden_block_count_x
      - .offset:         108
        .size:           4
        .value_kind:     hidden_block_count_y
      - .offset:         112
        .size:           4
        .value_kind:     hidden_block_count_z
      - .offset:         116
        .size:           2
        .value_kind:     hidden_group_size_x
      - .offset:         118
        .size:           2
        .value_kind:     hidden_group_size_y
      - .offset:         120
        .size:           2
        .value_kind:     hidden_group_size_z
      - .offset:         122
        .size:           2
        .value_kind:     hidden_remainder_x
      - .offset:         124
        .size:           2
        .value_kind:     hidden_remainder_y
      - .offset:         126
        .size:           2
        .value_kind:     hidden_remainder_z
      - .offset:         144
        .size:           8
        .value_kind:     hidden_global_offset_x
      - .offset:         152
        .size:           8
        .value_kind:     hidden_global_offset_y
      - .offset:         160
        .size:           8
        .value_kind:     hidden_global_offset_z
      - .offset:         168
        .size:           2
        .value_kind:     hidden_grid_dims
    .group_segment_fixed_size: 12544
    .kernarg_segment_align: 8
    .kernarg_segment_size: 360
    .language:       OpenCL C
    .language_version:
      - 2
      - 0
    .max_flat_workgroup_size: 28
    .name:           _ZL38rocblas_trsm_small_left_device_sharedBILi28ELi28ELb1E19rocblas_complex_numIfES1_PKS1_PS1_Ev13rocblas_fill_18rocblas_operation_17rocblas_diagonal_iiT3_T4_lilT5_lili
    .private_segment_fixed_size: 240
    .sgpr_count:     62
    .sgpr_spill_count: 0
    .symbol:         _ZL38rocblas_trsm_small_left_device_sharedBILi28ELi28ELb1E19rocblas_complex_numIfES1_PKS1_PS1_Ev13rocblas_fill_18rocblas_operation_17rocblas_diagonal_iiT3_T4_lilT5_lili.kd
    .uniform_work_group_size: 1
    .uses_dynamic_stack: false
    .vgpr_count:     34
    .vgpr_spill_count: 0
    .wavefront_size: 32
  - .args:
      - .offset:         0
        .size:           4
        .value_kind:     by_value
      - .offset:         4
        .size:           4
        .value_kind:     by_value
      - .offset:         8
        .size:           4
        .value_kind:     by_value
      - .offset:         12
        .size:           4
        .value_kind:     by_value
      - .offset:         16
        .size:           4
        .value_kind:     by_value
      - .offset:         20
        .size:           8
        .value_kind:     by_value
      - .address_space:  global
        .offset:         32
        .size:           8
        .value_kind:     global_buffer
      - .offset:         40
        .size:           8
        .value_kind:     by_value
      - .offset:         48
        .size:           4
        .value_kind:     by_value
      - .offset:         56
        .size:           8
        .value_kind:     by_value
      - .address_space:  global
        .offset:         64
        .size:           8
        .value_kind:     global_buffer
      - .offset:         72
        .size:           8
        .value_kind:     by_value
      - .offset:         80
        .size:           4
        .value_kind:     by_value
      - .offset:         88
        .size:           8
        .value_kind:     by_value
      - .offset:         96
        .size:           4
        .value_kind:     by_value
      - .offset:         104
        .size:           4
        .value_kind:     hidden_block_count_x
      - .offset:         108
        .size:           4
        .value_kind:     hidden_block_count_y
      - .offset:         112
        .size:           4
        .value_kind:     hidden_block_count_z
      - .offset:         116
        .size:           2
        .value_kind:     hidden_group_size_x
      - .offset:         118
        .size:           2
        .value_kind:     hidden_group_size_y
      - .offset:         120
        .size:           2
        .value_kind:     hidden_group_size_z
      - .offset:         122
        .size:           2
        .value_kind:     hidden_remainder_x
      - .offset:         124
        .size:           2
        .value_kind:     hidden_remainder_y
      - .offset:         126
        .size:           2
        .value_kind:     hidden_remainder_z
      - .offset:         144
        .size:           8
        .value_kind:     hidden_global_offset_x
      - .offset:         152
        .size:           8
        .value_kind:     hidden_global_offset_y
      - .offset:         160
        .size:           8
        .value_kind:     hidden_global_offset_z
      - .offset:         168
        .size:           2
        .value_kind:     hidden_grid_dims
    .group_segment_fixed_size: 6272
    .kernarg_segment_align: 8
    .kernarg_segment_size: 360
    .language:       OpenCL C
    .language_version:
      - 2
      - 0
    .max_flat_workgroup_size: 28
    .name:           _ZL30rocblas_trsm_small_left_deviceILi28ELi28ELb1E19rocblas_complex_numIfES1_PKS1_PS1_Ev13rocblas_fill_18rocblas_operation_17rocblas_diagonal_iiT3_T4_lilT5_lili
    .private_segment_fixed_size: 240
    .sgpr_count:     63
    .sgpr_spill_count: 0
    .symbol:         _ZL30rocblas_trsm_small_left_deviceILi28ELi28ELb1E19rocblas_complex_numIfES1_PKS1_PS1_Ev13rocblas_fill_18rocblas_operation_17rocblas_diagonal_iiT3_T4_lilT5_lili.kd
    .uniform_work_group_size: 1
    .uses_dynamic_stack: false
    .vgpr_count:     34
    .vgpr_spill_count: 0
    .wavefront_size: 32
  - .args:
      - .offset:         0
        .size:           4
        .value_kind:     by_value
      - .offset:         4
        .size:           4
        .value_kind:     by_value
      - .offset:         8
        .size:           4
        .value_kind:     by_value
      - .offset:         12
        .size:           4
        .value_kind:     by_value
      - .offset:         16
        .size:           4
        .value_kind:     by_value
      - .offset:         20
        .size:           8
        .value_kind:     by_value
      - .address_space:  global
        .offset:         32
        .size:           8
        .value_kind:     global_buffer
      - .offset:         40
        .size:           8
        .value_kind:     by_value
      - .offset:         48
        .size:           4
        .value_kind:     by_value
      - .offset:         56
        .size:           8
        .value_kind:     by_value
      - .address_space:  global
        .offset:         64
        .size:           8
        .value_kind:     global_buffer
      - .offset:         72
        .size:           8
        .value_kind:     by_value
      - .offset:         80
        .size:           4
        .value_kind:     by_value
      - .offset:         88
        .size:           8
        .value_kind:     by_value
      - .offset:         96
        .size:           4
        .value_kind:     by_value
      - .offset:         104
        .size:           4
        .value_kind:     hidden_block_count_x
      - .offset:         108
        .size:           4
        .value_kind:     hidden_block_count_y
      - .offset:         112
        .size:           4
        .value_kind:     hidden_block_count_z
      - .offset:         116
        .size:           2
        .value_kind:     hidden_group_size_x
      - .offset:         118
        .size:           2
        .value_kind:     hidden_group_size_y
      - .offset:         120
        .size:           2
        .value_kind:     hidden_group_size_z
      - .offset:         122
        .size:           2
        .value_kind:     hidden_remainder_x
      - .offset:         124
        .size:           2
        .value_kind:     hidden_remainder_y
      - .offset:         126
        .size:           2
        .value_kind:     hidden_remainder_z
      - .offset:         144
        .size:           8
        .value_kind:     hidden_global_offset_x
      - .offset:         152
        .size:           8
        .value_kind:     hidden_global_offset_y
      - .offset:         160
        .size:           8
        .value_kind:     hidden_global_offset_z
      - .offset:         168
        .size:           2
        .value_kind:     hidden_grid_dims
    .group_segment_fixed_size: 12544
    .kernarg_segment_align: 8
    .kernarg_segment_size: 360
    .language:       OpenCL C
    .language_version:
      - 2
      - 0
    .max_flat_workgroup_size: 28
    .name:           _ZL31rocblas_trsm_small_right_deviceI19rocblas_complex_numIfES1_PKS1_PS1_Li28EEv13rocblas_fill_18rocblas_operation_17rocblas_diagonal_iiT0_T1_lilT2_lili
    .private_segment_fixed_size: 0
    .sgpr_count:     55
    .sgpr_spill_count: 0
    .symbol:         _ZL31rocblas_trsm_small_right_deviceI19rocblas_complex_numIfES1_PKS1_PS1_Li28EEv13rocblas_fill_18rocblas_operation_17rocblas_diagonal_iiT0_T1_lilT2_lili.kd
    .uniform_work_group_size: 1
    .uses_dynamic_stack: false
    .vgpr_count:     46
    .vgpr_spill_count: 0
    .wavefront_size: 32
  - .args:
      - .offset:         0
        .size:           4
        .value_kind:     by_value
      - .offset:         4
        .size:           4
        .value_kind:     by_value
      - .offset:         8
        .size:           4
        .value_kind:     by_value
      - .offset:         12
        .size:           4
        .value_kind:     by_value
      - .offset:         16
        .size:           4
        .value_kind:     by_value
      - .offset:         20
        .size:           8
        .value_kind:     by_value
      - .address_space:  global
        .offset:         32
        .size:           8
        .value_kind:     global_buffer
      - .offset:         40
        .size:           8
        .value_kind:     by_value
      - .offset:         48
        .size:           4
        .value_kind:     by_value
      - .offset:         56
        .size:           8
        .value_kind:     by_value
      - .address_space:  global
        .offset:         64
        .size:           8
        .value_kind:     global_buffer
      - .offset:         72
        .size:           8
        .value_kind:     by_value
      - .offset:         80
        .size:           4
        .value_kind:     by_value
      - .offset:         88
        .size:           8
        .value_kind:     by_value
      - .offset:         96
        .size:           4
        .value_kind:     by_value
      - .offset:         104
        .size:           4
        .value_kind:     hidden_block_count_x
      - .offset:         108
        .size:           4
        .value_kind:     hidden_block_count_y
      - .offset:         112
        .size:           4
        .value_kind:     hidden_block_count_z
      - .offset:         116
        .size:           2
        .value_kind:     hidden_group_size_x
      - .offset:         118
        .size:           2
        .value_kind:     hidden_group_size_y
      - .offset:         120
        .size:           2
        .value_kind:     hidden_group_size_z
      - .offset:         122
        .size:           2
        .value_kind:     hidden_remainder_x
      - .offset:         124
        .size:           2
        .value_kind:     hidden_remainder_y
      - .offset:         126
        .size:           2
        .value_kind:     hidden_remainder_z
      - .offset:         144
        .size:           8
        .value_kind:     hidden_global_offset_x
      - .offset:         152
        .size:           8
        .value_kind:     hidden_global_offset_y
      - .offset:         160
        .size:           8
        .value_kind:     hidden_global_offset_z
      - .offset:         168
        .size:           2
        .value_kind:     hidden_grid_dims
    .group_segment_fixed_size: 16384
    .kernarg_segment_align: 8
    .kernarg_segment_size: 360
    .language:       OpenCL C
    .language_version:
      - 2
      - 0
    .max_flat_workgroup_size: 32
    .name:           _ZL38rocblas_trsm_small_left_device_sharedBILi32ELi32ELb0E19rocblas_complex_numIfES1_PKS1_PS1_Ev13rocblas_fill_18rocblas_operation_17rocblas_diagonal_iiT3_T4_lilT5_lili
    .private_segment_fixed_size: 272
    .sgpr_count:     63
    .sgpr_spill_count: 0
    .symbol:         _ZL38rocblas_trsm_small_left_device_sharedBILi32ELi32ELb0E19rocblas_complex_numIfES1_PKS1_PS1_Ev13rocblas_fill_18rocblas_operation_17rocblas_diagonal_iiT3_T4_lilT5_lili.kd
    .uniform_work_group_size: 1
    .uses_dynamic_stack: false
    .vgpr_count:     34
    .vgpr_spill_count: 0
    .wavefront_size: 32
  - .args:
      - .offset:         0
        .size:           4
        .value_kind:     by_value
      - .offset:         4
        .size:           4
        .value_kind:     by_value
      - .offset:         8
        .size:           4
        .value_kind:     by_value
      - .offset:         12
        .size:           4
        .value_kind:     by_value
      - .offset:         16
        .size:           4
        .value_kind:     by_value
      - .offset:         20
        .size:           8
        .value_kind:     by_value
      - .address_space:  global
        .offset:         32
        .size:           8
        .value_kind:     global_buffer
      - .offset:         40
        .size:           8
        .value_kind:     by_value
      - .offset:         48
        .size:           4
        .value_kind:     by_value
      - .offset:         56
        .size:           8
        .value_kind:     by_value
      - .address_space:  global
        .offset:         64
        .size:           8
        .value_kind:     global_buffer
      - .offset:         72
        .size:           8
        .value_kind:     by_value
      - .offset:         80
        .size:           4
        .value_kind:     by_value
      - .offset:         88
        .size:           8
        .value_kind:     by_value
      - .offset:         96
        .size:           4
        .value_kind:     by_value
      - .offset:         104
        .size:           4
        .value_kind:     hidden_block_count_x
      - .offset:         108
        .size:           4
        .value_kind:     hidden_block_count_y
      - .offset:         112
        .size:           4
        .value_kind:     hidden_block_count_z
      - .offset:         116
        .size:           2
        .value_kind:     hidden_group_size_x
      - .offset:         118
        .size:           2
        .value_kind:     hidden_group_size_y
      - .offset:         120
        .size:           2
        .value_kind:     hidden_group_size_z
      - .offset:         122
        .size:           2
        .value_kind:     hidden_remainder_x
      - .offset:         124
        .size:           2
        .value_kind:     hidden_remainder_y
      - .offset:         126
        .size:           2
        .value_kind:     hidden_remainder_z
      - .offset:         144
        .size:           8
        .value_kind:     hidden_global_offset_x
      - .offset:         152
        .size:           8
        .value_kind:     hidden_global_offset_y
      - .offset:         160
        .size:           8
        .value_kind:     hidden_global_offset_z
      - .offset:         168
        .size:           2
        .value_kind:     hidden_grid_dims
    .group_segment_fixed_size: 8192
    .kernarg_segment_align: 8
    .kernarg_segment_size: 360
    .language:       OpenCL C
    .language_version:
      - 2
      - 0
    .max_flat_workgroup_size: 32
    .name:           _ZL30rocblas_trsm_small_left_deviceILi32ELi32ELb0E19rocblas_complex_numIfES1_PKS1_PS1_Ev13rocblas_fill_18rocblas_operation_17rocblas_diagonal_iiT3_T4_lilT5_lili
    .private_segment_fixed_size: 272
    .sgpr_count:     62
    .sgpr_spill_count: 0
    .symbol:         _ZL30rocblas_trsm_small_left_deviceILi32ELi32ELb0E19rocblas_complex_numIfES1_PKS1_PS1_Ev13rocblas_fill_18rocblas_operation_17rocblas_diagonal_iiT3_T4_lilT5_lili.kd
    .uniform_work_group_size: 1
    .uses_dynamic_stack: false
    .vgpr_count:     40
    .vgpr_spill_count: 0
    .wavefront_size: 32
  - .args:
      - .offset:         0
        .size:           4
        .value_kind:     by_value
      - .offset:         4
        .size:           4
        .value_kind:     by_value
      - .offset:         8
        .size:           4
        .value_kind:     by_value
      - .offset:         12
        .size:           4
        .value_kind:     by_value
      - .offset:         16
        .size:           4
        .value_kind:     by_value
      - .offset:         20
        .size:           8
        .value_kind:     by_value
      - .address_space:  global
        .offset:         32
        .size:           8
        .value_kind:     global_buffer
      - .offset:         40
        .size:           8
        .value_kind:     by_value
      - .offset:         48
        .size:           4
        .value_kind:     by_value
      - .offset:         56
        .size:           8
        .value_kind:     by_value
      - .address_space:  global
        .offset:         64
        .size:           8
        .value_kind:     global_buffer
      - .offset:         72
        .size:           8
        .value_kind:     by_value
      - .offset:         80
        .size:           4
        .value_kind:     by_value
      - .offset:         88
        .size:           8
        .value_kind:     by_value
      - .offset:         96
        .size:           4
        .value_kind:     by_value
      - .offset:         104
        .size:           4
        .value_kind:     hidden_block_count_x
      - .offset:         108
        .size:           4
        .value_kind:     hidden_block_count_y
      - .offset:         112
        .size:           4
        .value_kind:     hidden_block_count_z
      - .offset:         116
        .size:           2
        .value_kind:     hidden_group_size_x
      - .offset:         118
        .size:           2
        .value_kind:     hidden_group_size_y
      - .offset:         120
        .size:           2
        .value_kind:     hidden_group_size_z
      - .offset:         122
        .size:           2
        .value_kind:     hidden_remainder_x
      - .offset:         124
        .size:           2
        .value_kind:     hidden_remainder_y
      - .offset:         126
        .size:           2
        .value_kind:     hidden_remainder_z
      - .offset:         144
        .size:           8
        .value_kind:     hidden_global_offset_x
      - .offset:         152
        .size:           8
        .value_kind:     hidden_global_offset_y
      - .offset:         160
        .size:           8
        .value_kind:     hidden_global_offset_z
      - .offset:         168
        .size:           2
        .value_kind:     hidden_grid_dims
    .group_segment_fixed_size: 16384
    .kernarg_segment_align: 8
    .kernarg_segment_size: 360
    .language:       OpenCL C
    .language_version:
      - 2
      - 0
    .max_flat_workgroup_size: 32
    .name:           _ZL38rocblas_trsm_small_left_device_sharedBILi32ELi32ELb1E19rocblas_complex_numIfES1_PKS1_PS1_Ev13rocblas_fill_18rocblas_operation_17rocblas_diagonal_iiT3_T4_lilT5_lili
    .private_segment_fixed_size: 272
    .sgpr_count:     62
    .sgpr_spill_count: 0
    .symbol:         _ZL38rocblas_trsm_small_left_device_sharedBILi32ELi32ELb1E19rocblas_complex_numIfES1_PKS1_PS1_Ev13rocblas_fill_18rocblas_operation_17rocblas_diagonal_iiT3_T4_lilT5_lili.kd
    .uniform_work_group_size: 1
    .uses_dynamic_stack: false
    .vgpr_count:     34
    .vgpr_spill_count: 0
    .wavefront_size: 32
  - .args:
      - .offset:         0
        .size:           4
        .value_kind:     by_value
      - .offset:         4
        .size:           4
        .value_kind:     by_value
      - .offset:         8
        .size:           4
        .value_kind:     by_value
      - .offset:         12
        .size:           4
        .value_kind:     by_value
      - .offset:         16
        .size:           4
        .value_kind:     by_value
      - .offset:         20
        .size:           8
        .value_kind:     by_value
      - .address_space:  global
        .offset:         32
        .size:           8
        .value_kind:     global_buffer
      - .offset:         40
        .size:           8
        .value_kind:     by_value
      - .offset:         48
        .size:           4
        .value_kind:     by_value
      - .offset:         56
        .size:           8
        .value_kind:     by_value
      - .address_space:  global
        .offset:         64
        .size:           8
        .value_kind:     global_buffer
      - .offset:         72
        .size:           8
        .value_kind:     by_value
      - .offset:         80
        .size:           4
        .value_kind:     by_value
      - .offset:         88
        .size:           8
        .value_kind:     by_value
      - .offset:         96
        .size:           4
        .value_kind:     by_value
      - .offset:         104
        .size:           4
        .value_kind:     hidden_block_count_x
      - .offset:         108
        .size:           4
        .value_kind:     hidden_block_count_y
      - .offset:         112
        .size:           4
        .value_kind:     hidden_block_count_z
      - .offset:         116
        .size:           2
        .value_kind:     hidden_group_size_x
      - .offset:         118
        .size:           2
        .value_kind:     hidden_group_size_y
      - .offset:         120
        .size:           2
        .value_kind:     hidden_group_size_z
      - .offset:         122
        .size:           2
        .value_kind:     hidden_remainder_x
      - .offset:         124
        .size:           2
        .value_kind:     hidden_remainder_y
      - .offset:         126
        .size:           2
        .value_kind:     hidden_remainder_z
      - .offset:         144
        .size:           8
        .value_kind:     hidden_global_offset_x
      - .offset:         152
        .size:           8
        .value_kind:     hidden_global_offset_y
      - .offset:         160
        .size:           8
        .value_kind:     hidden_global_offset_z
      - .offset:         168
        .size:           2
        .value_kind:     hidden_grid_dims
    .group_segment_fixed_size: 8192
    .kernarg_segment_align: 8
    .kernarg_segment_size: 360
    .language:       OpenCL C
    .language_version:
      - 2
      - 0
    .max_flat_workgroup_size: 32
    .name:           _ZL30rocblas_trsm_small_left_deviceILi32ELi32ELb1E19rocblas_complex_numIfES1_PKS1_PS1_Ev13rocblas_fill_18rocblas_operation_17rocblas_diagonal_iiT3_T4_lilT5_lili
    .private_segment_fixed_size: 272
    .sgpr_count:     63
    .sgpr_spill_count: 0
    .symbol:         _ZL30rocblas_trsm_small_left_deviceILi32ELi32ELb1E19rocblas_complex_numIfES1_PKS1_PS1_Ev13rocblas_fill_18rocblas_operation_17rocblas_diagonal_iiT3_T4_lilT5_lili.kd
    .uniform_work_group_size: 1
    .uses_dynamic_stack: false
    .vgpr_count:     40
    .vgpr_spill_count: 0
    .wavefront_size: 32
  - .args:
      - .offset:         0
        .size:           4
        .value_kind:     by_value
      - .offset:         4
        .size:           4
        .value_kind:     by_value
      - .offset:         8
        .size:           4
        .value_kind:     by_value
      - .offset:         12
        .size:           4
        .value_kind:     by_value
      - .offset:         16
        .size:           4
        .value_kind:     by_value
      - .offset:         20
        .size:           8
        .value_kind:     by_value
      - .address_space:  global
        .offset:         32
        .size:           8
        .value_kind:     global_buffer
      - .offset:         40
        .size:           8
        .value_kind:     by_value
      - .offset:         48
        .size:           4
        .value_kind:     by_value
      - .offset:         56
        .size:           8
        .value_kind:     by_value
      - .address_space:  global
        .offset:         64
        .size:           8
        .value_kind:     global_buffer
      - .offset:         72
        .size:           8
        .value_kind:     by_value
      - .offset:         80
        .size:           4
        .value_kind:     by_value
      - .offset:         88
        .size:           8
        .value_kind:     by_value
      - .offset:         96
        .size:           4
        .value_kind:     by_value
      - .offset:         104
        .size:           4
        .value_kind:     hidden_block_count_x
      - .offset:         108
        .size:           4
        .value_kind:     hidden_block_count_y
      - .offset:         112
        .size:           4
        .value_kind:     hidden_block_count_z
      - .offset:         116
        .size:           2
        .value_kind:     hidden_group_size_x
      - .offset:         118
        .size:           2
        .value_kind:     hidden_group_size_y
      - .offset:         120
        .size:           2
        .value_kind:     hidden_group_size_z
      - .offset:         122
        .size:           2
        .value_kind:     hidden_remainder_x
      - .offset:         124
        .size:           2
        .value_kind:     hidden_remainder_y
      - .offset:         126
        .size:           2
        .value_kind:     hidden_remainder_z
      - .offset:         144
        .size:           8
        .value_kind:     hidden_global_offset_x
      - .offset:         152
        .size:           8
        .value_kind:     hidden_global_offset_y
      - .offset:         160
        .size:           8
        .value_kind:     hidden_global_offset_z
      - .offset:         168
        .size:           2
        .value_kind:     hidden_grid_dims
    .group_segment_fixed_size: 16384
    .kernarg_segment_align: 8
    .kernarg_segment_size: 360
    .language:       OpenCL C
    .language_version:
      - 2
      - 0
    .max_flat_workgroup_size: 32
    .name:           _ZL31rocblas_trsm_small_right_deviceI19rocblas_complex_numIfES1_PKS1_PS1_Li32EEv13rocblas_fill_18rocblas_operation_17rocblas_diagonal_iiT0_T1_lilT2_lili
    .private_segment_fixed_size: 0
    .sgpr_count:     55
    .sgpr_spill_count: 0
    .symbol:         _ZL31rocblas_trsm_small_right_deviceI19rocblas_complex_numIfES1_PKS1_PS1_Li32EEv13rocblas_fill_18rocblas_operation_17rocblas_diagonal_iiT0_T1_lilT2_lili.kd
    .uniform_work_group_size: 1
    .uses_dynamic_stack: false
    .vgpr_count:     46
    .vgpr_spill_count: 0
    .wavefront_size: 32
  - .args:
      - .offset:         0
        .size:           4
        .value_kind:     by_value
      - .offset:         4
        .size:           4
        .value_kind:     by_value
      - .offset:         8
        .size:           4
        .value_kind:     by_value
      - .offset:         12
        .size:           4
        .value_kind:     by_value
      - .offset:         16
        .size:           4
        .value_kind:     by_value
      - .offset:         20
        .size:           8
        .value_kind:     by_value
      - .address_space:  global
        .offset:         32
        .size:           8
        .value_kind:     global_buffer
      - .offset:         40
        .size:           8
        .value_kind:     by_value
      - .offset:         48
        .size:           4
        .value_kind:     by_value
      - .offset:         56
        .size:           8
        .value_kind:     by_value
      - .address_space:  global
        .offset:         64
        .size:           8
        .value_kind:     global_buffer
      - .offset:         72
        .size:           8
        .value_kind:     by_value
      - .offset:         80
        .size:           4
        .value_kind:     by_value
      - .offset:         88
        .size:           8
        .value_kind:     by_value
      - .offset:         96
        .size:           4
        .value_kind:     by_value
      - .offset:         104
        .size:           4
        .value_kind:     hidden_block_count_x
      - .offset:         108
        .size:           4
        .value_kind:     hidden_block_count_y
      - .offset:         112
        .size:           4
        .value_kind:     hidden_block_count_z
      - .offset:         116
        .size:           2
        .value_kind:     hidden_group_size_x
      - .offset:         118
        .size:           2
        .value_kind:     hidden_group_size_y
      - .offset:         120
        .size:           2
        .value_kind:     hidden_group_size_z
      - .offset:         122
        .size:           2
        .value_kind:     hidden_remainder_x
      - .offset:         124
        .size:           2
        .value_kind:     hidden_remainder_y
      - .offset:         126
        .size:           2
        .value_kind:     hidden_remainder_z
      - .offset:         144
        .size:           8
        .value_kind:     hidden_global_offset_x
      - .offset:         152
        .size:           8
        .value_kind:     hidden_global_offset_y
      - .offset:         160
        .size:           8
        .value_kind:     hidden_global_offset_z
      - .offset:         168
        .size:           2
        .value_kind:     hidden_grid_dims
    .group_segment_fixed_size: 65536
    .kernarg_segment_align: 8
    .kernarg_segment_size: 360
    .language:       OpenCL C
    .language_version:
      - 2
      - 0
    .max_flat_workgroup_size: 64
    .name:           _ZL38rocblas_trsm_small_left_device_sharedBILi64ELi32ELb0E19rocblas_complex_numIfES1_PKS1_PS1_Ev13rocblas_fill_18rocblas_operation_17rocblas_diagonal_iiT3_T4_lilT5_lili
    .private_segment_fixed_size: 272
    .sgpr_count:     63
    .sgpr_spill_count: 0
    .symbol:         _ZL38rocblas_trsm_small_left_device_sharedBILi64ELi32ELb0E19rocblas_complex_numIfES1_PKS1_PS1_Ev13rocblas_fill_18rocblas_operation_17rocblas_diagonal_iiT3_T4_lilT5_lili.kd
    .uniform_work_group_size: 1
    .uses_dynamic_stack: false
    .vgpr_count:     34
    .vgpr_spill_count: 0
    .wavefront_size: 32
  - .args:
      - .offset:         0
        .size:           4
        .value_kind:     by_value
      - .offset:         4
        .size:           4
        .value_kind:     by_value
      - .offset:         8
        .size:           4
        .value_kind:     by_value
      - .offset:         12
        .size:           4
        .value_kind:     by_value
      - .offset:         16
        .size:           4
        .value_kind:     by_value
      - .offset:         20
        .size:           8
        .value_kind:     by_value
      - .address_space:  global
        .offset:         32
        .size:           8
        .value_kind:     global_buffer
      - .offset:         40
        .size:           8
        .value_kind:     by_value
      - .offset:         48
        .size:           4
        .value_kind:     by_value
      - .offset:         56
        .size:           8
        .value_kind:     by_value
      - .address_space:  global
        .offset:         64
        .size:           8
        .value_kind:     global_buffer
      - .offset:         72
        .size:           8
        .value_kind:     by_value
      - .offset:         80
        .size:           4
        .value_kind:     by_value
      - .offset:         88
        .size:           8
        .value_kind:     by_value
      - .offset:         96
        .size:           4
        .value_kind:     by_value
      - .offset:         104
        .size:           4
        .value_kind:     hidden_block_count_x
      - .offset:         108
        .size:           4
        .value_kind:     hidden_block_count_y
      - .offset:         112
        .size:           4
        .value_kind:     hidden_block_count_z
      - .offset:         116
        .size:           2
        .value_kind:     hidden_group_size_x
      - .offset:         118
        .size:           2
        .value_kind:     hidden_group_size_y
      - .offset:         120
        .size:           2
        .value_kind:     hidden_group_size_z
      - .offset:         122
        .size:           2
        .value_kind:     hidden_remainder_x
      - .offset:         124
        .size:           2
        .value_kind:     hidden_remainder_y
      - .offset:         126
        .size:           2
        .value_kind:     hidden_remainder_z
      - .offset:         144
        .size:           8
        .value_kind:     hidden_global_offset_x
      - .offset:         152
        .size:           8
        .value_kind:     hidden_global_offset_y
      - .offset:         160
        .size:           8
        .value_kind:     hidden_global_offset_z
      - .offset:         168
        .size:           2
        .value_kind:     hidden_grid_dims
    .group_segment_fixed_size: 32768
    .kernarg_segment_align: 8
    .kernarg_segment_size: 360
    .language:       OpenCL C
    .language_version:
      - 2
      - 0
    .max_flat_workgroup_size: 64
    .name:           _ZL30rocblas_trsm_small_left_deviceILi64ELi32ELb0E19rocblas_complex_numIfES1_PKS1_PS1_Ev13rocblas_fill_18rocblas_operation_17rocblas_diagonal_iiT3_T4_lilT5_lili
    .private_segment_fixed_size: 272
    .sgpr_count:     58
    .sgpr_spill_count: 0
    .symbol:         _ZL30rocblas_trsm_small_left_deviceILi64ELi32ELb0E19rocblas_complex_numIfES1_PKS1_PS1_Ev13rocblas_fill_18rocblas_operation_17rocblas_diagonal_iiT3_T4_lilT5_lili.kd
    .uniform_work_group_size: 1
    .uses_dynamic_stack: false
    .vgpr_count:     40
    .vgpr_spill_count: 0
    .wavefront_size: 32
  - .args:
      - .offset:         0
        .size:           4
        .value_kind:     by_value
      - .offset:         4
        .size:           4
        .value_kind:     by_value
      - .offset:         8
        .size:           4
        .value_kind:     by_value
      - .offset:         12
        .size:           4
        .value_kind:     by_value
      - .offset:         16
        .size:           4
        .value_kind:     by_value
      - .offset:         20
        .size:           8
        .value_kind:     by_value
      - .address_space:  global
        .offset:         32
        .size:           8
        .value_kind:     global_buffer
      - .offset:         40
        .size:           8
        .value_kind:     by_value
      - .offset:         48
        .size:           4
        .value_kind:     by_value
      - .offset:         56
        .size:           8
        .value_kind:     by_value
      - .address_space:  global
        .offset:         64
        .size:           8
        .value_kind:     global_buffer
      - .offset:         72
        .size:           8
        .value_kind:     by_value
      - .offset:         80
        .size:           4
        .value_kind:     by_value
      - .offset:         88
        .size:           8
        .value_kind:     by_value
      - .offset:         96
        .size:           4
        .value_kind:     by_value
      - .offset:         104
        .size:           4
        .value_kind:     hidden_block_count_x
      - .offset:         108
        .size:           4
        .value_kind:     hidden_block_count_y
      - .offset:         112
        .size:           4
        .value_kind:     hidden_block_count_z
      - .offset:         116
        .size:           2
        .value_kind:     hidden_group_size_x
      - .offset:         118
        .size:           2
        .value_kind:     hidden_group_size_y
      - .offset:         120
        .size:           2
        .value_kind:     hidden_group_size_z
      - .offset:         122
        .size:           2
        .value_kind:     hidden_remainder_x
      - .offset:         124
        .size:           2
        .value_kind:     hidden_remainder_y
      - .offset:         126
        .size:           2
        .value_kind:     hidden_remainder_z
      - .offset:         144
        .size:           8
        .value_kind:     hidden_global_offset_x
      - .offset:         152
        .size:           8
        .value_kind:     hidden_global_offset_y
      - .offset:         160
        .size:           8
        .value_kind:     hidden_global_offset_z
      - .offset:         168
        .size:           2
        .value_kind:     hidden_grid_dims
    .group_segment_fixed_size: 65536
    .kernarg_segment_align: 8
    .kernarg_segment_size: 360
    .language:       OpenCL C
    .language_version:
      - 2
      - 0
    .max_flat_workgroup_size: 64
    .name:           _ZL38rocblas_trsm_small_left_device_sharedBILi64ELi32ELb1E19rocblas_complex_numIfES1_PKS1_PS1_Ev13rocblas_fill_18rocblas_operation_17rocblas_diagonal_iiT3_T4_lilT5_lili
    .private_segment_fixed_size: 272
    .sgpr_count:     62
    .sgpr_spill_count: 0
    .symbol:         _ZL38rocblas_trsm_small_left_device_sharedBILi64ELi32ELb1E19rocblas_complex_numIfES1_PKS1_PS1_Ev13rocblas_fill_18rocblas_operation_17rocblas_diagonal_iiT3_T4_lilT5_lili.kd
    .uniform_work_group_size: 1
    .uses_dynamic_stack: false
    .vgpr_count:     34
    .vgpr_spill_count: 0
    .wavefront_size: 32
  - .args:
      - .offset:         0
        .size:           4
        .value_kind:     by_value
      - .offset:         4
        .size:           4
        .value_kind:     by_value
      - .offset:         8
        .size:           4
        .value_kind:     by_value
      - .offset:         12
        .size:           4
        .value_kind:     by_value
      - .offset:         16
        .size:           4
        .value_kind:     by_value
      - .offset:         20
        .size:           8
        .value_kind:     by_value
      - .address_space:  global
        .offset:         32
        .size:           8
        .value_kind:     global_buffer
      - .offset:         40
        .size:           8
        .value_kind:     by_value
      - .offset:         48
        .size:           4
        .value_kind:     by_value
      - .offset:         56
        .size:           8
        .value_kind:     by_value
      - .address_space:  global
        .offset:         64
        .size:           8
        .value_kind:     global_buffer
      - .offset:         72
        .size:           8
        .value_kind:     by_value
      - .offset:         80
        .size:           4
        .value_kind:     by_value
      - .offset:         88
        .size:           8
        .value_kind:     by_value
      - .offset:         96
        .size:           4
        .value_kind:     by_value
      - .offset:         104
        .size:           4
        .value_kind:     hidden_block_count_x
      - .offset:         108
        .size:           4
        .value_kind:     hidden_block_count_y
      - .offset:         112
        .size:           4
        .value_kind:     hidden_block_count_z
      - .offset:         116
        .size:           2
        .value_kind:     hidden_group_size_x
      - .offset:         118
        .size:           2
        .value_kind:     hidden_group_size_y
      - .offset:         120
        .size:           2
        .value_kind:     hidden_group_size_z
      - .offset:         122
        .size:           2
        .value_kind:     hidden_remainder_x
      - .offset:         124
        .size:           2
        .value_kind:     hidden_remainder_y
      - .offset:         126
        .size:           2
        .value_kind:     hidden_remainder_z
      - .offset:         144
        .size:           8
        .value_kind:     hidden_global_offset_x
      - .offset:         152
        .size:           8
        .value_kind:     hidden_global_offset_y
      - .offset:         160
        .size:           8
        .value_kind:     hidden_global_offset_z
      - .offset:         168
        .size:           2
        .value_kind:     hidden_grid_dims
    .group_segment_fixed_size: 32768
    .kernarg_segment_align: 8
    .kernarg_segment_size: 360
    .language:       OpenCL C
    .language_version:
      - 2
      - 0
    .max_flat_workgroup_size: 64
    .name:           _ZL30rocblas_trsm_small_left_deviceILi64ELi32ELb1E19rocblas_complex_numIfES1_PKS1_PS1_Ev13rocblas_fill_18rocblas_operation_17rocblas_diagonal_iiT3_T4_lilT5_lili
    .private_segment_fixed_size: 272
    .sgpr_count:     59
    .sgpr_spill_count: 0
    .symbol:         _ZL30rocblas_trsm_small_left_deviceILi64ELi32ELb1E19rocblas_complex_numIfES1_PKS1_PS1_Ev13rocblas_fill_18rocblas_operation_17rocblas_diagonal_iiT3_T4_lilT5_lili.kd
    .uniform_work_group_size: 1
    .uses_dynamic_stack: false
    .vgpr_count:     40
    .vgpr_spill_count: 0
    .wavefront_size: 32
  - .args:
      - .offset:         0
        .size:           4
        .value_kind:     by_value
      - .offset:         4
        .size:           4
        .value_kind:     by_value
      - .offset:         8
        .size:           4
        .value_kind:     by_value
      - .offset:         12
        .size:           4
        .value_kind:     by_value
      - .offset:         16
        .size:           4
        .value_kind:     by_value
      - .offset:         20
        .size:           8
        .value_kind:     by_value
      - .address_space:  global
        .offset:         32
        .size:           8
        .value_kind:     global_buffer
      - .offset:         40
        .size:           8
        .value_kind:     by_value
      - .offset:         48
        .size:           4
        .value_kind:     by_value
      - .offset:         56
        .size:           8
        .value_kind:     by_value
      - .address_space:  global
        .offset:         64
        .size:           8
        .value_kind:     global_buffer
      - .offset:         72
        .size:           8
        .value_kind:     by_value
      - .offset:         80
        .size:           4
        .value_kind:     by_value
      - .offset:         88
        .size:           8
        .value_kind:     by_value
      - .offset:         96
        .size:           4
        .value_kind:     by_value
      - .offset:         104
        .size:           4
        .value_kind:     hidden_block_count_x
      - .offset:         108
        .size:           4
        .value_kind:     hidden_block_count_y
      - .offset:         112
        .size:           4
        .value_kind:     hidden_block_count_z
      - .offset:         116
        .size:           2
        .value_kind:     hidden_group_size_x
      - .offset:         118
        .size:           2
        .value_kind:     hidden_group_size_y
      - .offset:         120
        .size:           2
        .value_kind:     hidden_group_size_z
      - .offset:         122
        .size:           2
        .value_kind:     hidden_remainder_x
      - .offset:         124
        .size:           2
        .value_kind:     hidden_remainder_y
      - .offset:         126
        .size:           2
        .value_kind:     hidden_remainder_z
      - .offset:         144
        .size:           8
        .value_kind:     hidden_global_offset_x
      - .offset:         152
        .size:           8
        .value_kind:     hidden_global_offset_y
      - .offset:         160
        .size:           8
        .value_kind:     hidden_global_offset_z
      - .offset:         168
        .size:           2
        .value_kind:     hidden_grid_dims
    .group_segment_fixed_size: 65536
    .kernarg_segment_align: 8
    .kernarg_segment_size: 360
    .language:       OpenCL C
    .language_version:
      - 2
      - 0
    .max_flat_workgroup_size: 64
    .name:           _ZL31rocblas_trsm_small_right_deviceI19rocblas_complex_numIfES1_PKS1_PS1_Li64EEv13rocblas_fill_18rocblas_operation_17rocblas_diagonal_iiT0_T1_lilT2_lili
    .private_segment_fixed_size: 0
    .sgpr_count:     55
    .sgpr_spill_count: 0
    .symbol:         _ZL31rocblas_trsm_small_right_deviceI19rocblas_complex_numIfES1_PKS1_PS1_Li64EEv13rocblas_fill_18rocblas_operation_17rocblas_diagonal_iiT0_T1_lilT2_lili.kd
    .uniform_work_group_size: 1
    .uses_dynamic_stack: false
    .vgpr_count:     46
    .vgpr_spill_count: 0
    .wavefront_size: 32
  - .args:
      - .offset:         0
        .size:           4
        .value_kind:     by_value
      - .offset:         8
        .size:           8
        .value_kind:     by_value
      - .offset:         16
        .size:           8
        .value_kind:     by_value
      - .offset:         24
        .size:           8
        .value_kind:     by_value
      - .address_space:  global
        .offset:         32
        .size:           8
        .value_kind:     global_buffer
      - .offset:         40
        .size:           8
        .value_kind:     by_value
      - .offset:         48
        .size:           8
        .value_kind:     by_value
      - .offset:         56
        .size:           8
        .value_kind:     by_value
      - .address_space:  global
        .offset:         64
        .size:           8
        .value_kind:     global_buffer
      - .offset:         72
        .size:           8
        .value_kind:     by_value
      - .offset:         80
        .size:           8
        .value_kind:     by_value
      - .offset:         88
        .size:           8
        .value_kind:     by_value
      - .offset:         96
        .size:           4
        .value_kind:     by_value
      - .offset:         100
        .size:           1
        .value_kind:     by_value
      - .offset:         104
        .size:           4
        .value_kind:     hidden_block_count_x
      - .offset:         108
        .size:           4
        .value_kind:     hidden_block_count_y
      - .offset:         112
        .size:           4
        .value_kind:     hidden_block_count_z
      - .offset:         116
        .size:           2
        .value_kind:     hidden_group_size_x
      - .offset:         118
        .size:           2
        .value_kind:     hidden_group_size_y
      - .offset:         120
        .size:           2
        .value_kind:     hidden_group_size_z
      - .offset:         122
        .size:           2
        .value_kind:     hidden_remainder_x
      - .offset:         124
        .size:           2
        .value_kind:     hidden_remainder_y
      - .offset:         126
        .size:           2
        .value_kind:     hidden_remainder_z
      - .offset:         144
        .size:           8
        .value_kind:     hidden_global_offset_x
      - .offset:         152
        .size:           8
        .value_kind:     hidden_global_offset_y
      - .offset:         160
        .size:           8
        .value_kind:     hidden_global_offset_z
      - .offset:         168
        .size:           2
        .value_kind:     hidden_grid_dims
      - .offset:         224
        .size:           4
        .value_kind:     hidden_dynamic_lds_size
    .group_segment_fixed_size: 0
    .kernarg_segment_align: 8
    .kernarg_segment_size: 360
    .language:       OpenCL C
    .language_version:
      - 2
      - 0
    .max_flat_workgroup_size: 1024
    .name:           _ZL39rocblas_trsm_block_forward_substitutionI19rocblas_complex_numIfES1_PKS1_PS1_Lb0ELb0ELb0EEv18rocblas_operation_llT0_T1_lllT2_lllib
    .private_segment_fixed_size: 0
    .sgpr_count:     44
    .sgpr_spill_count: 0
    .symbol:         _ZL39rocblas_trsm_block_forward_substitutionI19rocblas_complex_numIfES1_PKS1_PS1_Lb0ELb0ELb0EEv18rocblas_operation_llT0_T1_lllT2_lllib.kd
    .uniform_work_group_size: 1
    .uses_dynamic_stack: false
    .vgpr_count:     29
    .vgpr_spill_count: 0
    .wavefront_size: 32
  - .args:
      - .offset:         0
        .size:           4
        .value_kind:     by_value
      - .offset:         8
        .size:           8
        .value_kind:     by_value
      - .offset:         16
        .size:           8
        .value_kind:     by_value
      - .offset:         24
        .size:           8
        .value_kind:     by_value
      - .address_space:  global
        .offset:         32
        .size:           8
        .value_kind:     global_buffer
      - .offset:         40
        .size:           8
        .value_kind:     by_value
      - .offset:         48
        .size:           8
        .value_kind:     by_value
      - .offset:         56
        .size:           8
        .value_kind:     by_value
      - .address_space:  global
        .offset:         64
        .size:           8
        .value_kind:     global_buffer
      - .offset:         72
        .size:           8
        .value_kind:     by_value
      - .offset:         80
        .size:           8
        .value_kind:     by_value
      - .offset:         88
        .size:           8
        .value_kind:     by_value
      - .offset:         96
        .size:           4
        .value_kind:     by_value
      - .offset:         100
        .size:           1
        .value_kind:     by_value
      - .offset:         104
        .size:           4
        .value_kind:     hidden_block_count_x
      - .offset:         108
        .size:           4
        .value_kind:     hidden_block_count_y
      - .offset:         112
        .size:           4
        .value_kind:     hidden_block_count_z
      - .offset:         116
        .size:           2
        .value_kind:     hidden_group_size_x
      - .offset:         118
        .size:           2
        .value_kind:     hidden_group_size_y
      - .offset:         120
        .size:           2
        .value_kind:     hidden_group_size_z
      - .offset:         122
        .size:           2
        .value_kind:     hidden_remainder_x
      - .offset:         124
        .size:           2
        .value_kind:     hidden_remainder_y
      - .offset:         126
        .size:           2
        .value_kind:     hidden_remainder_z
      - .offset:         144
        .size:           8
        .value_kind:     hidden_global_offset_x
      - .offset:         152
        .size:           8
        .value_kind:     hidden_global_offset_y
      - .offset:         160
        .size:           8
        .value_kind:     hidden_global_offset_z
      - .offset:         168
        .size:           2
        .value_kind:     hidden_grid_dims
      - .offset:         224
        .size:           4
        .value_kind:     hidden_dynamic_lds_size
    .group_segment_fixed_size: 0
    .kernarg_segment_align: 8
    .kernarg_segment_size: 360
    .language:       OpenCL C
    .language_version:
      - 2
      - 0
    .max_flat_workgroup_size: 1024
    .name:           _ZL40rocblas_trsm_block_backward_substitutionI19rocblas_complex_numIfES1_PKS1_PS1_Lb0ELb0ELb0EEv18rocblas_operation_llT0_T1_lllT2_lllib
    .private_segment_fixed_size: 0
    .sgpr_count:     52
    .sgpr_spill_count: 0
    .symbol:         _ZL40rocblas_trsm_block_backward_substitutionI19rocblas_complex_numIfES1_PKS1_PS1_Lb0ELb0ELb0EEv18rocblas_operation_llT0_T1_lllT2_lllib.kd
    .uniform_work_group_size: 1
    .uses_dynamic_stack: false
    .vgpr_count:     30
    .vgpr_spill_count: 0
    .wavefront_size: 32
  - .args:
      - .offset:         0
        .size:           4
        .value_kind:     by_value
      - .offset:         8
        .size:           8
        .value_kind:     by_value
      - .offset:         16
        .size:           8
        .value_kind:     by_value
      - .offset:         24
        .size:           8
        .value_kind:     by_value
      - .address_space:  global
        .offset:         32
        .size:           8
        .value_kind:     global_buffer
      - .offset:         40
        .size:           8
        .value_kind:     by_value
      - .offset:         48
        .size:           8
        .value_kind:     by_value
      - .offset:         56
        .size:           8
        .value_kind:     by_value
      - .address_space:  global
        .offset:         64
        .size:           8
        .value_kind:     global_buffer
      - .offset:         72
        .size:           8
        .value_kind:     by_value
      - .offset:         80
        .size:           8
        .value_kind:     by_value
      - .offset:         88
        .size:           8
        .value_kind:     by_value
      - .offset:         96
        .size:           4
        .value_kind:     by_value
      - .offset:         100
        .size:           1
        .value_kind:     by_value
      - .offset:         104
        .size:           4
        .value_kind:     hidden_block_count_x
      - .offset:         108
        .size:           4
        .value_kind:     hidden_block_count_y
      - .offset:         112
        .size:           4
        .value_kind:     hidden_block_count_z
      - .offset:         116
        .size:           2
        .value_kind:     hidden_group_size_x
      - .offset:         118
        .size:           2
        .value_kind:     hidden_group_size_y
      - .offset:         120
        .size:           2
        .value_kind:     hidden_group_size_z
      - .offset:         122
        .size:           2
        .value_kind:     hidden_remainder_x
      - .offset:         124
        .size:           2
        .value_kind:     hidden_remainder_y
      - .offset:         126
        .size:           2
        .value_kind:     hidden_remainder_z
      - .offset:         144
        .size:           8
        .value_kind:     hidden_global_offset_x
      - .offset:         152
        .size:           8
        .value_kind:     hidden_global_offset_y
      - .offset:         160
        .size:           8
        .value_kind:     hidden_global_offset_z
      - .offset:         168
        .size:           2
        .value_kind:     hidden_grid_dims
      - .offset:         224
        .size:           4
        .value_kind:     hidden_dynamic_lds_size
    .group_segment_fixed_size: 0
    .kernarg_segment_align: 8
    .kernarg_segment_size: 360
    .language:       OpenCL C
    .language_version:
      - 2
      - 0
    .max_flat_workgroup_size: 1024
    .name:           _ZL39rocblas_trsm_block_forward_substitutionI19rocblas_complex_numIfES1_PKS1_PS1_Lb0ELb0ELb1EEv18rocblas_operation_llT0_T1_lllT2_lllib
    .private_segment_fixed_size: 0
    .sgpr_count:     40
    .sgpr_spill_count: 0
    .symbol:         _ZL39rocblas_trsm_block_forward_substitutionI19rocblas_complex_numIfES1_PKS1_PS1_Lb0ELb0ELb1EEv18rocblas_operation_llT0_T1_lllT2_lllib.kd
    .uniform_work_group_size: 1
    .uses_dynamic_stack: false
    .vgpr_count:     26
    .vgpr_spill_count: 0
    .wavefront_size: 32
  - .args:
      - .offset:         0
        .size:           4
        .value_kind:     by_value
      - .offset:         8
        .size:           8
        .value_kind:     by_value
      - .offset:         16
        .size:           8
        .value_kind:     by_value
      - .offset:         24
        .size:           8
        .value_kind:     by_value
      - .address_space:  global
        .offset:         32
        .size:           8
        .value_kind:     global_buffer
      - .offset:         40
        .size:           8
        .value_kind:     by_value
      - .offset:         48
        .size:           8
        .value_kind:     by_value
      - .offset:         56
        .size:           8
        .value_kind:     by_value
      - .address_space:  global
        .offset:         64
        .size:           8
        .value_kind:     global_buffer
      - .offset:         72
        .size:           8
        .value_kind:     by_value
      - .offset:         80
        .size:           8
        .value_kind:     by_value
      - .offset:         88
        .size:           8
        .value_kind:     by_value
      - .offset:         96
        .size:           4
        .value_kind:     by_value
      - .offset:         100
        .size:           1
        .value_kind:     by_value
      - .offset:         104
        .size:           4
        .value_kind:     hidden_block_count_x
      - .offset:         108
        .size:           4
        .value_kind:     hidden_block_count_y
      - .offset:         112
        .size:           4
        .value_kind:     hidden_block_count_z
      - .offset:         116
        .size:           2
        .value_kind:     hidden_group_size_x
      - .offset:         118
        .size:           2
        .value_kind:     hidden_group_size_y
      - .offset:         120
        .size:           2
        .value_kind:     hidden_group_size_z
      - .offset:         122
        .size:           2
        .value_kind:     hidden_remainder_x
      - .offset:         124
        .size:           2
        .value_kind:     hidden_remainder_y
      - .offset:         126
        .size:           2
        .value_kind:     hidden_remainder_z
      - .offset:         144
        .size:           8
        .value_kind:     hidden_global_offset_x
      - .offset:         152
        .size:           8
        .value_kind:     hidden_global_offset_y
      - .offset:         160
        .size:           8
        .value_kind:     hidden_global_offset_z
      - .offset:         168
        .size:           2
        .value_kind:     hidden_grid_dims
      - .offset:         224
        .size:           4
        .value_kind:     hidden_dynamic_lds_size
    .group_segment_fixed_size: 0
    .kernarg_segment_align: 8
    .kernarg_segment_size: 360
    .language:       OpenCL C
    .language_version:
      - 2
      - 0
    .max_flat_workgroup_size: 1024
    .name:           _ZL40rocblas_trsm_block_backward_substitutionI19rocblas_complex_numIfES1_PKS1_PS1_Lb0ELb0ELb1EEv18rocblas_operation_llT0_T1_lllT2_lllib
    .private_segment_fixed_size: 0
    .sgpr_count:     44
    .sgpr_spill_count: 0
    .symbol:         _ZL40rocblas_trsm_block_backward_substitutionI19rocblas_complex_numIfES1_PKS1_PS1_Lb0ELb0ELb1EEv18rocblas_operation_llT0_T1_lllT2_lllib.kd
    .uniform_work_group_size: 1
    .uses_dynamic_stack: false
    .vgpr_count:     26
    .vgpr_spill_count: 0
    .wavefront_size: 32
  - .args:
      - .offset:         0
        .size:           4
        .value_kind:     by_value
      - .offset:         8
        .size:           8
        .value_kind:     by_value
      - .offset:         16
        .size:           8
        .value_kind:     by_value
      - .offset:         24
        .size:           8
        .value_kind:     by_value
      - .address_space:  global
        .offset:         32
        .size:           8
        .value_kind:     global_buffer
      - .offset:         40
        .size:           8
        .value_kind:     by_value
      - .offset:         48
        .size:           8
        .value_kind:     by_value
      - .offset:         56
        .size:           8
        .value_kind:     by_value
      - .address_space:  global
        .offset:         64
        .size:           8
        .value_kind:     global_buffer
      - .offset:         72
        .size:           8
        .value_kind:     by_value
      - .offset:         80
        .size:           8
        .value_kind:     by_value
      - .offset:         88
        .size:           8
        .value_kind:     by_value
      - .offset:         96
        .size:           4
        .value_kind:     by_value
      - .offset:         100
        .size:           1
        .value_kind:     by_value
      - .offset:         104
        .size:           4
        .value_kind:     hidden_block_count_x
      - .offset:         108
        .size:           4
        .value_kind:     hidden_block_count_y
      - .offset:         112
        .size:           4
        .value_kind:     hidden_block_count_z
      - .offset:         116
        .size:           2
        .value_kind:     hidden_group_size_x
      - .offset:         118
        .size:           2
        .value_kind:     hidden_group_size_y
      - .offset:         120
        .size:           2
        .value_kind:     hidden_group_size_z
      - .offset:         122
        .size:           2
        .value_kind:     hidden_remainder_x
      - .offset:         124
        .size:           2
        .value_kind:     hidden_remainder_y
      - .offset:         126
        .size:           2
        .value_kind:     hidden_remainder_z
      - .offset:         144
        .size:           8
        .value_kind:     hidden_global_offset_x
      - .offset:         152
        .size:           8
        .value_kind:     hidden_global_offset_y
      - .offset:         160
        .size:           8
        .value_kind:     hidden_global_offset_z
      - .offset:         168
        .size:           2
        .value_kind:     hidden_grid_dims
      - .offset:         224
        .size:           4
        .value_kind:     hidden_dynamic_lds_size
    .group_segment_fixed_size: 0
    .kernarg_segment_align: 8
    .kernarg_segment_size: 360
    .language:       OpenCL C
    .language_version:
      - 2
      - 0
    .max_flat_workgroup_size: 1024
    .name:           _ZL39rocblas_trsm_block_forward_substitutionI19rocblas_complex_numIfES1_PKS1_PS1_Lb0ELb1ELb0EEv18rocblas_operation_llT0_T1_lllT2_lllib
    .private_segment_fixed_size: 0
    .sgpr_count:     44
    .sgpr_spill_count: 0
    .symbol:         _ZL39rocblas_trsm_block_forward_substitutionI19rocblas_complex_numIfES1_PKS1_PS1_Lb0ELb1ELb0EEv18rocblas_operation_llT0_T1_lllT2_lllib.kd
    .uniform_work_group_size: 1
    .uses_dynamic_stack: false
    .vgpr_count:     29
    .vgpr_spill_count: 0
    .wavefront_size: 32
  - .args:
      - .offset:         0
        .size:           4
        .value_kind:     by_value
      - .offset:         8
        .size:           8
        .value_kind:     by_value
      - .offset:         16
        .size:           8
        .value_kind:     by_value
      - .offset:         24
        .size:           8
        .value_kind:     by_value
      - .address_space:  global
        .offset:         32
        .size:           8
        .value_kind:     global_buffer
      - .offset:         40
        .size:           8
        .value_kind:     by_value
      - .offset:         48
        .size:           8
        .value_kind:     by_value
      - .offset:         56
        .size:           8
        .value_kind:     by_value
      - .address_space:  global
        .offset:         64
        .size:           8
        .value_kind:     global_buffer
      - .offset:         72
        .size:           8
        .value_kind:     by_value
      - .offset:         80
        .size:           8
        .value_kind:     by_value
      - .offset:         88
        .size:           8
        .value_kind:     by_value
      - .offset:         96
        .size:           4
        .value_kind:     by_value
      - .offset:         100
        .size:           1
        .value_kind:     by_value
      - .offset:         104
        .size:           4
        .value_kind:     hidden_block_count_x
      - .offset:         108
        .size:           4
        .value_kind:     hidden_block_count_y
      - .offset:         112
        .size:           4
        .value_kind:     hidden_block_count_z
      - .offset:         116
        .size:           2
        .value_kind:     hidden_group_size_x
      - .offset:         118
        .size:           2
        .value_kind:     hidden_group_size_y
      - .offset:         120
        .size:           2
        .value_kind:     hidden_group_size_z
      - .offset:         122
        .size:           2
        .value_kind:     hidden_remainder_x
      - .offset:         124
        .size:           2
        .value_kind:     hidden_remainder_y
      - .offset:         126
        .size:           2
        .value_kind:     hidden_remainder_z
      - .offset:         144
        .size:           8
        .value_kind:     hidden_global_offset_x
      - .offset:         152
        .size:           8
        .value_kind:     hidden_global_offset_y
      - .offset:         160
        .size:           8
        .value_kind:     hidden_global_offset_z
      - .offset:         168
        .size:           2
        .value_kind:     hidden_grid_dims
      - .offset:         224
        .size:           4
        .value_kind:     hidden_dynamic_lds_size
    .group_segment_fixed_size: 0
    .kernarg_segment_align: 8
    .kernarg_segment_size: 360
    .language:       OpenCL C
    .language_version:
      - 2
      - 0
    .max_flat_workgroup_size: 1024
    .name:           _ZL40rocblas_trsm_block_backward_substitutionI19rocblas_complex_numIfES1_PKS1_PS1_Lb0ELb1ELb0EEv18rocblas_operation_llT0_T1_lllT2_lllib
    .private_segment_fixed_size: 0
    .sgpr_count:     52
    .sgpr_spill_count: 0
    .symbol:         _ZL40rocblas_trsm_block_backward_substitutionI19rocblas_complex_numIfES1_PKS1_PS1_Lb0ELb1ELb0EEv18rocblas_operation_llT0_T1_lllT2_lllib.kd
    .uniform_work_group_size: 1
    .uses_dynamic_stack: false
    .vgpr_count:     30
    .vgpr_spill_count: 0
    .wavefront_size: 32
  - .args:
      - .offset:         0
        .size:           4
        .value_kind:     by_value
      - .offset:         8
        .size:           8
        .value_kind:     by_value
      - .offset:         16
        .size:           8
        .value_kind:     by_value
      - .offset:         24
        .size:           8
        .value_kind:     by_value
      - .address_space:  global
        .offset:         32
        .size:           8
        .value_kind:     global_buffer
      - .offset:         40
        .size:           8
        .value_kind:     by_value
      - .offset:         48
        .size:           8
        .value_kind:     by_value
      - .offset:         56
        .size:           8
        .value_kind:     by_value
      - .address_space:  global
        .offset:         64
        .size:           8
        .value_kind:     global_buffer
      - .offset:         72
        .size:           8
        .value_kind:     by_value
      - .offset:         80
        .size:           8
        .value_kind:     by_value
      - .offset:         88
        .size:           8
        .value_kind:     by_value
      - .offset:         96
        .size:           4
        .value_kind:     by_value
      - .offset:         100
        .size:           1
        .value_kind:     by_value
      - .offset:         104
        .size:           4
        .value_kind:     hidden_block_count_x
      - .offset:         108
        .size:           4
        .value_kind:     hidden_block_count_y
      - .offset:         112
        .size:           4
        .value_kind:     hidden_block_count_z
      - .offset:         116
        .size:           2
        .value_kind:     hidden_group_size_x
      - .offset:         118
        .size:           2
        .value_kind:     hidden_group_size_y
      - .offset:         120
        .size:           2
        .value_kind:     hidden_group_size_z
      - .offset:         122
        .size:           2
        .value_kind:     hidden_remainder_x
      - .offset:         124
        .size:           2
        .value_kind:     hidden_remainder_y
      - .offset:         126
        .size:           2
        .value_kind:     hidden_remainder_z
      - .offset:         144
        .size:           8
        .value_kind:     hidden_global_offset_x
      - .offset:         152
        .size:           8
        .value_kind:     hidden_global_offset_y
      - .offset:         160
        .size:           8
        .value_kind:     hidden_global_offset_z
      - .offset:         168
        .size:           2
        .value_kind:     hidden_grid_dims
      - .offset:         224
        .size:           4
        .value_kind:     hidden_dynamic_lds_size
    .group_segment_fixed_size: 0
    .kernarg_segment_align: 8
    .kernarg_segment_size: 360
    .language:       OpenCL C
    .language_version:
      - 2
      - 0
    .max_flat_workgroup_size: 1024
    .name:           _ZL39rocblas_trsm_block_forward_substitutionI19rocblas_complex_numIfES1_PKS1_PS1_Lb0ELb1ELb1EEv18rocblas_operation_llT0_T1_lllT2_lllib
    .private_segment_fixed_size: 0
    .sgpr_count:     40
    .sgpr_spill_count: 0
    .symbol:         _ZL39rocblas_trsm_block_forward_substitutionI19rocblas_complex_numIfES1_PKS1_PS1_Lb0ELb1ELb1EEv18rocblas_operation_llT0_T1_lllT2_lllib.kd
    .uniform_work_group_size: 1
    .uses_dynamic_stack: false
    .vgpr_count:     26
    .vgpr_spill_count: 0
    .wavefront_size: 32
  - .args:
      - .offset:         0
        .size:           4
        .value_kind:     by_value
      - .offset:         8
        .size:           8
        .value_kind:     by_value
      - .offset:         16
        .size:           8
        .value_kind:     by_value
      - .offset:         24
        .size:           8
        .value_kind:     by_value
      - .address_space:  global
        .offset:         32
        .size:           8
        .value_kind:     global_buffer
      - .offset:         40
        .size:           8
        .value_kind:     by_value
      - .offset:         48
        .size:           8
        .value_kind:     by_value
      - .offset:         56
        .size:           8
        .value_kind:     by_value
      - .address_space:  global
        .offset:         64
        .size:           8
        .value_kind:     global_buffer
      - .offset:         72
        .size:           8
        .value_kind:     by_value
      - .offset:         80
        .size:           8
        .value_kind:     by_value
      - .offset:         88
        .size:           8
        .value_kind:     by_value
      - .offset:         96
        .size:           4
        .value_kind:     by_value
      - .offset:         100
        .size:           1
        .value_kind:     by_value
      - .offset:         104
        .size:           4
        .value_kind:     hidden_block_count_x
      - .offset:         108
        .size:           4
        .value_kind:     hidden_block_count_y
      - .offset:         112
        .size:           4
        .value_kind:     hidden_block_count_z
      - .offset:         116
        .size:           2
        .value_kind:     hidden_group_size_x
      - .offset:         118
        .size:           2
        .value_kind:     hidden_group_size_y
      - .offset:         120
        .size:           2
        .value_kind:     hidden_group_size_z
      - .offset:         122
        .size:           2
        .value_kind:     hidden_remainder_x
      - .offset:         124
        .size:           2
        .value_kind:     hidden_remainder_y
      - .offset:         126
        .size:           2
        .value_kind:     hidden_remainder_z
      - .offset:         144
        .size:           8
        .value_kind:     hidden_global_offset_x
      - .offset:         152
        .size:           8
        .value_kind:     hidden_global_offset_y
      - .offset:         160
        .size:           8
        .value_kind:     hidden_global_offset_z
      - .offset:         168
        .size:           2
        .value_kind:     hidden_grid_dims
      - .offset:         224
        .size:           4
        .value_kind:     hidden_dynamic_lds_size
    .group_segment_fixed_size: 0
    .kernarg_segment_align: 8
    .kernarg_segment_size: 360
    .language:       OpenCL C
    .language_version:
      - 2
      - 0
    .max_flat_workgroup_size: 1024
    .name:           _ZL40rocblas_trsm_block_backward_substitutionI19rocblas_complex_numIfES1_PKS1_PS1_Lb0ELb1ELb1EEv18rocblas_operation_llT0_T1_lllT2_lllib
    .private_segment_fixed_size: 0
    .sgpr_count:     44
    .sgpr_spill_count: 0
    .symbol:         _ZL40rocblas_trsm_block_backward_substitutionI19rocblas_complex_numIfES1_PKS1_PS1_Lb0ELb1ELb1EEv18rocblas_operation_llT0_T1_lllT2_lllib.kd
    .uniform_work_group_size: 1
    .uses_dynamic_stack: false
    .vgpr_count:     26
    .vgpr_spill_count: 0
    .wavefront_size: 32
  - .args:
      - .offset:         0
        .size:           4
        .value_kind:     by_value
      - .offset:         8
        .size:           8
        .value_kind:     by_value
      - .offset:         16
        .size:           8
        .value_kind:     by_value
      - .offset:         24
        .size:           8
        .value_kind:     by_value
      - .address_space:  global
        .offset:         32
        .size:           8
        .value_kind:     global_buffer
      - .offset:         40
        .size:           8
        .value_kind:     by_value
      - .offset:         48
        .size:           8
        .value_kind:     by_value
      - .offset:         56
        .size:           8
        .value_kind:     by_value
      - .address_space:  global
        .offset:         64
        .size:           8
        .value_kind:     global_buffer
      - .offset:         72
        .size:           8
        .value_kind:     by_value
      - .offset:         80
        .size:           8
        .value_kind:     by_value
      - .offset:         88
        .size:           8
        .value_kind:     by_value
      - .offset:         96
        .size:           4
        .value_kind:     by_value
      - .offset:         100
        .size:           1
        .value_kind:     by_value
      - .offset:         104
        .size:           4
        .value_kind:     hidden_block_count_x
      - .offset:         108
        .size:           4
        .value_kind:     hidden_block_count_y
      - .offset:         112
        .size:           4
        .value_kind:     hidden_block_count_z
      - .offset:         116
        .size:           2
        .value_kind:     hidden_group_size_x
      - .offset:         118
        .size:           2
        .value_kind:     hidden_group_size_y
      - .offset:         120
        .size:           2
        .value_kind:     hidden_group_size_z
      - .offset:         122
        .size:           2
        .value_kind:     hidden_remainder_x
      - .offset:         124
        .size:           2
        .value_kind:     hidden_remainder_y
      - .offset:         126
        .size:           2
        .value_kind:     hidden_remainder_z
      - .offset:         144
        .size:           8
        .value_kind:     hidden_global_offset_x
      - .offset:         152
        .size:           8
        .value_kind:     hidden_global_offset_y
      - .offset:         160
        .size:           8
        .value_kind:     hidden_global_offset_z
      - .offset:         168
        .size:           2
        .value_kind:     hidden_grid_dims
      - .offset:         224
        .size:           4
        .value_kind:     hidden_dynamic_lds_size
    .group_segment_fixed_size: 0
    .kernarg_segment_align: 8
    .kernarg_segment_size: 360
    .language:       OpenCL C
    .language_version:
      - 2
      - 0
    .max_flat_workgroup_size: 1024
    .name:           _ZL39rocblas_trsm_block_forward_substitutionI19rocblas_complex_numIfES1_PKS1_PS1_Lb1ELb1ELb0EEv18rocblas_operation_llT0_T1_lllT2_lllib
    .private_segment_fixed_size: 0
    .sgpr_count:     46
    .sgpr_spill_count: 0
    .symbol:         _ZL39rocblas_trsm_block_forward_substitutionI19rocblas_complex_numIfES1_PKS1_PS1_Lb1ELb1ELb0EEv18rocblas_operation_llT0_T1_lllT2_lllib.kd
    .uniform_work_group_size: 1
    .uses_dynamic_stack: false
    .vgpr_count:     26
    .vgpr_spill_count: 0
    .wavefront_size: 32
  - .args:
      - .offset:         0
        .size:           4
        .value_kind:     by_value
      - .offset:         8
        .size:           8
        .value_kind:     by_value
      - .offset:         16
        .size:           8
        .value_kind:     by_value
      - .offset:         24
        .size:           8
        .value_kind:     by_value
      - .address_space:  global
        .offset:         32
        .size:           8
        .value_kind:     global_buffer
      - .offset:         40
        .size:           8
        .value_kind:     by_value
      - .offset:         48
        .size:           8
        .value_kind:     by_value
      - .offset:         56
        .size:           8
        .value_kind:     by_value
      - .address_space:  global
        .offset:         64
        .size:           8
        .value_kind:     global_buffer
      - .offset:         72
        .size:           8
        .value_kind:     by_value
      - .offset:         80
        .size:           8
        .value_kind:     by_value
      - .offset:         88
        .size:           8
        .value_kind:     by_value
      - .offset:         96
        .size:           4
        .value_kind:     by_value
      - .offset:         100
        .size:           1
        .value_kind:     by_value
      - .offset:         104
        .size:           4
        .value_kind:     hidden_block_count_x
      - .offset:         108
        .size:           4
        .value_kind:     hidden_block_count_y
      - .offset:         112
        .size:           4
        .value_kind:     hidden_block_count_z
      - .offset:         116
        .size:           2
        .value_kind:     hidden_group_size_x
      - .offset:         118
        .size:           2
        .value_kind:     hidden_group_size_y
      - .offset:         120
        .size:           2
        .value_kind:     hidden_group_size_z
      - .offset:         122
        .size:           2
        .value_kind:     hidden_remainder_x
      - .offset:         124
        .size:           2
        .value_kind:     hidden_remainder_y
      - .offset:         126
        .size:           2
        .value_kind:     hidden_remainder_z
      - .offset:         144
        .size:           8
        .value_kind:     hidden_global_offset_x
      - .offset:         152
        .size:           8
        .value_kind:     hidden_global_offset_y
      - .offset:         160
        .size:           8
        .value_kind:     hidden_global_offset_z
      - .offset:         168
        .size:           2
        .value_kind:     hidden_grid_dims
      - .offset:         224
        .size:           4
        .value_kind:     hidden_dynamic_lds_size
    .group_segment_fixed_size: 0
    .kernarg_segment_align: 8
    .kernarg_segment_size: 360
    .language:       OpenCL C
    .language_version:
      - 2
      - 0
    .max_flat_workgroup_size: 1024
    .name:           _ZL40rocblas_trsm_block_backward_substitutionI19rocblas_complex_numIfES1_PKS1_PS1_Lb1ELb1ELb0EEv18rocblas_operation_llT0_T1_lllT2_lllib
    .private_segment_fixed_size: 0
    .sgpr_count:     50
    .sgpr_spill_count: 0
    .symbol:         _ZL40rocblas_trsm_block_backward_substitutionI19rocblas_complex_numIfES1_PKS1_PS1_Lb1ELb1ELb0EEv18rocblas_operation_llT0_T1_lllT2_lllib.kd
    .uniform_work_group_size: 1
    .uses_dynamic_stack: false
    .vgpr_count:     31
    .vgpr_spill_count: 0
    .wavefront_size: 32
  - .args:
      - .offset:         0
        .size:           4
        .value_kind:     by_value
      - .offset:         8
        .size:           8
        .value_kind:     by_value
      - .offset:         16
        .size:           8
        .value_kind:     by_value
      - .offset:         24
        .size:           8
        .value_kind:     by_value
      - .address_space:  global
        .offset:         32
        .size:           8
        .value_kind:     global_buffer
      - .offset:         40
        .size:           8
        .value_kind:     by_value
      - .offset:         48
        .size:           8
        .value_kind:     by_value
      - .offset:         56
        .size:           8
        .value_kind:     by_value
      - .address_space:  global
        .offset:         64
        .size:           8
        .value_kind:     global_buffer
      - .offset:         72
        .size:           8
        .value_kind:     by_value
      - .offset:         80
        .size:           8
        .value_kind:     by_value
      - .offset:         88
        .size:           8
        .value_kind:     by_value
      - .offset:         96
        .size:           4
        .value_kind:     by_value
      - .offset:         100
        .size:           1
        .value_kind:     by_value
      - .offset:         104
        .size:           4
        .value_kind:     hidden_block_count_x
      - .offset:         108
        .size:           4
        .value_kind:     hidden_block_count_y
      - .offset:         112
        .size:           4
        .value_kind:     hidden_block_count_z
      - .offset:         116
        .size:           2
        .value_kind:     hidden_group_size_x
      - .offset:         118
        .size:           2
        .value_kind:     hidden_group_size_y
      - .offset:         120
        .size:           2
        .value_kind:     hidden_group_size_z
      - .offset:         122
        .size:           2
        .value_kind:     hidden_remainder_x
      - .offset:         124
        .size:           2
        .value_kind:     hidden_remainder_y
      - .offset:         126
        .size:           2
        .value_kind:     hidden_remainder_z
      - .offset:         144
        .size:           8
        .value_kind:     hidden_global_offset_x
      - .offset:         152
        .size:           8
        .value_kind:     hidden_global_offset_y
      - .offset:         160
        .size:           8
        .value_kind:     hidden_global_offset_z
      - .offset:         168
        .size:           2
        .value_kind:     hidden_grid_dims
      - .offset:         224
        .size:           4
        .value_kind:     hidden_dynamic_lds_size
    .group_segment_fixed_size: 0
    .kernarg_segment_align: 8
    .kernarg_segment_size: 360
    .language:       OpenCL C
    .language_version:
      - 2
      - 0
    .max_flat_workgroup_size: 1024
    .name:           _ZL39rocblas_trsm_block_forward_substitutionI19rocblas_complex_numIfES1_PKS1_PS1_Lb1ELb1ELb1EEv18rocblas_operation_llT0_T1_lllT2_lllib
    .private_segment_fixed_size: 0
    .sgpr_count:     42
    .sgpr_spill_count: 0
    .symbol:         _ZL39rocblas_trsm_block_forward_substitutionI19rocblas_complex_numIfES1_PKS1_PS1_Lb1ELb1ELb1EEv18rocblas_operation_llT0_T1_lllT2_lllib.kd
    .uniform_work_group_size: 1
    .uses_dynamic_stack: false
    .vgpr_count:     24
    .vgpr_spill_count: 0
    .wavefront_size: 32
  - .args:
      - .offset:         0
        .size:           4
        .value_kind:     by_value
      - .offset:         8
        .size:           8
        .value_kind:     by_value
      - .offset:         16
        .size:           8
        .value_kind:     by_value
      - .offset:         24
        .size:           8
        .value_kind:     by_value
      - .address_space:  global
        .offset:         32
        .size:           8
        .value_kind:     global_buffer
      - .offset:         40
        .size:           8
        .value_kind:     by_value
      - .offset:         48
        .size:           8
        .value_kind:     by_value
      - .offset:         56
        .size:           8
        .value_kind:     by_value
      - .address_space:  global
        .offset:         64
        .size:           8
        .value_kind:     global_buffer
      - .offset:         72
        .size:           8
        .value_kind:     by_value
      - .offset:         80
        .size:           8
        .value_kind:     by_value
      - .offset:         88
        .size:           8
        .value_kind:     by_value
      - .offset:         96
        .size:           4
        .value_kind:     by_value
      - .offset:         100
        .size:           1
        .value_kind:     by_value
      - .offset:         104
        .size:           4
        .value_kind:     hidden_block_count_x
      - .offset:         108
        .size:           4
        .value_kind:     hidden_block_count_y
      - .offset:         112
        .size:           4
        .value_kind:     hidden_block_count_z
      - .offset:         116
        .size:           2
        .value_kind:     hidden_group_size_x
      - .offset:         118
        .size:           2
        .value_kind:     hidden_group_size_y
      - .offset:         120
        .size:           2
        .value_kind:     hidden_group_size_z
      - .offset:         122
        .size:           2
        .value_kind:     hidden_remainder_x
      - .offset:         124
        .size:           2
        .value_kind:     hidden_remainder_y
      - .offset:         126
        .size:           2
        .value_kind:     hidden_remainder_z
      - .offset:         144
        .size:           8
        .value_kind:     hidden_global_offset_x
      - .offset:         152
        .size:           8
        .value_kind:     hidden_global_offset_y
      - .offset:         160
        .size:           8
        .value_kind:     hidden_global_offset_z
      - .offset:         168
        .size:           2
        .value_kind:     hidden_grid_dims
      - .offset:         224
        .size:           4
        .value_kind:     hidden_dynamic_lds_size
    .group_segment_fixed_size: 0
    .kernarg_segment_align: 8
    .kernarg_segment_size: 360
    .language:       OpenCL C
    .language_version:
      - 2
      - 0
    .max_flat_workgroup_size: 1024
    .name:           _ZL40rocblas_trsm_block_backward_substitutionI19rocblas_complex_numIfES1_PKS1_PS1_Lb1ELb1ELb1EEv18rocblas_operation_llT0_T1_lllT2_lllib
    .private_segment_fixed_size: 0
    .sgpr_count:     42
    .sgpr_spill_count: 0
    .symbol:         _ZL40rocblas_trsm_block_backward_substitutionI19rocblas_complex_numIfES1_PKS1_PS1_Lb1ELb1ELb1EEv18rocblas_operation_llT0_T1_lllT2_lllib.kd
    .uniform_work_group_size: 1
    .uses_dynamic_stack: false
    .vgpr_count:     26
    .vgpr_spill_count: 0
    .wavefront_size: 32
  - .args:
      - .offset:         0
        .size:           4
        .value_kind:     by_value
      - .offset:         8
        .size:           8
        .value_kind:     by_value
      - .offset:         16
        .size:           8
        .value_kind:     by_value
      - .offset:         24
        .size:           8
        .value_kind:     by_value
      - .address_space:  global
        .offset:         32
        .size:           8
        .value_kind:     global_buffer
      - .offset:         40
        .size:           8
        .value_kind:     by_value
      - .offset:         48
        .size:           8
        .value_kind:     by_value
      - .offset:         56
        .size:           8
        .value_kind:     by_value
      - .address_space:  global
        .offset:         64
        .size:           8
        .value_kind:     global_buffer
      - .offset:         72
        .size:           8
        .value_kind:     by_value
      - .offset:         80
        .size:           8
        .value_kind:     by_value
      - .offset:         88
        .size:           8
        .value_kind:     by_value
      - .offset:         96
        .size:           4
        .value_kind:     by_value
      - .offset:         100
        .size:           1
        .value_kind:     by_value
      - .offset:         104
        .size:           4
        .value_kind:     hidden_block_count_x
      - .offset:         108
        .size:           4
        .value_kind:     hidden_block_count_y
      - .offset:         112
        .size:           4
        .value_kind:     hidden_block_count_z
      - .offset:         116
        .size:           2
        .value_kind:     hidden_group_size_x
      - .offset:         118
        .size:           2
        .value_kind:     hidden_group_size_y
      - .offset:         120
        .size:           2
        .value_kind:     hidden_group_size_z
      - .offset:         122
        .size:           2
        .value_kind:     hidden_remainder_x
      - .offset:         124
        .size:           2
        .value_kind:     hidden_remainder_y
      - .offset:         126
        .size:           2
        .value_kind:     hidden_remainder_z
      - .offset:         144
        .size:           8
        .value_kind:     hidden_global_offset_x
      - .offset:         152
        .size:           8
        .value_kind:     hidden_global_offset_y
      - .offset:         160
        .size:           8
        .value_kind:     hidden_global_offset_z
      - .offset:         168
        .size:           2
        .value_kind:     hidden_grid_dims
      - .offset:         224
        .size:           4
        .value_kind:     hidden_dynamic_lds_size
    .group_segment_fixed_size: 0
    .kernarg_segment_align: 8
    .kernarg_segment_size: 360
    .language:       OpenCL C
    .language_version:
      - 2
      - 0
    .max_flat_workgroup_size: 1024
    .name:           _ZL39rocblas_trsm_block_forward_substitutionI19rocblas_complex_numIfES1_PKS1_PS1_Lb1ELb0ELb0EEv18rocblas_operation_llT0_T1_lllT2_lllib
    .private_segment_fixed_size: 0
    .sgpr_count:     46
    .sgpr_spill_count: 0
    .symbol:         _ZL39rocblas_trsm_block_forward_substitutionI19rocblas_complex_numIfES1_PKS1_PS1_Lb1ELb0ELb0EEv18rocblas_operation_llT0_T1_lllT2_lllib.kd
    .uniform_work_group_size: 1
    .uses_dynamic_stack: false
    .vgpr_count:     26
    .vgpr_spill_count: 0
    .wavefront_size: 32
  - .args:
      - .offset:         0
        .size:           4
        .value_kind:     by_value
      - .offset:         8
        .size:           8
        .value_kind:     by_value
      - .offset:         16
        .size:           8
        .value_kind:     by_value
      - .offset:         24
        .size:           8
        .value_kind:     by_value
      - .address_space:  global
        .offset:         32
        .size:           8
        .value_kind:     global_buffer
      - .offset:         40
        .size:           8
        .value_kind:     by_value
      - .offset:         48
        .size:           8
        .value_kind:     by_value
      - .offset:         56
        .size:           8
        .value_kind:     by_value
      - .address_space:  global
        .offset:         64
        .size:           8
        .value_kind:     global_buffer
      - .offset:         72
        .size:           8
        .value_kind:     by_value
      - .offset:         80
        .size:           8
        .value_kind:     by_value
      - .offset:         88
        .size:           8
        .value_kind:     by_value
      - .offset:         96
        .size:           4
        .value_kind:     by_value
      - .offset:         100
        .size:           1
        .value_kind:     by_value
      - .offset:         104
        .size:           4
        .value_kind:     hidden_block_count_x
      - .offset:         108
        .size:           4
        .value_kind:     hidden_block_count_y
      - .offset:         112
        .size:           4
        .value_kind:     hidden_block_count_z
      - .offset:         116
        .size:           2
        .value_kind:     hidden_group_size_x
      - .offset:         118
        .size:           2
        .value_kind:     hidden_group_size_y
      - .offset:         120
        .size:           2
        .value_kind:     hidden_group_size_z
      - .offset:         122
        .size:           2
        .value_kind:     hidden_remainder_x
      - .offset:         124
        .size:           2
        .value_kind:     hidden_remainder_y
      - .offset:         126
        .size:           2
        .value_kind:     hidden_remainder_z
      - .offset:         144
        .size:           8
        .value_kind:     hidden_global_offset_x
      - .offset:         152
        .size:           8
        .value_kind:     hidden_global_offset_y
      - .offset:         160
        .size:           8
        .value_kind:     hidden_global_offset_z
      - .offset:         168
        .size:           2
        .value_kind:     hidden_grid_dims
      - .offset:         224
        .size:           4
        .value_kind:     hidden_dynamic_lds_size
    .group_segment_fixed_size: 0
    .kernarg_segment_align: 8
    .kernarg_segment_size: 360
    .language:       OpenCL C
    .language_version:
      - 2
      - 0
    .max_flat_workgroup_size: 1024
    .name:           _ZL40rocblas_trsm_block_backward_substitutionI19rocblas_complex_numIfES1_PKS1_PS1_Lb1ELb0ELb0EEv18rocblas_operation_llT0_T1_lllT2_lllib
    .private_segment_fixed_size: 0
    .sgpr_count:     50
    .sgpr_spill_count: 0
    .symbol:         _ZL40rocblas_trsm_block_backward_substitutionI19rocblas_complex_numIfES1_PKS1_PS1_Lb1ELb0ELb0EEv18rocblas_operation_llT0_T1_lllT2_lllib.kd
    .uniform_work_group_size: 1
    .uses_dynamic_stack: false
    .vgpr_count:     31
    .vgpr_spill_count: 0
    .wavefront_size: 32
  - .args:
      - .offset:         0
        .size:           4
        .value_kind:     by_value
      - .offset:         8
        .size:           8
        .value_kind:     by_value
      - .offset:         16
        .size:           8
        .value_kind:     by_value
      - .offset:         24
        .size:           8
        .value_kind:     by_value
      - .address_space:  global
        .offset:         32
        .size:           8
        .value_kind:     global_buffer
      - .offset:         40
        .size:           8
        .value_kind:     by_value
      - .offset:         48
        .size:           8
        .value_kind:     by_value
      - .offset:         56
        .size:           8
        .value_kind:     by_value
      - .address_space:  global
        .offset:         64
        .size:           8
        .value_kind:     global_buffer
      - .offset:         72
        .size:           8
        .value_kind:     by_value
      - .offset:         80
        .size:           8
        .value_kind:     by_value
      - .offset:         88
        .size:           8
        .value_kind:     by_value
      - .offset:         96
        .size:           4
        .value_kind:     by_value
      - .offset:         100
        .size:           1
        .value_kind:     by_value
      - .offset:         104
        .size:           4
        .value_kind:     hidden_block_count_x
      - .offset:         108
        .size:           4
        .value_kind:     hidden_block_count_y
      - .offset:         112
        .size:           4
        .value_kind:     hidden_block_count_z
      - .offset:         116
        .size:           2
        .value_kind:     hidden_group_size_x
      - .offset:         118
        .size:           2
        .value_kind:     hidden_group_size_y
      - .offset:         120
        .size:           2
        .value_kind:     hidden_group_size_z
      - .offset:         122
        .size:           2
        .value_kind:     hidden_remainder_x
      - .offset:         124
        .size:           2
        .value_kind:     hidden_remainder_y
      - .offset:         126
        .size:           2
        .value_kind:     hidden_remainder_z
      - .offset:         144
        .size:           8
        .value_kind:     hidden_global_offset_x
      - .offset:         152
        .size:           8
        .value_kind:     hidden_global_offset_y
      - .offset:         160
        .size:           8
        .value_kind:     hidden_global_offset_z
      - .offset:         168
        .size:           2
        .value_kind:     hidden_grid_dims
      - .offset:         224
        .size:           4
        .value_kind:     hidden_dynamic_lds_size
    .group_segment_fixed_size: 0
    .kernarg_segment_align: 8
    .kernarg_segment_size: 360
    .language:       OpenCL C
    .language_version:
      - 2
      - 0
    .max_flat_workgroup_size: 1024
    .name:           _ZL39rocblas_trsm_block_forward_substitutionI19rocblas_complex_numIfES1_PKS1_PS1_Lb1ELb0ELb1EEv18rocblas_operation_llT0_T1_lllT2_lllib
    .private_segment_fixed_size: 0
    .sgpr_count:     42
    .sgpr_spill_count: 0
    .symbol:         _ZL39rocblas_trsm_block_forward_substitutionI19rocblas_complex_numIfES1_PKS1_PS1_Lb1ELb0ELb1EEv18rocblas_operation_llT0_T1_lllT2_lllib.kd
    .uniform_work_group_size: 1
    .uses_dynamic_stack: false
    .vgpr_count:     24
    .vgpr_spill_count: 0
    .wavefront_size: 32
  - .args:
      - .offset:         0
        .size:           4
        .value_kind:     by_value
      - .offset:         8
        .size:           8
        .value_kind:     by_value
      - .offset:         16
        .size:           8
        .value_kind:     by_value
      - .offset:         24
        .size:           8
        .value_kind:     by_value
      - .address_space:  global
        .offset:         32
        .size:           8
        .value_kind:     global_buffer
      - .offset:         40
        .size:           8
        .value_kind:     by_value
      - .offset:         48
        .size:           8
        .value_kind:     by_value
      - .offset:         56
        .size:           8
        .value_kind:     by_value
      - .address_space:  global
        .offset:         64
        .size:           8
        .value_kind:     global_buffer
      - .offset:         72
        .size:           8
        .value_kind:     by_value
      - .offset:         80
        .size:           8
        .value_kind:     by_value
      - .offset:         88
        .size:           8
        .value_kind:     by_value
      - .offset:         96
        .size:           4
        .value_kind:     by_value
      - .offset:         100
        .size:           1
        .value_kind:     by_value
      - .offset:         104
        .size:           4
        .value_kind:     hidden_block_count_x
      - .offset:         108
        .size:           4
        .value_kind:     hidden_block_count_y
      - .offset:         112
        .size:           4
        .value_kind:     hidden_block_count_z
      - .offset:         116
        .size:           2
        .value_kind:     hidden_group_size_x
      - .offset:         118
        .size:           2
        .value_kind:     hidden_group_size_y
      - .offset:         120
        .size:           2
        .value_kind:     hidden_group_size_z
      - .offset:         122
        .size:           2
        .value_kind:     hidden_remainder_x
      - .offset:         124
        .size:           2
        .value_kind:     hidden_remainder_y
      - .offset:         126
        .size:           2
        .value_kind:     hidden_remainder_z
      - .offset:         144
        .size:           8
        .value_kind:     hidden_global_offset_x
      - .offset:         152
        .size:           8
        .value_kind:     hidden_global_offset_y
      - .offset:         160
        .size:           8
        .value_kind:     hidden_global_offset_z
      - .offset:         168
        .size:           2
        .value_kind:     hidden_grid_dims
      - .offset:         224
        .size:           4
        .value_kind:     hidden_dynamic_lds_size
    .group_segment_fixed_size: 0
    .kernarg_segment_align: 8
    .kernarg_segment_size: 360
    .language:       OpenCL C
    .language_version:
      - 2
      - 0
    .max_flat_workgroup_size: 1024
    .name:           _ZL40rocblas_trsm_block_backward_substitutionI19rocblas_complex_numIfES1_PKS1_PS1_Lb1ELb0ELb1EEv18rocblas_operation_llT0_T1_lllT2_lllib
    .private_segment_fixed_size: 0
    .sgpr_count:     44
    .sgpr_spill_count: 0
    .symbol:         _ZL40rocblas_trsm_block_backward_substitutionI19rocblas_complex_numIfES1_PKS1_PS1_Lb1ELb0ELb1EEv18rocblas_operation_llT0_T1_lllT2_lllib.kd
    .uniform_work_group_size: 1
    .uses_dynamic_stack: false
    .vgpr_count:     26
    .vgpr_spill_count: 0
    .wavefront_size: 32
  - .args:
      - .address_space:  global
        .offset:         0
        .size:           8
        .value_kind:     global_buffer
      - .offset:         8
        .size:           8
        .value_kind:     by_value
      - .address_space:  global
        .offset:         16
        .size:           8
        .value_kind:     global_buffer
    .group_segment_fixed_size: 0
    .kernarg_segment_align: 8
    .kernarg_segment_size: 24
    .language:       OpenCL C
    .language_version:
      - 2
      - 0
    .max_flat_workgroup_size: 128
    .name:           _ZL26setup_batched_array_kernelILi128E19rocblas_complex_numIfEEvPT0_lPS3_
    .private_segment_fixed_size: 0
    .sgpr_count:     9
    .sgpr_spill_count: 0
    .symbol:         _ZL26setup_batched_array_kernelILi128E19rocblas_complex_numIfEEvPT0_lPS3_.kd
    .uniform_work_group_size: 1
    .uses_dynamic_stack: false
    .vgpr_count:     3
    .vgpr_spill_count: 0
    .wavefront_size: 32
  - .args:
      - .offset:         0
        .size:           4
        .value_kind:     by_value
      - .offset:         4
        .size:           4
        .value_kind:     by_value
      - .address_space:  global
        .offset:         8
        .size:           8
        .value_kind:     global_buffer
      - .offset:         16
        .size:           8
        .value_kind:     by_value
      - .offset:         24
        .size:           4
        .value_kind:     by_value
      - .offset:         32
        .size:           8
        .value_kind:     by_value
      - .address_space:  global
        .offset:         40
        .size:           8
        .value_kind:     global_buffer
      - .offset:         48
        .size:           8
        .value_kind:     by_value
      - .offset:         56
        .size:           8
        .value_kind:     by_value
      - .offset:         64
        .size:           4
        .value_kind:     by_value
    .group_segment_fixed_size: 8192
    .kernarg_segment_align: 8
    .kernarg_segment_size: 68
    .language:       OpenCL C
    .language_version:
      - 2
      - 0
    .max_flat_workgroup_size: 256
    .name:           _ZL25rocblas_trtri_trsm_kernelILi128ELi16ELi8E19rocblas_complex_numIfEPKS1_PS1_Ev13rocblas_fill_17rocblas_diagonal_T3_lilT4_lli
    .private_segment_fixed_size: 0
    .sgpr_count:     99
    .sgpr_spill_count: 0
    .symbol:         _ZL25rocblas_trtri_trsm_kernelILi128ELi16ELi8E19rocblas_complex_numIfEPKS1_PS1_Ev13rocblas_fill_17rocblas_diagonal_T3_lilT4_lli.kd
    .uniform_work_group_size: 1
    .uses_dynamic_stack: false
    .vgpr_count:     64
    .vgpr_spill_count: 0
    .wavefront_size: 32
  - .args:
      - .address_space:  global
        .offset:         0
        .size:           8
        .value_kind:     global_buffer
      - .offset:         8
        .size:           4
        .value_kind:     by_value
      - .offset:         12
        .size:           4
        .value_kind:     by_value
      - .offset:         16
        .size:           8
        .value_kind:     by_value
      - .offset:         24
        .size:           4
        .value_kind:     by_value
      - .offset:         32
        .size:           8
        .value_kind:     by_value
      - .address_space:  global
        .offset:         40
        .size:           8
        .value_kind:     global_buffer
      - .offset:         48
        .size:           8
        .value_kind:     by_value
      - .offset:         56
        .size:           8
        .value_kind:     by_value
      - .offset:         64
        .size:           4
        .value_kind:     by_value
      - .offset:         68
        .size:           4
        .value_kind:     by_value
      - .offset:         72
        .size:           4
        .value_kind:     hidden_block_count_x
      - .offset:         76
        .size:           4
        .value_kind:     hidden_block_count_y
      - .offset:         80
        .size:           4
        .value_kind:     hidden_block_count_z
      - .offset:         84
        .size:           2
        .value_kind:     hidden_group_size_x
      - .offset:         86
        .size:           2
        .value_kind:     hidden_group_size_y
      - .offset:         88
        .size:           2
        .value_kind:     hidden_group_size_z
      - .offset:         90
        .size:           2
        .value_kind:     hidden_remainder_x
      - .offset:         92
        .size:           2
        .value_kind:     hidden_remainder_y
      - .offset:         94
        .size:           2
        .value_kind:     hidden_remainder_z
      - .offset:         112
        .size:           8
        .value_kind:     hidden_global_offset_x
      - .offset:         120
        .size:           8
        .value_kind:     hidden_global_offset_y
      - .offset:         128
        .size:           8
        .value_kind:     hidden_global_offset_z
      - .offset:         136
        .size:           2
        .value_kind:     hidden_grid_dims
    .group_segment_fixed_size: 0
    .kernarg_segment_align: 8
    .kernarg_segment_size: 328
    .language:       OpenCL C
    .language_version:
      - 2
      - 0
    .max_flat_workgroup_size: 128
    .name:           _ZL18rocblas_trtri_fillILi128E19rocblas_complex_numIfEPS1_EvP15_rocblas_handle13rocblas_fill_ililT1_llii
    .private_segment_fixed_size: 0
    .sgpr_count:     51
    .sgpr_spill_count: 0
    .symbol:         _ZL18rocblas_trtri_fillILi128E19rocblas_complex_numIfEPS1_EvP15_rocblas_handle13rocblas_fill_ililT1_llii.kd
    .uniform_work_group_size: 1
    .uses_dynamic_stack: false
    .vgpr_count:     24
    .vgpr_spill_count: 0
    .wavefront_size: 32
  - .args:
      - .offset:         0
        .size:           4
        .value_kind:     by_value
      - .offset:         4
        .size:           4
        .value_kind:     by_value
      - .offset:         8
        .size:           4
        .value_kind:     by_value
      - .address_space:  global
        .offset:         16
        .size:           8
        .value_kind:     global_buffer
      - .offset:         24
        .size:           4
        .value_kind:     by_value
      - .offset:         32
        .size:           8
        .value_kind:     by_value
      - .address_space:  global
        .offset:         40
        .size:           8
        .value_kind:     global_buffer
      - .offset:         48
        .size:           4
        .value_kind:     by_value
      - .offset:         56
        .size:           8
        .value_kind:     by_value
      - .offset:         64
        .size:           8
        .value_kind:     by_value
      - .offset:         72
        .size:           8
        .value_kind:     by_value
      - .offset:         80
        .size:           4
        .value_kind:     by_value
      - .offset:         88
        .size:           4
        .value_kind:     hidden_block_count_x
      - .offset:         92
        .size:           4
        .value_kind:     hidden_block_count_y
      - .offset:         96
        .size:           4
        .value_kind:     hidden_block_count_z
      - .offset:         100
        .size:           2
        .value_kind:     hidden_group_size_x
      - .offset:         102
        .size:           2
        .value_kind:     hidden_group_size_y
      - .offset:         104
        .size:           2
        .value_kind:     hidden_group_size_z
      - .offset:         106
        .size:           2
        .value_kind:     hidden_remainder_x
      - .offset:         108
        .size:           2
        .value_kind:     hidden_remainder_y
      - .offset:         110
        .size:           2
        .value_kind:     hidden_remainder_z
      - .offset:         128
        .size:           8
        .value_kind:     hidden_global_offset_x
      - .offset:         136
        .size:           8
        .value_kind:     hidden_global_offset_y
      - .offset:         144
        .size:           8
        .value_kind:     hidden_global_offset_z
      - .offset:         152
        .size:           2
        .value_kind:     hidden_grid_dims
    .group_segment_fixed_size: 0
    .kernarg_segment_align: 8
    .kernarg_segment_size: 344
    .language:       OpenCL C
    .language_version:
      - 2
      - 0
    .max_flat_workgroup_size: 1024
    .name:           _ZL24rocblas_copy_matrix_trsmILi128ELi8E19rocblas_complex_numIfEPKS1_PS1_EviiiT2_ilT3_illli
    .private_segment_fixed_size: 0
    .sgpr_count:     28
    .sgpr_spill_count: 0
    .symbol:         _ZL24rocblas_copy_matrix_trsmILi128ELi8E19rocblas_complex_numIfEPKS1_PS1_EviiiT2_ilT3_illli.kd
    .uniform_work_group_size: 1
    .uses_dynamic_stack: false
    .vgpr_count:     14
    .vgpr_spill_count: 0
    .wavefront_size: 32
  - .args:
      - .offset:         0
        .size:           8
        .value_kind:     by_value
      - .offset:         8
        .size:           8
        .value_kind:     by_value
      - .offset:         16
        .size:           4
        .value_kind:     by_value
      - .address_space:  global
        .offset:         24
        .size:           8
        .value_kind:     global_buffer
      - .offset:         32
        .size:           8
        .value_kind:     by_value
      - .offset:         40
        .size:           8
        .value_kind:     by_value
      - .offset:         48
        .size:           16
        .value_kind:     by_value
      - .offset:         64
        .size:           8
        .value_kind:     by_value
      - .offset:         72
        .size:           4
        .value_kind:     by_value
    .group_segment_fixed_size: 0
    .kernarg_segment_align: 8
    .kernarg_segment_size: 76
    .language:       OpenCL C
    .language_version:
      - 2
      - 0
    .max_flat_workgroup_size: 1024
    .name:           _ZL23rocblas_set_matrix_trsmILi128ELi8E19rocblas_complex_numIdEPS1_EvlliT2_llT1_li
    .private_segment_fixed_size: 0
    .sgpr_count:     20
    .sgpr_spill_count: 0
    .symbol:         _ZL23rocblas_set_matrix_trsmILi128ELi8E19rocblas_complex_numIdEPS1_EvlliT2_llT1_li.kd
    .uniform_work_group_size: 1
    .uses_dynamic_stack: false
    .vgpr_count:     8
    .vgpr_spill_count: 0
    .wavefront_size: 32
  - .args:
      - .offset:         0
        .size:           4
        .value_kind:     by_value
      - .offset:         4
        .size:           4
        .value_kind:     by_value
      - .offset:         8
        .size:           4
        .value_kind:     by_value
      - .offset:         12
        .size:           4
        .value_kind:     by_value
      - .offset:         16
        .size:           4
        .value_kind:     by_value
      - .offset:         24
        .size:           16
        .value_kind:     by_value
      - .address_space:  global
        .offset:         40
        .size:           8
        .value_kind:     global_buffer
      - .offset:         48
        .size:           8
        .value_kind:     by_value
      - .offset:         56
        .size:           4
        .value_kind:     by_value
      - .offset:         64
        .size:           8
        .value_kind:     by_value
      - .address_space:  global
        .offset:         72
        .size:           8
        .value_kind:     global_buffer
      - .offset:         80
        .size:           8
        .value_kind:     by_value
      - .offset:         88
        .size:           4
        .value_kind:     by_value
      - .offset:         96
        .size:           8
        .value_kind:     by_value
      - .offset:         104
        .size:           4
        .value_kind:     by_value
      - .offset:         112
        .size:           4
        .value_kind:     hidden_block_count_x
      - .offset:         116
        .size:           4
        .value_kind:     hidden_block_count_y
      - .offset:         120
        .size:           4
        .value_kind:     hidden_block_count_z
      - .offset:         124
        .size:           2
        .value_kind:     hidden_group_size_x
      - .offset:         126
        .size:           2
        .value_kind:     hidden_group_size_y
      - .offset:         128
        .size:           2
        .value_kind:     hidden_group_size_z
      - .offset:         130
        .size:           2
        .value_kind:     hidden_remainder_x
      - .offset:         132
        .size:           2
        .value_kind:     hidden_remainder_y
      - .offset:         134
        .size:           2
        .value_kind:     hidden_remainder_z
      - .offset:         152
        .size:           8
        .value_kind:     hidden_global_offset_x
      - .offset:         160
        .size:           8
        .value_kind:     hidden_global_offset_y
      - .offset:         168
        .size:           8
        .value_kind:     hidden_global_offset_z
      - .offset:         176
        .size:           2
        .value_kind:     hidden_grid_dims
    .group_segment_fixed_size: 768
    .kernarg_segment_align: 8
    .kernarg_segment_size: 368
    .language:       OpenCL C
    .language_version:
      - 2
      - 0
    .max_flat_workgroup_size: 4
    .name:           _ZL38rocblas_trsm_small_left_device_sharedBILi4ELi4ELb0E19rocblas_complex_numIdES1_PKS1_PS1_Ev13rocblas_fill_18rocblas_operation_17rocblas_diagonal_iiT3_T4_lilT5_lili
    .private_segment_fixed_size: 0
    .sgpr_count:     44
    .sgpr_spill_count: 0
    .symbol:         _ZL38rocblas_trsm_small_left_device_sharedBILi4ELi4ELb0E19rocblas_complex_numIdES1_PKS1_PS1_Ev13rocblas_fill_18rocblas_operation_17rocblas_diagonal_iiT3_T4_lilT5_lili.kd
    .uniform_work_group_size: 1
    .uses_dynamic_stack: false
    .vgpr_count:     28
    .vgpr_spill_count: 0
    .wavefront_size: 32
  - .args:
      - .offset:         0
        .size:           4
        .value_kind:     by_value
      - .offset:         4
        .size:           4
        .value_kind:     by_value
      - .offset:         8
        .size:           4
        .value_kind:     by_value
      - .offset:         12
        .size:           4
        .value_kind:     by_value
      - .offset:         16
        .size:           4
        .value_kind:     by_value
      - .offset:         24
        .size:           16
        .value_kind:     by_value
      - .address_space:  global
        .offset:         40
        .size:           8
        .value_kind:     global_buffer
      - .offset:         48
        .size:           8
        .value_kind:     by_value
      - .offset:         56
        .size:           4
        .value_kind:     by_value
      - .offset:         64
        .size:           8
        .value_kind:     by_value
      - .address_space:  global
        .offset:         72
        .size:           8
        .value_kind:     global_buffer
      - .offset:         80
        .size:           8
        .value_kind:     by_value
      - .offset:         88
        .size:           4
        .value_kind:     by_value
      - .offset:         96
        .size:           8
        .value_kind:     by_value
      - .offset:         104
        .size:           4
        .value_kind:     by_value
      - .offset:         112
        .size:           4
        .value_kind:     hidden_block_count_x
      - .offset:         116
        .size:           4
        .value_kind:     hidden_block_count_y
      - .offset:         120
        .size:           4
        .value_kind:     hidden_block_count_z
      - .offset:         124
        .size:           2
        .value_kind:     hidden_group_size_x
      - .offset:         126
        .size:           2
        .value_kind:     hidden_group_size_y
      - .offset:         128
        .size:           2
        .value_kind:     hidden_group_size_z
      - .offset:         130
        .size:           2
        .value_kind:     hidden_remainder_x
      - .offset:         132
        .size:           2
        .value_kind:     hidden_remainder_y
      - .offset:         134
        .size:           2
        .value_kind:     hidden_remainder_z
      - .offset:         152
        .size:           8
        .value_kind:     hidden_global_offset_x
      - .offset:         160
        .size:           8
        .value_kind:     hidden_global_offset_y
      - .offset:         168
        .size:           8
        .value_kind:     hidden_global_offset_z
      - .offset:         176
        .size:           2
        .value_kind:     hidden_grid_dims
    .group_segment_fixed_size: 512
    .kernarg_segment_align: 8
    .kernarg_segment_size: 368
    .language:       OpenCL C
    .language_version:
      - 2
      - 0
    .max_flat_workgroup_size: 4
    .name:           _ZL30rocblas_trsm_small_left_deviceILi4ELi4ELb0E19rocblas_complex_numIdES1_PKS1_PS1_Ev13rocblas_fill_18rocblas_operation_17rocblas_diagonal_iiT3_T4_lilT5_lili
    .private_segment_fixed_size: 0
    .sgpr_count:     48
    .sgpr_spill_count: 0
    .symbol:         _ZL30rocblas_trsm_small_left_deviceILi4ELi4ELb0E19rocblas_complex_numIdES1_PKS1_PS1_Ev13rocblas_fill_18rocblas_operation_17rocblas_diagonal_iiT3_T4_lilT5_lili.kd
    .uniform_work_group_size: 1
    .uses_dynamic_stack: false
    .vgpr_count:     32
    .vgpr_spill_count: 0
    .wavefront_size: 32
  - .args:
      - .offset:         0
        .size:           4
        .value_kind:     by_value
      - .offset:         4
        .size:           4
        .value_kind:     by_value
      - .offset:         8
        .size:           4
        .value_kind:     by_value
      - .offset:         12
        .size:           4
        .value_kind:     by_value
      - .offset:         16
        .size:           4
        .value_kind:     by_value
      - .offset:         24
        .size:           16
        .value_kind:     by_value
      - .address_space:  global
        .offset:         40
        .size:           8
        .value_kind:     global_buffer
      - .offset:         48
        .size:           8
        .value_kind:     by_value
      - .offset:         56
        .size:           4
        .value_kind:     by_value
      - .offset:         64
        .size:           8
        .value_kind:     by_value
      - .address_space:  global
        .offset:         72
        .size:           8
        .value_kind:     global_buffer
      - .offset:         80
        .size:           8
        .value_kind:     by_value
      - .offset:         88
        .size:           4
        .value_kind:     by_value
      - .offset:         96
        .size:           8
        .value_kind:     by_value
      - .offset:         104
        .size:           4
        .value_kind:     by_value
      - .offset:         112
        .size:           4
        .value_kind:     hidden_block_count_x
      - .offset:         116
        .size:           4
        .value_kind:     hidden_block_count_y
      - .offset:         120
        .size:           4
        .value_kind:     hidden_block_count_z
      - .offset:         124
        .size:           2
        .value_kind:     hidden_group_size_x
      - .offset:         126
        .size:           2
        .value_kind:     hidden_group_size_y
      - .offset:         128
        .size:           2
        .value_kind:     hidden_group_size_z
      - .offset:         130
        .size:           2
        .value_kind:     hidden_remainder_x
      - .offset:         132
        .size:           2
        .value_kind:     hidden_remainder_y
      - .offset:         134
        .size:           2
        .value_kind:     hidden_remainder_z
      - .offset:         152
        .size:           8
        .value_kind:     hidden_global_offset_x
      - .offset:         160
        .size:           8
        .value_kind:     hidden_global_offset_y
      - .offset:         168
        .size:           8
        .value_kind:     hidden_global_offset_z
      - .offset:         176
        .size:           2
        .value_kind:     hidden_grid_dims
    .group_segment_fixed_size: 768
    .kernarg_segment_align: 8
    .kernarg_segment_size: 368
    .language:       OpenCL C
    .language_version:
      - 2
      - 0
    .max_flat_workgroup_size: 4
    .name:           _ZL38rocblas_trsm_small_left_device_sharedBILi4ELi4ELb1E19rocblas_complex_numIdES1_PKS1_PS1_Ev13rocblas_fill_18rocblas_operation_17rocblas_diagonal_iiT3_T4_lilT5_lili
    .private_segment_fixed_size: 0
    .sgpr_count:     44
    .sgpr_spill_count: 0
    .symbol:         _ZL38rocblas_trsm_small_left_device_sharedBILi4ELi4ELb1E19rocblas_complex_numIdES1_PKS1_PS1_Ev13rocblas_fill_18rocblas_operation_17rocblas_diagonal_iiT3_T4_lilT5_lili.kd
    .uniform_work_group_size: 1
    .uses_dynamic_stack: false
    .vgpr_count:     28
    .vgpr_spill_count: 0
    .wavefront_size: 32
  - .args:
      - .offset:         0
        .size:           4
        .value_kind:     by_value
      - .offset:         4
        .size:           4
        .value_kind:     by_value
      - .offset:         8
        .size:           4
        .value_kind:     by_value
      - .offset:         12
        .size:           4
        .value_kind:     by_value
      - .offset:         16
        .size:           4
        .value_kind:     by_value
      - .offset:         24
        .size:           16
        .value_kind:     by_value
      - .address_space:  global
        .offset:         40
        .size:           8
        .value_kind:     global_buffer
      - .offset:         48
        .size:           8
        .value_kind:     by_value
      - .offset:         56
        .size:           4
        .value_kind:     by_value
      - .offset:         64
        .size:           8
        .value_kind:     by_value
      - .address_space:  global
        .offset:         72
        .size:           8
        .value_kind:     global_buffer
      - .offset:         80
        .size:           8
        .value_kind:     by_value
      - .offset:         88
        .size:           4
        .value_kind:     by_value
      - .offset:         96
        .size:           8
        .value_kind:     by_value
      - .offset:         104
        .size:           4
        .value_kind:     by_value
      - .offset:         112
        .size:           4
        .value_kind:     hidden_block_count_x
      - .offset:         116
        .size:           4
        .value_kind:     hidden_block_count_y
      - .offset:         120
        .size:           4
        .value_kind:     hidden_block_count_z
      - .offset:         124
        .size:           2
        .value_kind:     hidden_group_size_x
      - .offset:         126
        .size:           2
        .value_kind:     hidden_group_size_y
      - .offset:         128
        .size:           2
        .value_kind:     hidden_group_size_z
      - .offset:         130
        .size:           2
        .value_kind:     hidden_remainder_x
      - .offset:         132
        .size:           2
        .value_kind:     hidden_remainder_y
      - .offset:         134
        .size:           2
        .value_kind:     hidden_remainder_z
      - .offset:         152
        .size:           8
        .value_kind:     hidden_global_offset_x
      - .offset:         160
        .size:           8
        .value_kind:     hidden_global_offset_y
      - .offset:         168
        .size:           8
        .value_kind:     hidden_global_offset_z
      - .offset:         176
        .size:           2
        .value_kind:     hidden_grid_dims
    .group_segment_fixed_size: 512
    .kernarg_segment_align: 8
    .kernarg_segment_size: 368
    .language:       OpenCL C
    .language_version:
      - 2
      - 0
    .max_flat_workgroup_size: 4
    .name:           _ZL30rocblas_trsm_small_left_deviceILi4ELi4ELb1E19rocblas_complex_numIdES1_PKS1_PS1_Ev13rocblas_fill_18rocblas_operation_17rocblas_diagonal_iiT3_T4_lilT5_lili
    .private_segment_fixed_size: 0
    .sgpr_count:     48
    .sgpr_spill_count: 0
    .symbol:         _ZL30rocblas_trsm_small_left_deviceILi4ELi4ELb1E19rocblas_complex_numIdES1_PKS1_PS1_Ev13rocblas_fill_18rocblas_operation_17rocblas_diagonal_iiT3_T4_lilT5_lili.kd
    .uniform_work_group_size: 1
    .uses_dynamic_stack: false
    .vgpr_count:     32
    .vgpr_spill_count: 0
    .wavefront_size: 32
  - .args:
      - .offset:         0
        .size:           4
        .value_kind:     by_value
      - .offset:         4
        .size:           4
        .value_kind:     by_value
      - .offset:         8
        .size:           4
        .value_kind:     by_value
      - .offset:         12
        .size:           4
        .value_kind:     by_value
      - .offset:         16
        .size:           4
        .value_kind:     by_value
      - .offset:         24
        .size:           16
        .value_kind:     by_value
      - .address_space:  global
        .offset:         40
        .size:           8
        .value_kind:     global_buffer
      - .offset:         48
        .size:           8
        .value_kind:     by_value
      - .offset:         56
        .size:           4
        .value_kind:     by_value
      - .offset:         64
        .size:           8
        .value_kind:     by_value
      - .address_space:  global
        .offset:         72
        .size:           8
        .value_kind:     global_buffer
      - .offset:         80
        .size:           8
        .value_kind:     by_value
      - .offset:         88
        .size:           4
        .value_kind:     by_value
      - .offset:         96
        .size:           8
        .value_kind:     by_value
      - .offset:         104
        .size:           4
        .value_kind:     by_value
      - .offset:         112
        .size:           4
        .value_kind:     hidden_block_count_x
      - .offset:         116
        .size:           4
        .value_kind:     hidden_block_count_y
      - .offset:         120
        .size:           4
        .value_kind:     hidden_block_count_z
      - .offset:         124
        .size:           2
        .value_kind:     hidden_group_size_x
      - .offset:         126
        .size:           2
        .value_kind:     hidden_group_size_y
      - .offset:         128
        .size:           2
        .value_kind:     hidden_group_size_z
      - .offset:         130
        .size:           2
        .value_kind:     hidden_remainder_x
      - .offset:         132
        .size:           2
        .value_kind:     hidden_remainder_y
      - .offset:         134
        .size:           2
        .value_kind:     hidden_remainder_z
      - .offset:         152
        .size:           8
        .value_kind:     hidden_global_offset_x
      - .offset:         160
        .size:           8
        .value_kind:     hidden_global_offset_y
      - .offset:         168
        .size:           8
        .value_kind:     hidden_global_offset_z
      - .offset:         176
        .size:           2
        .value_kind:     hidden_grid_dims
    .group_segment_fixed_size: 512
    .kernarg_segment_align: 8
    .kernarg_segment_size: 368
    .language:       OpenCL C
    .language_version:
      - 2
      - 0
    .max_flat_workgroup_size: 4
    .name:           _ZL31rocblas_trsm_small_right_deviceI19rocblas_complex_numIdES1_PKS1_PS1_Li4EEv13rocblas_fill_18rocblas_operation_17rocblas_diagonal_iiT0_T1_lilT2_lili
    .private_segment_fixed_size: 0
    .sgpr_count:     60
    .sgpr_spill_count: 0
    .symbol:         _ZL31rocblas_trsm_small_right_deviceI19rocblas_complex_numIdES1_PKS1_PS1_Li4EEv13rocblas_fill_18rocblas_operation_17rocblas_diagonal_iiT0_T1_lilT2_lili.kd
    .uniform_work_group_size: 1
    .uses_dynamic_stack: false
    .vgpr_count:     50
    .vgpr_spill_count: 0
    .wavefront_size: 32
  - .args:
      - .offset:         0
        .size:           4
        .value_kind:     by_value
      - .offset:         4
        .size:           4
        .value_kind:     by_value
      - .offset:         8
        .size:           4
        .value_kind:     by_value
      - .offset:         12
        .size:           4
        .value_kind:     by_value
      - .offset:         16
        .size:           4
        .value_kind:     by_value
      - .offset:         24
        .size:           16
        .value_kind:     by_value
      - .address_space:  global
        .offset:         40
        .size:           8
        .value_kind:     global_buffer
      - .offset:         48
        .size:           8
        .value_kind:     by_value
      - .offset:         56
        .size:           4
        .value_kind:     by_value
      - .offset:         64
        .size:           8
        .value_kind:     by_value
      - .address_space:  global
        .offset:         72
        .size:           8
        .value_kind:     global_buffer
      - .offset:         80
        .size:           8
        .value_kind:     by_value
      - .offset:         88
        .size:           4
        .value_kind:     by_value
      - .offset:         96
        .size:           8
        .value_kind:     by_value
      - .offset:         104
        .size:           4
        .value_kind:     by_value
      - .offset:         112
        .size:           4
        .value_kind:     hidden_block_count_x
      - .offset:         116
        .size:           4
        .value_kind:     hidden_block_count_y
      - .offset:         120
        .size:           4
        .value_kind:     hidden_block_count_z
      - .offset:         124
        .size:           2
        .value_kind:     hidden_group_size_x
      - .offset:         126
        .size:           2
        .value_kind:     hidden_group_size_y
      - .offset:         128
        .size:           2
        .value_kind:     hidden_group_size_z
      - .offset:         130
        .size:           2
        .value_kind:     hidden_remainder_x
      - .offset:         132
        .size:           2
        .value_kind:     hidden_remainder_y
      - .offset:         134
        .size:           2
        .value_kind:     hidden_remainder_z
      - .offset:         152
        .size:           8
        .value_kind:     hidden_global_offset_x
      - .offset:         160
        .size:           8
        .value_kind:     hidden_global_offset_y
      - .offset:         168
        .size:           8
        .value_kind:     hidden_global_offset_z
      - .offset:         176
        .size:           2
        .value_kind:     hidden_grid_dims
    .group_segment_fixed_size: 3072
    .kernarg_segment_align: 8
    .kernarg_segment_size: 368
    .language:       OpenCL C
    .language_version:
      - 2
      - 0
    .max_flat_workgroup_size: 8
    .name:           _ZL38rocblas_trsm_small_left_device_sharedBILi8ELi8ELb0E19rocblas_complex_numIdES1_PKS1_PS1_Ev13rocblas_fill_18rocblas_operation_17rocblas_diagonal_iiT3_T4_lilT5_lili
    .private_segment_fixed_size: 0
    .sgpr_count:     44
    .sgpr_spill_count: 0
    .symbol:         _ZL38rocblas_trsm_small_left_device_sharedBILi8ELi8ELb0E19rocblas_complex_numIdES1_PKS1_PS1_Ev13rocblas_fill_18rocblas_operation_17rocblas_diagonal_iiT3_T4_lilT5_lili.kd
    .uniform_work_group_size: 1
    .uses_dynamic_stack: false
    .vgpr_count:     28
    .vgpr_spill_count: 0
    .wavefront_size: 32
  - .args:
      - .offset:         0
        .size:           4
        .value_kind:     by_value
      - .offset:         4
        .size:           4
        .value_kind:     by_value
      - .offset:         8
        .size:           4
        .value_kind:     by_value
      - .offset:         12
        .size:           4
        .value_kind:     by_value
      - .offset:         16
        .size:           4
        .value_kind:     by_value
      - .offset:         24
        .size:           16
        .value_kind:     by_value
      - .address_space:  global
        .offset:         40
        .size:           8
        .value_kind:     global_buffer
      - .offset:         48
        .size:           8
        .value_kind:     by_value
      - .offset:         56
        .size:           4
        .value_kind:     by_value
      - .offset:         64
        .size:           8
        .value_kind:     by_value
      - .address_space:  global
        .offset:         72
        .size:           8
        .value_kind:     global_buffer
      - .offset:         80
        .size:           8
        .value_kind:     by_value
      - .offset:         88
        .size:           4
        .value_kind:     by_value
      - .offset:         96
        .size:           8
        .value_kind:     by_value
      - .offset:         104
        .size:           4
        .value_kind:     by_value
      - .offset:         112
        .size:           4
        .value_kind:     hidden_block_count_x
      - .offset:         116
        .size:           4
        .value_kind:     hidden_block_count_y
      - .offset:         120
        .size:           4
        .value_kind:     hidden_block_count_z
      - .offset:         124
        .size:           2
        .value_kind:     hidden_group_size_x
      - .offset:         126
        .size:           2
        .value_kind:     hidden_group_size_y
      - .offset:         128
        .size:           2
        .value_kind:     hidden_group_size_z
      - .offset:         130
        .size:           2
        .value_kind:     hidden_remainder_x
      - .offset:         132
        .size:           2
        .value_kind:     hidden_remainder_y
      - .offset:         134
        .size:           2
        .value_kind:     hidden_remainder_z
      - .offset:         152
        .size:           8
        .value_kind:     hidden_global_offset_x
      - .offset:         160
        .size:           8
        .value_kind:     hidden_global_offset_y
      - .offset:         168
        .size:           8
        .value_kind:     hidden_global_offset_z
      - .offset:         176
        .size:           2
        .value_kind:     hidden_grid_dims
    .group_segment_fixed_size: 2048
    .kernarg_segment_align: 8
    .kernarg_segment_size: 368
    .language:       OpenCL C
    .language_version:
      - 2
      - 0
    .max_flat_workgroup_size: 8
    .name:           _ZL30rocblas_trsm_small_left_deviceILi8ELi8ELb0E19rocblas_complex_numIdES1_PKS1_PS1_Ev13rocblas_fill_18rocblas_operation_17rocblas_diagonal_iiT3_T4_lilT5_lili
    .private_segment_fixed_size: 0
    .sgpr_count:     48
    .sgpr_spill_count: 0
    .symbol:         _ZL30rocblas_trsm_small_left_deviceILi8ELi8ELb0E19rocblas_complex_numIdES1_PKS1_PS1_Ev13rocblas_fill_18rocblas_operation_17rocblas_diagonal_iiT3_T4_lilT5_lili.kd
    .uniform_work_group_size: 1
    .uses_dynamic_stack: false
    .vgpr_count:     32
    .vgpr_spill_count: 0
    .wavefront_size: 32
  - .args:
      - .offset:         0
        .size:           4
        .value_kind:     by_value
      - .offset:         4
        .size:           4
        .value_kind:     by_value
      - .offset:         8
        .size:           4
        .value_kind:     by_value
      - .offset:         12
        .size:           4
        .value_kind:     by_value
      - .offset:         16
        .size:           4
        .value_kind:     by_value
      - .offset:         24
        .size:           16
        .value_kind:     by_value
      - .address_space:  global
        .offset:         40
        .size:           8
        .value_kind:     global_buffer
      - .offset:         48
        .size:           8
        .value_kind:     by_value
      - .offset:         56
        .size:           4
        .value_kind:     by_value
      - .offset:         64
        .size:           8
        .value_kind:     by_value
      - .address_space:  global
        .offset:         72
        .size:           8
        .value_kind:     global_buffer
      - .offset:         80
        .size:           8
        .value_kind:     by_value
      - .offset:         88
        .size:           4
        .value_kind:     by_value
      - .offset:         96
        .size:           8
        .value_kind:     by_value
      - .offset:         104
        .size:           4
        .value_kind:     by_value
      - .offset:         112
        .size:           4
        .value_kind:     hidden_block_count_x
      - .offset:         116
        .size:           4
        .value_kind:     hidden_block_count_y
      - .offset:         120
        .size:           4
        .value_kind:     hidden_block_count_z
      - .offset:         124
        .size:           2
        .value_kind:     hidden_group_size_x
      - .offset:         126
        .size:           2
        .value_kind:     hidden_group_size_y
      - .offset:         128
        .size:           2
        .value_kind:     hidden_group_size_z
      - .offset:         130
        .size:           2
        .value_kind:     hidden_remainder_x
      - .offset:         132
        .size:           2
        .value_kind:     hidden_remainder_y
      - .offset:         134
        .size:           2
        .value_kind:     hidden_remainder_z
      - .offset:         152
        .size:           8
        .value_kind:     hidden_global_offset_x
      - .offset:         160
        .size:           8
        .value_kind:     hidden_global_offset_y
      - .offset:         168
        .size:           8
        .value_kind:     hidden_global_offset_z
      - .offset:         176
        .size:           2
        .value_kind:     hidden_grid_dims
    .group_segment_fixed_size: 3072
    .kernarg_segment_align: 8
    .kernarg_segment_size: 368
    .language:       OpenCL C
    .language_version:
      - 2
      - 0
    .max_flat_workgroup_size: 8
    .name:           _ZL38rocblas_trsm_small_left_device_sharedBILi8ELi8ELb1E19rocblas_complex_numIdES1_PKS1_PS1_Ev13rocblas_fill_18rocblas_operation_17rocblas_diagonal_iiT3_T4_lilT5_lili
    .private_segment_fixed_size: 0
    .sgpr_count:     44
    .sgpr_spill_count: 0
    .symbol:         _ZL38rocblas_trsm_small_left_device_sharedBILi8ELi8ELb1E19rocblas_complex_numIdES1_PKS1_PS1_Ev13rocblas_fill_18rocblas_operation_17rocblas_diagonal_iiT3_T4_lilT5_lili.kd
    .uniform_work_group_size: 1
    .uses_dynamic_stack: false
    .vgpr_count:     28
    .vgpr_spill_count: 0
    .wavefront_size: 32
  - .args:
      - .offset:         0
        .size:           4
        .value_kind:     by_value
      - .offset:         4
        .size:           4
        .value_kind:     by_value
      - .offset:         8
        .size:           4
        .value_kind:     by_value
      - .offset:         12
        .size:           4
        .value_kind:     by_value
      - .offset:         16
        .size:           4
        .value_kind:     by_value
      - .offset:         24
        .size:           16
        .value_kind:     by_value
      - .address_space:  global
        .offset:         40
        .size:           8
        .value_kind:     global_buffer
      - .offset:         48
        .size:           8
        .value_kind:     by_value
      - .offset:         56
        .size:           4
        .value_kind:     by_value
      - .offset:         64
        .size:           8
        .value_kind:     by_value
      - .address_space:  global
        .offset:         72
        .size:           8
        .value_kind:     global_buffer
      - .offset:         80
        .size:           8
        .value_kind:     by_value
      - .offset:         88
        .size:           4
        .value_kind:     by_value
      - .offset:         96
        .size:           8
        .value_kind:     by_value
      - .offset:         104
        .size:           4
        .value_kind:     by_value
      - .offset:         112
        .size:           4
        .value_kind:     hidden_block_count_x
      - .offset:         116
        .size:           4
        .value_kind:     hidden_block_count_y
      - .offset:         120
        .size:           4
        .value_kind:     hidden_block_count_z
      - .offset:         124
        .size:           2
        .value_kind:     hidden_group_size_x
      - .offset:         126
        .size:           2
        .value_kind:     hidden_group_size_y
      - .offset:         128
        .size:           2
        .value_kind:     hidden_group_size_z
      - .offset:         130
        .size:           2
        .value_kind:     hidden_remainder_x
      - .offset:         132
        .size:           2
        .value_kind:     hidden_remainder_y
      - .offset:         134
        .size:           2
        .value_kind:     hidden_remainder_z
      - .offset:         152
        .size:           8
        .value_kind:     hidden_global_offset_x
      - .offset:         160
        .size:           8
        .value_kind:     hidden_global_offset_y
      - .offset:         168
        .size:           8
        .value_kind:     hidden_global_offset_z
      - .offset:         176
        .size:           2
        .value_kind:     hidden_grid_dims
    .group_segment_fixed_size: 2048
    .kernarg_segment_align: 8
    .kernarg_segment_size: 368
    .language:       OpenCL C
    .language_version:
      - 2
      - 0
    .max_flat_workgroup_size: 8
    .name:           _ZL30rocblas_trsm_small_left_deviceILi8ELi8ELb1E19rocblas_complex_numIdES1_PKS1_PS1_Ev13rocblas_fill_18rocblas_operation_17rocblas_diagonal_iiT3_T4_lilT5_lili
    .private_segment_fixed_size: 0
    .sgpr_count:     48
    .sgpr_spill_count: 0
    .symbol:         _ZL30rocblas_trsm_small_left_deviceILi8ELi8ELb1E19rocblas_complex_numIdES1_PKS1_PS1_Ev13rocblas_fill_18rocblas_operation_17rocblas_diagonal_iiT3_T4_lilT5_lili.kd
    .uniform_work_group_size: 1
    .uses_dynamic_stack: false
    .vgpr_count:     32
    .vgpr_spill_count: 0
    .wavefront_size: 32
  - .args:
      - .offset:         0
        .size:           4
        .value_kind:     by_value
      - .offset:         4
        .size:           4
        .value_kind:     by_value
      - .offset:         8
        .size:           4
        .value_kind:     by_value
      - .offset:         12
        .size:           4
        .value_kind:     by_value
      - .offset:         16
        .size:           4
        .value_kind:     by_value
      - .offset:         24
        .size:           16
        .value_kind:     by_value
      - .address_space:  global
        .offset:         40
        .size:           8
        .value_kind:     global_buffer
      - .offset:         48
        .size:           8
        .value_kind:     by_value
      - .offset:         56
        .size:           4
        .value_kind:     by_value
      - .offset:         64
        .size:           8
        .value_kind:     by_value
      - .address_space:  global
        .offset:         72
        .size:           8
        .value_kind:     global_buffer
      - .offset:         80
        .size:           8
        .value_kind:     by_value
      - .offset:         88
        .size:           4
        .value_kind:     by_value
      - .offset:         96
        .size:           8
        .value_kind:     by_value
      - .offset:         104
        .size:           4
        .value_kind:     by_value
      - .offset:         112
        .size:           4
        .value_kind:     hidden_block_count_x
      - .offset:         116
        .size:           4
        .value_kind:     hidden_block_count_y
      - .offset:         120
        .size:           4
        .value_kind:     hidden_block_count_z
      - .offset:         124
        .size:           2
        .value_kind:     hidden_group_size_x
      - .offset:         126
        .size:           2
        .value_kind:     hidden_group_size_y
      - .offset:         128
        .size:           2
        .value_kind:     hidden_group_size_z
      - .offset:         130
        .size:           2
        .value_kind:     hidden_remainder_x
      - .offset:         132
        .size:           2
        .value_kind:     hidden_remainder_y
      - .offset:         134
        .size:           2
        .value_kind:     hidden_remainder_z
      - .offset:         152
        .size:           8
        .value_kind:     hidden_global_offset_x
      - .offset:         160
        .size:           8
        .value_kind:     hidden_global_offset_y
      - .offset:         168
        .size:           8
        .value_kind:     hidden_global_offset_z
      - .offset:         176
        .size:           2
        .value_kind:     hidden_grid_dims
    .group_segment_fixed_size: 2048
    .kernarg_segment_align: 8
    .kernarg_segment_size: 368
    .language:       OpenCL C
    .language_version:
      - 2
      - 0
    .max_flat_workgroup_size: 8
    .name:           _ZL31rocblas_trsm_small_right_deviceI19rocblas_complex_numIdES1_PKS1_PS1_Li8EEv13rocblas_fill_18rocblas_operation_17rocblas_diagonal_iiT0_T1_lilT2_lili
    .private_segment_fixed_size: 0
    .sgpr_count:     44
    .sgpr_spill_count: 0
    .symbol:         _ZL31rocblas_trsm_small_right_deviceI19rocblas_complex_numIdES1_PKS1_PS1_Li8EEv13rocblas_fill_18rocblas_operation_17rocblas_diagonal_iiT0_T1_lilT2_lili.kd
    .uniform_work_group_size: 1
    .uses_dynamic_stack: false
    .vgpr_count:     58
    .vgpr_spill_count: 0
    .wavefront_size: 32
  - .args:
      - .offset:         0
        .size:           4
        .value_kind:     by_value
      - .offset:         4
        .size:           4
        .value_kind:     by_value
      - .offset:         8
        .size:           4
        .value_kind:     by_value
      - .offset:         12
        .size:           4
        .value_kind:     by_value
      - .offset:         16
        .size:           4
        .value_kind:     by_value
      - .offset:         24
        .size:           16
        .value_kind:     by_value
      - .address_space:  global
        .offset:         40
        .size:           8
        .value_kind:     global_buffer
      - .offset:         48
        .size:           8
        .value_kind:     by_value
      - .offset:         56
        .size:           4
        .value_kind:     by_value
      - .offset:         64
        .size:           8
        .value_kind:     by_value
      - .address_space:  global
        .offset:         72
        .size:           8
        .value_kind:     global_buffer
      - .offset:         80
        .size:           8
        .value_kind:     by_value
      - .offset:         88
        .size:           4
        .value_kind:     by_value
      - .offset:         96
        .size:           8
        .value_kind:     by_value
      - .offset:         104
        .size:           4
        .value_kind:     by_value
      - .offset:         112
        .size:           4
        .value_kind:     hidden_block_count_x
      - .offset:         116
        .size:           4
        .value_kind:     hidden_block_count_y
      - .offset:         120
        .size:           4
        .value_kind:     hidden_block_count_z
      - .offset:         124
        .size:           2
        .value_kind:     hidden_group_size_x
      - .offset:         126
        .size:           2
        .value_kind:     hidden_group_size_y
      - .offset:         128
        .size:           2
        .value_kind:     hidden_group_size_z
      - .offset:         130
        .size:           2
        .value_kind:     hidden_remainder_x
      - .offset:         132
        .size:           2
        .value_kind:     hidden_remainder_y
      - .offset:         134
        .size:           2
        .value_kind:     hidden_remainder_z
      - .offset:         152
        .size:           8
        .value_kind:     hidden_global_offset_x
      - .offset:         160
        .size:           8
        .value_kind:     hidden_global_offset_y
      - .offset:         168
        .size:           8
        .value_kind:     hidden_global_offset_z
      - .offset:         176
        .size:           2
        .value_kind:     hidden_grid_dims
    .group_segment_fixed_size: 4608
    .kernarg_segment_align: 8
    .kernarg_segment_size: 368
    .language:       OpenCL C
    .language_version:
      - 2
      - 0
    .max_flat_workgroup_size: 12
    .name:           _ZL38rocblas_trsm_small_left_device_sharedBILi12ELi12ELb0E19rocblas_complex_numIdES1_PKS1_PS1_Ev13rocblas_fill_18rocblas_operation_17rocblas_diagonal_iiT3_T4_lilT5_lili
    .private_segment_fixed_size: 208
    .sgpr_count:     47
    .sgpr_spill_count: 0
    .symbol:         _ZL38rocblas_trsm_small_left_device_sharedBILi12ELi12ELb0E19rocblas_complex_numIdES1_PKS1_PS1_Ev13rocblas_fill_18rocblas_operation_17rocblas_diagonal_iiT3_T4_lilT5_lili.kd
    .uniform_work_group_size: 1
    .uses_dynamic_stack: false
    .vgpr_count:     26
    .vgpr_spill_count: 0
    .wavefront_size: 32
  - .args:
      - .offset:         0
        .size:           4
        .value_kind:     by_value
      - .offset:         4
        .size:           4
        .value_kind:     by_value
      - .offset:         8
        .size:           4
        .value_kind:     by_value
      - .offset:         12
        .size:           4
        .value_kind:     by_value
      - .offset:         16
        .size:           4
        .value_kind:     by_value
      - .offset:         24
        .size:           16
        .value_kind:     by_value
      - .address_space:  global
        .offset:         40
        .size:           8
        .value_kind:     global_buffer
      - .offset:         48
        .size:           8
        .value_kind:     by_value
      - .offset:         56
        .size:           4
        .value_kind:     by_value
      - .offset:         64
        .size:           8
        .value_kind:     by_value
      - .address_space:  global
        .offset:         72
        .size:           8
        .value_kind:     global_buffer
      - .offset:         80
        .size:           8
        .value_kind:     by_value
      - .offset:         88
        .size:           4
        .value_kind:     by_value
      - .offset:         96
        .size:           8
        .value_kind:     by_value
      - .offset:         104
        .size:           4
        .value_kind:     by_value
      - .offset:         112
        .size:           4
        .value_kind:     hidden_block_count_x
      - .offset:         116
        .size:           4
        .value_kind:     hidden_block_count_y
      - .offset:         120
        .size:           4
        .value_kind:     hidden_block_count_z
      - .offset:         124
        .size:           2
        .value_kind:     hidden_group_size_x
      - .offset:         126
        .size:           2
        .value_kind:     hidden_group_size_y
      - .offset:         128
        .size:           2
        .value_kind:     hidden_group_size_z
      - .offset:         130
        .size:           2
        .value_kind:     hidden_remainder_x
      - .offset:         132
        .size:           2
        .value_kind:     hidden_remainder_y
      - .offset:         134
        .size:           2
        .value_kind:     hidden_remainder_z
      - .offset:         152
        .size:           8
        .value_kind:     hidden_global_offset_x
      - .offset:         160
        .size:           8
        .value_kind:     hidden_global_offset_y
      - .offset:         168
        .size:           8
        .value_kind:     hidden_global_offset_z
      - .offset:         176
        .size:           2
        .value_kind:     hidden_grid_dims
    .group_segment_fixed_size: 4608
    .kernarg_segment_align: 8
    .kernarg_segment_size: 368
    .language:       OpenCL C
    .language_version:
      - 2
      - 0
    .max_flat_workgroup_size: 12
    .name:           _ZL30rocblas_trsm_small_left_deviceILi12ELi12ELb0E19rocblas_complex_numIdES1_PKS1_PS1_Ev13rocblas_fill_18rocblas_operation_17rocblas_diagonal_iiT3_T4_lilT5_lili
    .private_segment_fixed_size: 0
    .sgpr_count:     48
    .sgpr_spill_count: 0
    .symbol:         _ZL30rocblas_trsm_small_left_deviceILi12ELi12ELb0E19rocblas_complex_numIdES1_PKS1_PS1_Ev13rocblas_fill_18rocblas_operation_17rocblas_diagonal_iiT3_T4_lilT5_lili.kd
    .uniform_work_group_size: 1
    .uses_dynamic_stack: false
    .vgpr_count:     32
    .vgpr_spill_count: 0
    .wavefront_size: 32
  - .args:
      - .offset:         0
        .size:           4
        .value_kind:     by_value
      - .offset:         4
        .size:           4
        .value_kind:     by_value
      - .offset:         8
        .size:           4
        .value_kind:     by_value
      - .offset:         12
        .size:           4
        .value_kind:     by_value
      - .offset:         16
        .size:           4
        .value_kind:     by_value
      - .offset:         24
        .size:           16
        .value_kind:     by_value
      - .address_space:  global
        .offset:         40
        .size:           8
        .value_kind:     global_buffer
      - .offset:         48
        .size:           8
        .value_kind:     by_value
      - .offset:         56
        .size:           4
        .value_kind:     by_value
      - .offset:         64
        .size:           8
        .value_kind:     by_value
      - .address_space:  global
        .offset:         72
        .size:           8
        .value_kind:     global_buffer
      - .offset:         80
        .size:           8
        .value_kind:     by_value
      - .offset:         88
        .size:           4
        .value_kind:     by_value
      - .offset:         96
        .size:           8
        .value_kind:     by_value
      - .offset:         104
        .size:           4
        .value_kind:     by_value
      - .offset:         112
        .size:           4
        .value_kind:     hidden_block_count_x
      - .offset:         116
        .size:           4
        .value_kind:     hidden_block_count_y
      - .offset:         120
        .size:           4
        .value_kind:     hidden_block_count_z
      - .offset:         124
        .size:           2
        .value_kind:     hidden_group_size_x
      - .offset:         126
        .size:           2
        .value_kind:     hidden_group_size_y
      - .offset:         128
        .size:           2
        .value_kind:     hidden_group_size_z
      - .offset:         130
        .size:           2
        .value_kind:     hidden_remainder_x
      - .offset:         132
        .size:           2
        .value_kind:     hidden_remainder_y
      - .offset:         134
        .size:           2
        .value_kind:     hidden_remainder_z
      - .offset:         152
        .size:           8
        .value_kind:     hidden_global_offset_x
      - .offset:         160
        .size:           8
        .value_kind:     hidden_global_offset_y
      - .offset:         168
        .size:           8
        .value_kind:     hidden_global_offset_z
      - .offset:         176
        .size:           2
        .value_kind:     hidden_grid_dims
    .group_segment_fixed_size: 4608
    .kernarg_segment_align: 8
    .kernarg_segment_size: 368
    .language:       OpenCL C
    .language_version:
      - 2
      - 0
    .max_flat_workgroup_size: 12
    .name:           _ZL38rocblas_trsm_small_left_device_sharedBILi12ELi12ELb1E19rocblas_complex_numIdES1_PKS1_PS1_Ev13rocblas_fill_18rocblas_operation_17rocblas_diagonal_iiT3_T4_lilT5_lili
    .private_segment_fixed_size: 208
    .sgpr_count:     47
    .sgpr_spill_count: 0
    .symbol:         _ZL38rocblas_trsm_small_left_device_sharedBILi12ELi12ELb1E19rocblas_complex_numIdES1_PKS1_PS1_Ev13rocblas_fill_18rocblas_operation_17rocblas_diagonal_iiT3_T4_lilT5_lili.kd
    .uniform_work_group_size: 1
    .uses_dynamic_stack: false
    .vgpr_count:     26
    .vgpr_spill_count: 0
    .wavefront_size: 32
  - .args:
      - .offset:         0
        .size:           4
        .value_kind:     by_value
      - .offset:         4
        .size:           4
        .value_kind:     by_value
      - .offset:         8
        .size:           4
        .value_kind:     by_value
      - .offset:         12
        .size:           4
        .value_kind:     by_value
      - .offset:         16
        .size:           4
        .value_kind:     by_value
      - .offset:         24
        .size:           16
        .value_kind:     by_value
      - .address_space:  global
        .offset:         40
        .size:           8
        .value_kind:     global_buffer
      - .offset:         48
        .size:           8
        .value_kind:     by_value
      - .offset:         56
        .size:           4
        .value_kind:     by_value
      - .offset:         64
        .size:           8
        .value_kind:     by_value
      - .address_space:  global
        .offset:         72
        .size:           8
        .value_kind:     global_buffer
      - .offset:         80
        .size:           8
        .value_kind:     by_value
      - .offset:         88
        .size:           4
        .value_kind:     by_value
      - .offset:         96
        .size:           8
        .value_kind:     by_value
      - .offset:         104
        .size:           4
        .value_kind:     by_value
      - .offset:         112
        .size:           4
        .value_kind:     hidden_block_count_x
      - .offset:         116
        .size:           4
        .value_kind:     hidden_block_count_y
      - .offset:         120
        .size:           4
        .value_kind:     hidden_block_count_z
      - .offset:         124
        .size:           2
        .value_kind:     hidden_group_size_x
      - .offset:         126
        .size:           2
        .value_kind:     hidden_group_size_y
      - .offset:         128
        .size:           2
        .value_kind:     hidden_group_size_z
      - .offset:         130
        .size:           2
        .value_kind:     hidden_remainder_x
      - .offset:         132
        .size:           2
        .value_kind:     hidden_remainder_y
      - .offset:         134
        .size:           2
        .value_kind:     hidden_remainder_z
      - .offset:         152
        .size:           8
        .value_kind:     hidden_global_offset_x
      - .offset:         160
        .size:           8
        .value_kind:     hidden_global_offset_y
      - .offset:         168
        .size:           8
        .value_kind:     hidden_global_offset_z
      - .offset:         176
        .size:           2
        .value_kind:     hidden_grid_dims
    .group_segment_fixed_size: 4608
    .kernarg_segment_align: 8
    .kernarg_segment_size: 368
    .language:       OpenCL C
    .language_version:
      - 2
      - 0
    .max_flat_workgroup_size: 12
    .name:           _ZL30rocblas_trsm_small_left_deviceILi12ELi12ELb1E19rocblas_complex_numIdES1_PKS1_PS1_Ev13rocblas_fill_18rocblas_operation_17rocblas_diagonal_iiT3_T4_lilT5_lili
    .private_segment_fixed_size: 0
    .sgpr_count:     48
    .sgpr_spill_count: 0
    .symbol:         _ZL30rocblas_trsm_small_left_deviceILi12ELi12ELb1E19rocblas_complex_numIdES1_PKS1_PS1_Ev13rocblas_fill_18rocblas_operation_17rocblas_diagonal_iiT3_T4_lilT5_lili.kd
    .uniform_work_group_size: 1
    .uses_dynamic_stack: false
    .vgpr_count:     32
    .vgpr_spill_count: 0
    .wavefront_size: 32
  - .args:
      - .offset:         0
        .size:           4
        .value_kind:     by_value
      - .offset:         4
        .size:           4
        .value_kind:     by_value
      - .offset:         8
        .size:           4
        .value_kind:     by_value
      - .offset:         12
        .size:           4
        .value_kind:     by_value
      - .offset:         16
        .size:           4
        .value_kind:     by_value
      - .offset:         24
        .size:           16
        .value_kind:     by_value
      - .address_space:  global
        .offset:         40
        .size:           8
        .value_kind:     global_buffer
      - .offset:         48
        .size:           8
        .value_kind:     by_value
      - .offset:         56
        .size:           4
        .value_kind:     by_value
      - .offset:         64
        .size:           8
        .value_kind:     by_value
      - .address_space:  global
        .offset:         72
        .size:           8
        .value_kind:     global_buffer
      - .offset:         80
        .size:           8
        .value_kind:     by_value
      - .offset:         88
        .size:           4
        .value_kind:     by_value
      - .offset:         96
        .size:           8
        .value_kind:     by_value
      - .offset:         104
        .size:           4
        .value_kind:     by_value
      - .offset:         112
        .size:           4
        .value_kind:     hidden_block_count_x
      - .offset:         116
        .size:           4
        .value_kind:     hidden_block_count_y
      - .offset:         120
        .size:           4
        .value_kind:     hidden_block_count_z
      - .offset:         124
        .size:           2
        .value_kind:     hidden_group_size_x
      - .offset:         126
        .size:           2
        .value_kind:     hidden_group_size_y
      - .offset:         128
        .size:           2
        .value_kind:     hidden_group_size_z
      - .offset:         130
        .size:           2
        .value_kind:     hidden_remainder_x
      - .offset:         132
        .size:           2
        .value_kind:     hidden_remainder_y
      - .offset:         134
        .size:           2
        .value_kind:     hidden_remainder_z
      - .offset:         152
        .size:           8
        .value_kind:     hidden_global_offset_x
      - .offset:         160
        .size:           8
        .value_kind:     hidden_global_offset_y
      - .offset:         168
        .size:           8
        .value_kind:     hidden_global_offset_z
      - .offset:         176
        .size:           2
        .value_kind:     hidden_grid_dims
    .group_segment_fixed_size: 4608
    .kernarg_segment_align: 8
    .kernarg_segment_size: 368
    .language:       OpenCL C
    .language_version:
      - 2
      - 0
    .max_flat_workgroup_size: 12
    .name:           _ZL31rocblas_trsm_small_right_deviceI19rocblas_complex_numIdES1_PKS1_PS1_Li12EEv13rocblas_fill_18rocblas_operation_17rocblas_diagonal_iiT0_T1_lilT2_lili
    .private_segment_fixed_size: 0
    .sgpr_count:     42
    .sgpr_spill_count: 0
    .symbol:         _ZL31rocblas_trsm_small_right_deviceI19rocblas_complex_numIdES1_PKS1_PS1_Li12EEv13rocblas_fill_18rocblas_operation_17rocblas_diagonal_iiT0_T1_lilT2_lili.kd
    .uniform_work_group_size: 1
    .uses_dynamic_stack: false
    .vgpr_count:     62
    .vgpr_spill_count: 0
    .wavefront_size: 32
  - .args:
      - .offset:         0
        .size:           4
        .value_kind:     by_value
      - .offset:         4
        .size:           4
        .value_kind:     by_value
      - .offset:         8
        .size:           4
        .value_kind:     by_value
      - .offset:         12
        .size:           4
        .value_kind:     by_value
      - .offset:         16
        .size:           4
        .value_kind:     by_value
      - .offset:         24
        .size:           16
        .value_kind:     by_value
      - .address_space:  global
        .offset:         40
        .size:           8
        .value_kind:     global_buffer
      - .offset:         48
        .size:           8
        .value_kind:     by_value
      - .offset:         56
        .size:           4
        .value_kind:     by_value
      - .offset:         64
        .size:           8
        .value_kind:     by_value
      - .address_space:  global
        .offset:         72
        .size:           8
        .value_kind:     global_buffer
      - .offset:         80
        .size:           8
        .value_kind:     by_value
      - .offset:         88
        .size:           4
        .value_kind:     by_value
      - .offset:         96
        .size:           8
        .value_kind:     by_value
      - .offset:         104
        .size:           4
        .value_kind:     by_value
      - .offset:         112
        .size:           4
        .value_kind:     hidden_block_count_x
      - .offset:         116
        .size:           4
        .value_kind:     hidden_block_count_y
      - .offset:         120
        .size:           4
        .value_kind:     hidden_block_count_z
      - .offset:         124
        .size:           2
        .value_kind:     hidden_group_size_x
      - .offset:         126
        .size:           2
        .value_kind:     hidden_group_size_y
      - .offset:         128
        .size:           2
        .value_kind:     hidden_group_size_z
      - .offset:         130
        .size:           2
        .value_kind:     hidden_remainder_x
      - .offset:         132
        .size:           2
        .value_kind:     hidden_remainder_y
      - .offset:         134
        .size:           2
        .value_kind:     hidden_remainder_z
      - .offset:         152
        .size:           8
        .value_kind:     hidden_global_offset_x
      - .offset:         160
        .size:           8
        .value_kind:     hidden_global_offset_y
      - .offset:         168
        .size:           8
        .value_kind:     hidden_global_offset_z
      - .offset:         176
        .size:           2
        .value_kind:     hidden_grid_dims
    .group_segment_fixed_size: 8192
    .kernarg_segment_align: 8
    .kernarg_segment_size: 368
    .language:       OpenCL C
    .language_version:
      - 2
      - 0
    .max_flat_workgroup_size: 16
    .name:           _ZL38rocblas_trsm_small_left_device_sharedBILi16ELi16ELb0E19rocblas_complex_numIdES1_PKS1_PS1_Ev13rocblas_fill_18rocblas_operation_17rocblas_diagonal_iiT3_T4_lilT5_lili
    .private_segment_fixed_size: 272
    .sgpr_count:     47
    .sgpr_spill_count: 0
    .symbol:         _ZL38rocblas_trsm_small_left_device_sharedBILi16ELi16ELb0E19rocblas_complex_numIdES1_PKS1_PS1_Ev13rocblas_fill_18rocblas_operation_17rocblas_diagonal_iiT3_T4_lilT5_lili.kd
    .uniform_work_group_size: 1
    .uses_dynamic_stack: false
    .vgpr_count:     26
    .vgpr_spill_count: 0
    .wavefront_size: 32
  - .args:
      - .offset:         0
        .size:           4
        .value_kind:     by_value
      - .offset:         4
        .size:           4
        .value_kind:     by_value
      - .offset:         8
        .size:           4
        .value_kind:     by_value
      - .offset:         12
        .size:           4
        .value_kind:     by_value
      - .offset:         16
        .size:           4
        .value_kind:     by_value
      - .offset:         24
        .size:           16
        .value_kind:     by_value
      - .address_space:  global
        .offset:         40
        .size:           8
        .value_kind:     global_buffer
      - .offset:         48
        .size:           8
        .value_kind:     by_value
      - .offset:         56
        .size:           4
        .value_kind:     by_value
      - .offset:         64
        .size:           8
        .value_kind:     by_value
      - .address_space:  global
        .offset:         72
        .size:           8
        .value_kind:     global_buffer
      - .offset:         80
        .size:           8
        .value_kind:     by_value
      - .offset:         88
        .size:           4
        .value_kind:     by_value
      - .offset:         96
        .size:           8
        .value_kind:     by_value
      - .offset:         104
        .size:           4
        .value_kind:     by_value
      - .offset:         112
        .size:           4
        .value_kind:     hidden_block_count_x
      - .offset:         116
        .size:           4
        .value_kind:     hidden_block_count_y
      - .offset:         120
        .size:           4
        .value_kind:     hidden_block_count_z
      - .offset:         124
        .size:           2
        .value_kind:     hidden_group_size_x
      - .offset:         126
        .size:           2
        .value_kind:     hidden_group_size_y
      - .offset:         128
        .size:           2
        .value_kind:     hidden_group_size_z
      - .offset:         130
        .size:           2
        .value_kind:     hidden_remainder_x
      - .offset:         132
        .size:           2
        .value_kind:     hidden_remainder_y
      - .offset:         134
        .size:           2
        .value_kind:     hidden_remainder_z
      - .offset:         152
        .size:           8
        .value_kind:     hidden_global_offset_x
      - .offset:         160
        .size:           8
        .value_kind:     hidden_global_offset_y
      - .offset:         168
        .size:           8
        .value_kind:     hidden_global_offset_z
      - .offset:         176
        .size:           2
        .value_kind:     hidden_grid_dims
    .group_segment_fixed_size: 4096
    .kernarg_segment_align: 8
    .kernarg_segment_size: 368
    .language:       OpenCL C
    .language_version:
      - 2
      - 0
    .max_flat_workgroup_size: 16
    .name:           _ZL30rocblas_trsm_small_left_deviceILi16ELi16ELb0E19rocblas_complex_numIdES1_PKS1_PS1_Ev13rocblas_fill_18rocblas_operation_17rocblas_diagonal_iiT3_T4_lilT5_lili
    .private_segment_fixed_size: 272
    .sgpr_count:     53
    .sgpr_spill_count: 0
    .symbol:         _ZL30rocblas_trsm_small_left_deviceILi16ELi16ELb0E19rocblas_complex_numIdES1_PKS1_PS1_Ev13rocblas_fill_18rocblas_operation_17rocblas_diagonal_iiT3_T4_lilT5_lili.kd
    .uniform_work_group_size: 1
    .uses_dynamic_stack: false
    .vgpr_count:     28
    .vgpr_spill_count: 0
    .wavefront_size: 32
  - .args:
      - .offset:         0
        .size:           4
        .value_kind:     by_value
      - .offset:         4
        .size:           4
        .value_kind:     by_value
      - .offset:         8
        .size:           4
        .value_kind:     by_value
      - .offset:         12
        .size:           4
        .value_kind:     by_value
      - .offset:         16
        .size:           4
        .value_kind:     by_value
      - .offset:         24
        .size:           16
        .value_kind:     by_value
      - .address_space:  global
        .offset:         40
        .size:           8
        .value_kind:     global_buffer
      - .offset:         48
        .size:           8
        .value_kind:     by_value
      - .offset:         56
        .size:           4
        .value_kind:     by_value
      - .offset:         64
        .size:           8
        .value_kind:     by_value
      - .address_space:  global
        .offset:         72
        .size:           8
        .value_kind:     global_buffer
      - .offset:         80
        .size:           8
        .value_kind:     by_value
      - .offset:         88
        .size:           4
        .value_kind:     by_value
      - .offset:         96
        .size:           8
        .value_kind:     by_value
      - .offset:         104
        .size:           4
        .value_kind:     by_value
      - .offset:         112
        .size:           4
        .value_kind:     hidden_block_count_x
      - .offset:         116
        .size:           4
        .value_kind:     hidden_block_count_y
      - .offset:         120
        .size:           4
        .value_kind:     hidden_block_count_z
      - .offset:         124
        .size:           2
        .value_kind:     hidden_group_size_x
      - .offset:         126
        .size:           2
        .value_kind:     hidden_group_size_y
      - .offset:         128
        .size:           2
        .value_kind:     hidden_group_size_z
      - .offset:         130
        .size:           2
        .value_kind:     hidden_remainder_x
      - .offset:         132
        .size:           2
        .value_kind:     hidden_remainder_y
      - .offset:         134
        .size:           2
        .value_kind:     hidden_remainder_z
      - .offset:         152
        .size:           8
        .value_kind:     hidden_global_offset_x
      - .offset:         160
        .size:           8
        .value_kind:     hidden_global_offset_y
      - .offset:         168
        .size:           8
        .value_kind:     hidden_global_offset_z
      - .offset:         176
        .size:           2
        .value_kind:     hidden_grid_dims
    .group_segment_fixed_size: 8192
    .kernarg_segment_align: 8
    .kernarg_segment_size: 368
    .language:       OpenCL C
    .language_version:
      - 2
      - 0
    .max_flat_workgroup_size: 16
    .name:           _ZL38rocblas_trsm_small_left_device_sharedBILi16ELi16ELb1E19rocblas_complex_numIdES1_PKS1_PS1_Ev13rocblas_fill_18rocblas_operation_17rocblas_diagonal_iiT3_T4_lilT5_lili
    .private_segment_fixed_size: 272
    .sgpr_count:     47
    .sgpr_spill_count: 0
    .symbol:         _ZL38rocblas_trsm_small_left_device_sharedBILi16ELi16ELb1E19rocblas_complex_numIdES1_PKS1_PS1_Ev13rocblas_fill_18rocblas_operation_17rocblas_diagonal_iiT3_T4_lilT5_lili.kd
    .uniform_work_group_size: 1
    .uses_dynamic_stack: false
    .vgpr_count:     26
    .vgpr_spill_count: 0
    .wavefront_size: 32
  - .args:
      - .offset:         0
        .size:           4
        .value_kind:     by_value
      - .offset:         4
        .size:           4
        .value_kind:     by_value
      - .offset:         8
        .size:           4
        .value_kind:     by_value
      - .offset:         12
        .size:           4
        .value_kind:     by_value
      - .offset:         16
        .size:           4
        .value_kind:     by_value
      - .offset:         24
        .size:           16
        .value_kind:     by_value
      - .address_space:  global
        .offset:         40
        .size:           8
        .value_kind:     global_buffer
      - .offset:         48
        .size:           8
        .value_kind:     by_value
      - .offset:         56
        .size:           4
        .value_kind:     by_value
      - .offset:         64
        .size:           8
        .value_kind:     by_value
      - .address_space:  global
        .offset:         72
        .size:           8
        .value_kind:     global_buffer
      - .offset:         80
        .size:           8
        .value_kind:     by_value
      - .offset:         88
        .size:           4
        .value_kind:     by_value
      - .offset:         96
        .size:           8
        .value_kind:     by_value
      - .offset:         104
        .size:           4
        .value_kind:     by_value
      - .offset:         112
        .size:           4
        .value_kind:     hidden_block_count_x
      - .offset:         116
        .size:           4
        .value_kind:     hidden_block_count_y
      - .offset:         120
        .size:           4
        .value_kind:     hidden_block_count_z
      - .offset:         124
        .size:           2
        .value_kind:     hidden_group_size_x
      - .offset:         126
        .size:           2
        .value_kind:     hidden_group_size_y
      - .offset:         128
        .size:           2
        .value_kind:     hidden_group_size_z
      - .offset:         130
        .size:           2
        .value_kind:     hidden_remainder_x
      - .offset:         132
        .size:           2
        .value_kind:     hidden_remainder_y
      - .offset:         134
        .size:           2
        .value_kind:     hidden_remainder_z
      - .offset:         152
        .size:           8
        .value_kind:     hidden_global_offset_x
      - .offset:         160
        .size:           8
        .value_kind:     hidden_global_offset_y
      - .offset:         168
        .size:           8
        .value_kind:     hidden_global_offset_z
      - .offset:         176
        .size:           2
        .value_kind:     hidden_grid_dims
    .group_segment_fixed_size: 4096
    .kernarg_segment_align: 8
    .kernarg_segment_size: 368
    .language:       OpenCL C
    .language_version:
      - 2
      - 0
    .max_flat_workgroup_size: 16
    .name:           _ZL30rocblas_trsm_small_left_deviceILi16ELi16ELb1E19rocblas_complex_numIdES1_PKS1_PS1_Ev13rocblas_fill_18rocblas_operation_17rocblas_diagonal_iiT3_T4_lilT5_lili
    .private_segment_fixed_size: 272
    .sgpr_count:     51
    .sgpr_spill_count: 0
    .symbol:         _ZL30rocblas_trsm_small_left_deviceILi16ELi16ELb1E19rocblas_complex_numIdES1_PKS1_PS1_Ev13rocblas_fill_18rocblas_operation_17rocblas_diagonal_iiT3_T4_lilT5_lili.kd
    .uniform_work_group_size: 1
    .uses_dynamic_stack: false
    .vgpr_count:     28
    .vgpr_spill_count: 0
    .wavefront_size: 32
  - .args:
      - .offset:         0
        .size:           4
        .value_kind:     by_value
      - .offset:         4
        .size:           4
        .value_kind:     by_value
      - .offset:         8
        .size:           4
        .value_kind:     by_value
      - .offset:         12
        .size:           4
        .value_kind:     by_value
      - .offset:         16
        .size:           4
        .value_kind:     by_value
      - .offset:         24
        .size:           16
        .value_kind:     by_value
      - .address_space:  global
        .offset:         40
        .size:           8
        .value_kind:     global_buffer
      - .offset:         48
        .size:           8
        .value_kind:     by_value
      - .offset:         56
        .size:           4
        .value_kind:     by_value
      - .offset:         64
        .size:           8
        .value_kind:     by_value
      - .address_space:  global
        .offset:         72
        .size:           8
        .value_kind:     global_buffer
      - .offset:         80
        .size:           8
        .value_kind:     by_value
      - .offset:         88
        .size:           4
        .value_kind:     by_value
      - .offset:         96
        .size:           8
        .value_kind:     by_value
      - .offset:         104
        .size:           4
        .value_kind:     by_value
      - .offset:         112
        .size:           4
        .value_kind:     hidden_block_count_x
      - .offset:         116
        .size:           4
        .value_kind:     hidden_block_count_y
      - .offset:         120
        .size:           4
        .value_kind:     hidden_block_count_z
      - .offset:         124
        .size:           2
        .value_kind:     hidden_group_size_x
      - .offset:         126
        .size:           2
        .value_kind:     hidden_group_size_y
      - .offset:         128
        .size:           2
        .value_kind:     hidden_group_size_z
      - .offset:         130
        .size:           2
        .value_kind:     hidden_remainder_x
      - .offset:         132
        .size:           2
        .value_kind:     hidden_remainder_y
      - .offset:         134
        .size:           2
        .value_kind:     hidden_remainder_z
      - .offset:         152
        .size:           8
        .value_kind:     hidden_global_offset_x
      - .offset:         160
        .size:           8
        .value_kind:     hidden_global_offset_y
      - .offset:         168
        .size:           8
        .value_kind:     hidden_global_offset_z
      - .offset:         176
        .size:           2
        .value_kind:     hidden_grid_dims
    .group_segment_fixed_size: 8192
    .kernarg_segment_align: 8
    .kernarg_segment_size: 368
    .language:       OpenCL C
    .language_version:
      - 2
      - 0
    .max_flat_workgroup_size: 16
    .name:           _ZL31rocblas_trsm_small_right_deviceI19rocblas_complex_numIdES1_PKS1_PS1_Li16EEv13rocblas_fill_18rocblas_operation_17rocblas_diagonal_iiT0_T1_lilT2_lili
    .private_segment_fixed_size: 0
    .sgpr_count:     44
    .sgpr_spill_count: 0
    .symbol:         _ZL31rocblas_trsm_small_right_deviceI19rocblas_complex_numIdES1_PKS1_PS1_Li16EEv13rocblas_fill_18rocblas_operation_17rocblas_diagonal_iiT0_T1_lilT2_lili.kd
    .uniform_work_group_size: 1
    .uses_dynamic_stack: false
    .vgpr_count:     64
    .vgpr_spill_count: 0
    .wavefront_size: 32
  - .args:
      - .offset:         0
        .size:           4
        .value_kind:     by_value
      - .offset:         4
        .size:           4
        .value_kind:     by_value
      - .offset:         8
        .size:           4
        .value_kind:     by_value
      - .offset:         12
        .size:           4
        .value_kind:     by_value
      - .offset:         16
        .size:           4
        .value_kind:     by_value
      - .offset:         24
        .size:           16
        .value_kind:     by_value
      - .address_space:  global
        .offset:         40
        .size:           8
        .value_kind:     global_buffer
      - .offset:         48
        .size:           8
        .value_kind:     by_value
      - .offset:         56
        .size:           4
        .value_kind:     by_value
      - .offset:         64
        .size:           8
        .value_kind:     by_value
      - .address_space:  global
        .offset:         72
        .size:           8
        .value_kind:     global_buffer
      - .offset:         80
        .size:           8
        .value_kind:     by_value
      - .offset:         88
        .size:           4
        .value_kind:     by_value
      - .offset:         96
        .size:           8
        .value_kind:     by_value
      - .offset:         104
        .size:           4
        .value_kind:     by_value
      - .offset:         112
        .size:           4
        .value_kind:     hidden_block_count_x
      - .offset:         116
        .size:           4
        .value_kind:     hidden_block_count_y
      - .offset:         120
        .size:           4
        .value_kind:     hidden_block_count_z
      - .offset:         124
        .size:           2
        .value_kind:     hidden_group_size_x
      - .offset:         126
        .size:           2
        .value_kind:     hidden_group_size_y
      - .offset:         128
        .size:           2
        .value_kind:     hidden_group_size_z
      - .offset:         130
        .size:           2
        .value_kind:     hidden_remainder_x
      - .offset:         132
        .size:           2
        .value_kind:     hidden_remainder_y
      - .offset:         134
        .size:           2
        .value_kind:     hidden_remainder_z
      - .offset:         152
        .size:           8
        .value_kind:     hidden_global_offset_x
      - .offset:         160
        .size:           8
        .value_kind:     hidden_global_offset_y
      - .offset:         168
        .size:           8
        .value_kind:     hidden_global_offset_z
      - .offset:         176
        .size:           2
        .value_kind:     hidden_grid_dims
    .group_segment_fixed_size: 12800
    .kernarg_segment_align: 8
    .kernarg_segment_size: 368
    .language:       OpenCL C
    .language_version:
      - 2
      - 0
    .max_flat_workgroup_size: 20
    .name:           _ZL38rocblas_trsm_small_left_device_sharedBILi20ELi20ELb0E19rocblas_complex_numIdES1_PKS1_PS1_Ev13rocblas_fill_18rocblas_operation_17rocblas_diagonal_iiT3_T4_lilT5_lili
    .private_segment_fixed_size: 336
    .sgpr_count:     47
    .sgpr_spill_count: 0
    .symbol:         _ZL38rocblas_trsm_small_left_device_sharedBILi20ELi20ELb0E19rocblas_complex_numIdES1_PKS1_PS1_Ev13rocblas_fill_18rocblas_operation_17rocblas_diagonal_iiT3_T4_lilT5_lili.kd
    .uniform_work_group_size: 1
    .uses_dynamic_stack: false
    .vgpr_count:     26
    .vgpr_spill_count: 0
    .wavefront_size: 32
  - .args:
      - .offset:         0
        .size:           4
        .value_kind:     by_value
      - .offset:         4
        .size:           4
        .value_kind:     by_value
      - .offset:         8
        .size:           4
        .value_kind:     by_value
      - .offset:         12
        .size:           4
        .value_kind:     by_value
      - .offset:         16
        .size:           4
        .value_kind:     by_value
      - .offset:         24
        .size:           16
        .value_kind:     by_value
      - .address_space:  global
        .offset:         40
        .size:           8
        .value_kind:     global_buffer
      - .offset:         48
        .size:           8
        .value_kind:     by_value
      - .offset:         56
        .size:           4
        .value_kind:     by_value
      - .offset:         64
        .size:           8
        .value_kind:     by_value
      - .address_space:  global
        .offset:         72
        .size:           8
        .value_kind:     global_buffer
      - .offset:         80
        .size:           8
        .value_kind:     by_value
      - .offset:         88
        .size:           4
        .value_kind:     by_value
      - .offset:         96
        .size:           8
        .value_kind:     by_value
      - .offset:         104
        .size:           4
        .value_kind:     by_value
      - .offset:         112
        .size:           4
        .value_kind:     hidden_block_count_x
      - .offset:         116
        .size:           4
        .value_kind:     hidden_block_count_y
      - .offset:         120
        .size:           4
        .value_kind:     hidden_block_count_z
      - .offset:         124
        .size:           2
        .value_kind:     hidden_group_size_x
      - .offset:         126
        .size:           2
        .value_kind:     hidden_group_size_y
      - .offset:         128
        .size:           2
        .value_kind:     hidden_group_size_z
      - .offset:         130
        .size:           2
        .value_kind:     hidden_remainder_x
      - .offset:         132
        .size:           2
        .value_kind:     hidden_remainder_y
      - .offset:         134
        .size:           2
        .value_kind:     hidden_remainder_z
      - .offset:         152
        .size:           8
        .value_kind:     hidden_global_offset_x
      - .offset:         160
        .size:           8
        .value_kind:     hidden_global_offset_y
      - .offset:         168
        .size:           8
        .value_kind:     hidden_global_offset_z
      - .offset:         176
        .size:           2
        .value_kind:     hidden_grid_dims
    .group_segment_fixed_size: 6400
    .kernarg_segment_align: 8
    .kernarg_segment_size: 368
    .language:       OpenCL C
    .language_version:
      - 2
      - 0
    .max_flat_workgroup_size: 20
    .name:           _ZL30rocblas_trsm_small_left_deviceILi20ELi20ELb0E19rocblas_complex_numIdES1_PKS1_PS1_Ev13rocblas_fill_18rocblas_operation_17rocblas_diagonal_iiT3_T4_lilT5_lili
    .private_segment_fixed_size: 336
    .sgpr_count:     53
    .sgpr_spill_count: 0
    .symbol:         _ZL30rocblas_trsm_small_left_deviceILi20ELi20ELb0E19rocblas_complex_numIdES1_PKS1_PS1_Ev13rocblas_fill_18rocblas_operation_17rocblas_diagonal_iiT3_T4_lilT5_lili.kd
    .uniform_work_group_size: 1
    .uses_dynamic_stack: false
    .vgpr_count:     28
    .vgpr_spill_count: 0
    .wavefront_size: 32
  - .args:
      - .offset:         0
        .size:           4
        .value_kind:     by_value
      - .offset:         4
        .size:           4
        .value_kind:     by_value
      - .offset:         8
        .size:           4
        .value_kind:     by_value
      - .offset:         12
        .size:           4
        .value_kind:     by_value
      - .offset:         16
        .size:           4
        .value_kind:     by_value
      - .offset:         24
        .size:           16
        .value_kind:     by_value
      - .address_space:  global
        .offset:         40
        .size:           8
        .value_kind:     global_buffer
      - .offset:         48
        .size:           8
        .value_kind:     by_value
      - .offset:         56
        .size:           4
        .value_kind:     by_value
      - .offset:         64
        .size:           8
        .value_kind:     by_value
      - .address_space:  global
        .offset:         72
        .size:           8
        .value_kind:     global_buffer
      - .offset:         80
        .size:           8
        .value_kind:     by_value
      - .offset:         88
        .size:           4
        .value_kind:     by_value
      - .offset:         96
        .size:           8
        .value_kind:     by_value
      - .offset:         104
        .size:           4
        .value_kind:     by_value
      - .offset:         112
        .size:           4
        .value_kind:     hidden_block_count_x
      - .offset:         116
        .size:           4
        .value_kind:     hidden_block_count_y
      - .offset:         120
        .size:           4
        .value_kind:     hidden_block_count_z
      - .offset:         124
        .size:           2
        .value_kind:     hidden_group_size_x
      - .offset:         126
        .size:           2
        .value_kind:     hidden_group_size_y
      - .offset:         128
        .size:           2
        .value_kind:     hidden_group_size_z
      - .offset:         130
        .size:           2
        .value_kind:     hidden_remainder_x
      - .offset:         132
        .size:           2
        .value_kind:     hidden_remainder_y
      - .offset:         134
        .size:           2
        .value_kind:     hidden_remainder_z
      - .offset:         152
        .size:           8
        .value_kind:     hidden_global_offset_x
      - .offset:         160
        .size:           8
        .value_kind:     hidden_global_offset_y
      - .offset:         168
        .size:           8
        .value_kind:     hidden_global_offset_z
      - .offset:         176
        .size:           2
        .value_kind:     hidden_grid_dims
    .group_segment_fixed_size: 12800
    .kernarg_segment_align: 8
    .kernarg_segment_size: 368
    .language:       OpenCL C
    .language_version:
      - 2
      - 0
    .max_flat_workgroup_size: 20
    .name:           _ZL38rocblas_trsm_small_left_device_sharedBILi20ELi20ELb1E19rocblas_complex_numIdES1_PKS1_PS1_Ev13rocblas_fill_18rocblas_operation_17rocblas_diagonal_iiT3_T4_lilT5_lili
    .private_segment_fixed_size: 336
    .sgpr_count:     47
    .sgpr_spill_count: 0
    .symbol:         _ZL38rocblas_trsm_small_left_device_sharedBILi20ELi20ELb1E19rocblas_complex_numIdES1_PKS1_PS1_Ev13rocblas_fill_18rocblas_operation_17rocblas_diagonal_iiT3_T4_lilT5_lili.kd
    .uniform_work_group_size: 1
    .uses_dynamic_stack: false
    .vgpr_count:     26
    .vgpr_spill_count: 0
    .wavefront_size: 32
  - .args:
      - .offset:         0
        .size:           4
        .value_kind:     by_value
      - .offset:         4
        .size:           4
        .value_kind:     by_value
      - .offset:         8
        .size:           4
        .value_kind:     by_value
      - .offset:         12
        .size:           4
        .value_kind:     by_value
      - .offset:         16
        .size:           4
        .value_kind:     by_value
      - .offset:         24
        .size:           16
        .value_kind:     by_value
      - .address_space:  global
        .offset:         40
        .size:           8
        .value_kind:     global_buffer
      - .offset:         48
        .size:           8
        .value_kind:     by_value
      - .offset:         56
        .size:           4
        .value_kind:     by_value
      - .offset:         64
        .size:           8
        .value_kind:     by_value
      - .address_space:  global
        .offset:         72
        .size:           8
        .value_kind:     global_buffer
      - .offset:         80
        .size:           8
        .value_kind:     by_value
      - .offset:         88
        .size:           4
        .value_kind:     by_value
      - .offset:         96
        .size:           8
        .value_kind:     by_value
      - .offset:         104
        .size:           4
        .value_kind:     by_value
      - .offset:         112
        .size:           4
        .value_kind:     hidden_block_count_x
      - .offset:         116
        .size:           4
        .value_kind:     hidden_block_count_y
      - .offset:         120
        .size:           4
        .value_kind:     hidden_block_count_z
      - .offset:         124
        .size:           2
        .value_kind:     hidden_group_size_x
      - .offset:         126
        .size:           2
        .value_kind:     hidden_group_size_y
      - .offset:         128
        .size:           2
        .value_kind:     hidden_group_size_z
      - .offset:         130
        .size:           2
        .value_kind:     hidden_remainder_x
      - .offset:         132
        .size:           2
        .value_kind:     hidden_remainder_y
      - .offset:         134
        .size:           2
        .value_kind:     hidden_remainder_z
      - .offset:         152
        .size:           8
        .value_kind:     hidden_global_offset_x
      - .offset:         160
        .size:           8
        .value_kind:     hidden_global_offset_y
      - .offset:         168
        .size:           8
        .value_kind:     hidden_global_offset_z
      - .offset:         176
        .size:           2
        .value_kind:     hidden_grid_dims
    .group_segment_fixed_size: 6400
    .kernarg_segment_align: 8
    .kernarg_segment_size: 368
    .language:       OpenCL C
    .language_version:
      - 2
      - 0
    .max_flat_workgroup_size: 20
    .name:           _ZL30rocblas_trsm_small_left_deviceILi20ELi20ELb1E19rocblas_complex_numIdES1_PKS1_PS1_Ev13rocblas_fill_18rocblas_operation_17rocblas_diagonal_iiT3_T4_lilT5_lili
    .private_segment_fixed_size: 336
    .sgpr_count:     51
    .sgpr_spill_count: 0
    .symbol:         _ZL30rocblas_trsm_small_left_deviceILi20ELi20ELb1E19rocblas_complex_numIdES1_PKS1_PS1_Ev13rocblas_fill_18rocblas_operation_17rocblas_diagonal_iiT3_T4_lilT5_lili.kd
    .uniform_work_group_size: 1
    .uses_dynamic_stack: false
    .vgpr_count:     28
    .vgpr_spill_count: 0
    .wavefront_size: 32
  - .args:
      - .offset:         0
        .size:           4
        .value_kind:     by_value
      - .offset:         4
        .size:           4
        .value_kind:     by_value
      - .offset:         8
        .size:           4
        .value_kind:     by_value
      - .offset:         12
        .size:           4
        .value_kind:     by_value
      - .offset:         16
        .size:           4
        .value_kind:     by_value
      - .offset:         24
        .size:           16
        .value_kind:     by_value
      - .address_space:  global
        .offset:         40
        .size:           8
        .value_kind:     global_buffer
      - .offset:         48
        .size:           8
        .value_kind:     by_value
      - .offset:         56
        .size:           4
        .value_kind:     by_value
      - .offset:         64
        .size:           8
        .value_kind:     by_value
      - .address_space:  global
        .offset:         72
        .size:           8
        .value_kind:     global_buffer
      - .offset:         80
        .size:           8
        .value_kind:     by_value
      - .offset:         88
        .size:           4
        .value_kind:     by_value
      - .offset:         96
        .size:           8
        .value_kind:     by_value
      - .offset:         104
        .size:           4
        .value_kind:     by_value
      - .offset:         112
        .size:           4
        .value_kind:     hidden_block_count_x
      - .offset:         116
        .size:           4
        .value_kind:     hidden_block_count_y
      - .offset:         120
        .size:           4
        .value_kind:     hidden_block_count_z
      - .offset:         124
        .size:           2
        .value_kind:     hidden_group_size_x
      - .offset:         126
        .size:           2
        .value_kind:     hidden_group_size_y
      - .offset:         128
        .size:           2
        .value_kind:     hidden_group_size_z
      - .offset:         130
        .size:           2
        .value_kind:     hidden_remainder_x
      - .offset:         132
        .size:           2
        .value_kind:     hidden_remainder_y
      - .offset:         134
        .size:           2
        .value_kind:     hidden_remainder_z
      - .offset:         152
        .size:           8
        .value_kind:     hidden_global_offset_x
      - .offset:         160
        .size:           8
        .value_kind:     hidden_global_offset_y
      - .offset:         168
        .size:           8
        .value_kind:     hidden_global_offset_z
      - .offset:         176
        .size:           2
        .value_kind:     hidden_grid_dims
    .group_segment_fixed_size: 12800
    .kernarg_segment_align: 8
    .kernarg_segment_size: 368
    .language:       OpenCL C
    .language_version:
      - 2
      - 0
    .max_flat_workgroup_size: 20
    .name:           _ZL31rocblas_trsm_small_right_deviceI19rocblas_complex_numIdES1_PKS1_PS1_Li20EEv13rocblas_fill_18rocblas_operation_17rocblas_diagonal_iiT0_T1_lilT2_lili
    .private_segment_fixed_size: 0
    .sgpr_count:     42
    .sgpr_spill_count: 0
    .symbol:         _ZL31rocblas_trsm_small_right_deviceI19rocblas_complex_numIdES1_PKS1_PS1_Li20EEv13rocblas_fill_18rocblas_operation_17rocblas_diagonal_iiT0_T1_lilT2_lili.kd
    .uniform_work_group_size: 1
    .uses_dynamic_stack: false
    .vgpr_count:     64
    .vgpr_spill_count: 0
    .wavefront_size: 32
  - .args:
      - .offset:         0
        .size:           4
        .value_kind:     by_value
      - .offset:         4
        .size:           4
        .value_kind:     by_value
      - .offset:         8
        .size:           4
        .value_kind:     by_value
      - .offset:         12
        .size:           4
        .value_kind:     by_value
      - .offset:         16
        .size:           4
        .value_kind:     by_value
      - .offset:         24
        .size:           16
        .value_kind:     by_value
      - .address_space:  global
        .offset:         40
        .size:           8
        .value_kind:     global_buffer
      - .offset:         48
        .size:           8
        .value_kind:     by_value
      - .offset:         56
        .size:           4
        .value_kind:     by_value
      - .offset:         64
        .size:           8
        .value_kind:     by_value
      - .address_space:  global
        .offset:         72
        .size:           8
        .value_kind:     global_buffer
      - .offset:         80
        .size:           8
        .value_kind:     by_value
      - .offset:         88
        .size:           4
        .value_kind:     by_value
      - .offset:         96
        .size:           8
        .value_kind:     by_value
      - .offset:         104
        .size:           4
        .value_kind:     by_value
      - .offset:         112
        .size:           4
        .value_kind:     hidden_block_count_x
      - .offset:         116
        .size:           4
        .value_kind:     hidden_block_count_y
      - .offset:         120
        .size:           4
        .value_kind:     hidden_block_count_z
      - .offset:         124
        .size:           2
        .value_kind:     hidden_group_size_x
      - .offset:         126
        .size:           2
        .value_kind:     hidden_group_size_y
      - .offset:         128
        .size:           2
        .value_kind:     hidden_group_size_z
      - .offset:         130
        .size:           2
        .value_kind:     hidden_remainder_x
      - .offset:         132
        .size:           2
        .value_kind:     hidden_remainder_y
      - .offset:         134
        .size:           2
        .value_kind:     hidden_remainder_z
      - .offset:         152
        .size:           8
        .value_kind:     hidden_global_offset_x
      - .offset:         160
        .size:           8
        .value_kind:     hidden_global_offset_y
      - .offset:         168
        .size:           8
        .value_kind:     hidden_global_offset_z
      - .offset:         176
        .size:           2
        .value_kind:     hidden_grid_dims
    .group_segment_fixed_size: 18432
    .kernarg_segment_align: 8
    .kernarg_segment_size: 368
    .language:       OpenCL C
    .language_version:
      - 2
      - 0
    .max_flat_workgroup_size: 24
    .name:           _ZL38rocblas_trsm_small_left_device_sharedBILi24ELi24ELb0E19rocblas_complex_numIdES1_PKS1_PS1_Ev13rocblas_fill_18rocblas_operation_17rocblas_diagonal_iiT3_T4_lilT5_lili
    .private_segment_fixed_size: 400
    .sgpr_count:     47
    .sgpr_spill_count: 0
    .symbol:         _ZL38rocblas_trsm_small_left_device_sharedBILi24ELi24ELb0E19rocblas_complex_numIdES1_PKS1_PS1_Ev13rocblas_fill_18rocblas_operation_17rocblas_diagonal_iiT3_T4_lilT5_lili.kd
    .uniform_work_group_size: 1
    .uses_dynamic_stack: false
    .vgpr_count:     26
    .vgpr_spill_count: 0
    .wavefront_size: 32
  - .args:
      - .offset:         0
        .size:           4
        .value_kind:     by_value
      - .offset:         4
        .size:           4
        .value_kind:     by_value
      - .offset:         8
        .size:           4
        .value_kind:     by_value
      - .offset:         12
        .size:           4
        .value_kind:     by_value
      - .offset:         16
        .size:           4
        .value_kind:     by_value
      - .offset:         24
        .size:           16
        .value_kind:     by_value
      - .address_space:  global
        .offset:         40
        .size:           8
        .value_kind:     global_buffer
      - .offset:         48
        .size:           8
        .value_kind:     by_value
      - .offset:         56
        .size:           4
        .value_kind:     by_value
      - .offset:         64
        .size:           8
        .value_kind:     by_value
      - .address_space:  global
        .offset:         72
        .size:           8
        .value_kind:     global_buffer
      - .offset:         80
        .size:           8
        .value_kind:     by_value
      - .offset:         88
        .size:           4
        .value_kind:     by_value
      - .offset:         96
        .size:           8
        .value_kind:     by_value
      - .offset:         104
        .size:           4
        .value_kind:     by_value
      - .offset:         112
        .size:           4
        .value_kind:     hidden_block_count_x
      - .offset:         116
        .size:           4
        .value_kind:     hidden_block_count_y
      - .offset:         120
        .size:           4
        .value_kind:     hidden_block_count_z
      - .offset:         124
        .size:           2
        .value_kind:     hidden_group_size_x
      - .offset:         126
        .size:           2
        .value_kind:     hidden_group_size_y
      - .offset:         128
        .size:           2
        .value_kind:     hidden_group_size_z
      - .offset:         130
        .size:           2
        .value_kind:     hidden_remainder_x
      - .offset:         132
        .size:           2
        .value_kind:     hidden_remainder_y
      - .offset:         134
        .size:           2
        .value_kind:     hidden_remainder_z
      - .offset:         152
        .size:           8
        .value_kind:     hidden_global_offset_x
      - .offset:         160
        .size:           8
        .value_kind:     hidden_global_offset_y
      - .offset:         168
        .size:           8
        .value_kind:     hidden_global_offset_z
      - .offset:         176
        .size:           2
        .value_kind:     hidden_grid_dims
    .group_segment_fixed_size: 9216
    .kernarg_segment_align: 8
    .kernarg_segment_size: 368
    .language:       OpenCL C
    .language_version:
      - 2
      - 0
    .max_flat_workgroup_size: 24
    .name:           _ZL30rocblas_trsm_small_left_deviceILi24ELi24ELb0E19rocblas_complex_numIdES1_PKS1_PS1_Ev13rocblas_fill_18rocblas_operation_17rocblas_diagonal_iiT3_T4_lilT5_lili
    .private_segment_fixed_size: 400
    .sgpr_count:     53
    .sgpr_spill_count: 0
    .symbol:         _ZL30rocblas_trsm_small_left_deviceILi24ELi24ELb0E19rocblas_complex_numIdES1_PKS1_PS1_Ev13rocblas_fill_18rocblas_operation_17rocblas_diagonal_iiT3_T4_lilT5_lili.kd
    .uniform_work_group_size: 1
    .uses_dynamic_stack: false
    .vgpr_count:     28
    .vgpr_spill_count: 0
    .wavefront_size: 32
  - .args:
      - .offset:         0
        .size:           4
        .value_kind:     by_value
      - .offset:         4
        .size:           4
        .value_kind:     by_value
      - .offset:         8
        .size:           4
        .value_kind:     by_value
      - .offset:         12
        .size:           4
        .value_kind:     by_value
      - .offset:         16
        .size:           4
        .value_kind:     by_value
      - .offset:         24
        .size:           16
        .value_kind:     by_value
      - .address_space:  global
        .offset:         40
        .size:           8
        .value_kind:     global_buffer
      - .offset:         48
        .size:           8
        .value_kind:     by_value
      - .offset:         56
        .size:           4
        .value_kind:     by_value
      - .offset:         64
        .size:           8
        .value_kind:     by_value
      - .address_space:  global
        .offset:         72
        .size:           8
        .value_kind:     global_buffer
      - .offset:         80
        .size:           8
        .value_kind:     by_value
      - .offset:         88
        .size:           4
        .value_kind:     by_value
      - .offset:         96
        .size:           8
        .value_kind:     by_value
      - .offset:         104
        .size:           4
        .value_kind:     by_value
      - .offset:         112
        .size:           4
        .value_kind:     hidden_block_count_x
      - .offset:         116
        .size:           4
        .value_kind:     hidden_block_count_y
      - .offset:         120
        .size:           4
        .value_kind:     hidden_block_count_z
      - .offset:         124
        .size:           2
        .value_kind:     hidden_group_size_x
      - .offset:         126
        .size:           2
        .value_kind:     hidden_group_size_y
      - .offset:         128
        .size:           2
        .value_kind:     hidden_group_size_z
      - .offset:         130
        .size:           2
        .value_kind:     hidden_remainder_x
      - .offset:         132
        .size:           2
        .value_kind:     hidden_remainder_y
      - .offset:         134
        .size:           2
        .value_kind:     hidden_remainder_z
      - .offset:         152
        .size:           8
        .value_kind:     hidden_global_offset_x
      - .offset:         160
        .size:           8
        .value_kind:     hidden_global_offset_y
      - .offset:         168
        .size:           8
        .value_kind:     hidden_global_offset_z
      - .offset:         176
        .size:           2
        .value_kind:     hidden_grid_dims
    .group_segment_fixed_size: 18432
    .kernarg_segment_align: 8
    .kernarg_segment_size: 368
    .language:       OpenCL C
    .language_version:
      - 2
      - 0
    .max_flat_workgroup_size: 24
    .name:           _ZL38rocblas_trsm_small_left_device_sharedBILi24ELi24ELb1E19rocblas_complex_numIdES1_PKS1_PS1_Ev13rocblas_fill_18rocblas_operation_17rocblas_diagonal_iiT3_T4_lilT5_lili
    .private_segment_fixed_size: 400
    .sgpr_count:     47
    .sgpr_spill_count: 0
    .symbol:         _ZL38rocblas_trsm_small_left_device_sharedBILi24ELi24ELb1E19rocblas_complex_numIdES1_PKS1_PS1_Ev13rocblas_fill_18rocblas_operation_17rocblas_diagonal_iiT3_T4_lilT5_lili.kd
    .uniform_work_group_size: 1
    .uses_dynamic_stack: false
    .vgpr_count:     26
    .vgpr_spill_count: 0
    .wavefront_size: 32
  - .args:
      - .offset:         0
        .size:           4
        .value_kind:     by_value
      - .offset:         4
        .size:           4
        .value_kind:     by_value
      - .offset:         8
        .size:           4
        .value_kind:     by_value
      - .offset:         12
        .size:           4
        .value_kind:     by_value
      - .offset:         16
        .size:           4
        .value_kind:     by_value
      - .offset:         24
        .size:           16
        .value_kind:     by_value
      - .address_space:  global
        .offset:         40
        .size:           8
        .value_kind:     global_buffer
      - .offset:         48
        .size:           8
        .value_kind:     by_value
      - .offset:         56
        .size:           4
        .value_kind:     by_value
      - .offset:         64
        .size:           8
        .value_kind:     by_value
      - .address_space:  global
        .offset:         72
        .size:           8
        .value_kind:     global_buffer
      - .offset:         80
        .size:           8
        .value_kind:     by_value
      - .offset:         88
        .size:           4
        .value_kind:     by_value
      - .offset:         96
        .size:           8
        .value_kind:     by_value
      - .offset:         104
        .size:           4
        .value_kind:     by_value
      - .offset:         112
        .size:           4
        .value_kind:     hidden_block_count_x
      - .offset:         116
        .size:           4
        .value_kind:     hidden_block_count_y
      - .offset:         120
        .size:           4
        .value_kind:     hidden_block_count_z
      - .offset:         124
        .size:           2
        .value_kind:     hidden_group_size_x
      - .offset:         126
        .size:           2
        .value_kind:     hidden_group_size_y
      - .offset:         128
        .size:           2
        .value_kind:     hidden_group_size_z
      - .offset:         130
        .size:           2
        .value_kind:     hidden_remainder_x
      - .offset:         132
        .size:           2
        .value_kind:     hidden_remainder_y
      - .offset:         134
        .size:           2
        .value_kind:     hidden_remainder_z
      - .offset:         152
        .size:           8
        .value_kind:     hidden_global_offset_x
      - .offset:         160
        .size:           8
        .value_kind:     hidden_global_offset_y
      - .offset:         168
        .size:           8
        .value_kind:     hidden_global_offset_z
      - .offset:         176
        .size:           2
        .value_kind:     hidden_grid_dims
    .group_segment_fixed_size: 9216
    .kernarg_segment_align: 8
    .kernarg_segment_size: 368
    .language:       OpenCL C
    .language_version:
      - 2
      - 0
    .max_flat_workgroup_size: 24
    .name:           _ZL30rocblas_trsm_small_left_deviceILi24ELi24ELb1E19rocblas_complex_numIdES1_PKS1_PS1_Ev13rocblas_fill_18rocblas_operation_17rocblas_diagonal_iiT3_T4_lilT5_lili
    .private_segment_fixed_size: 400
    .sgpr_count:     51
    .sgpr_spill_count: 0
    .symbol:         _ZL30rocblas_trsm_small_left_deviceILi24ELi24ELb1E19rocblas_complex_numIdES1_PKS1_PS1_Ev13rocblas_fill_18rocblas_operation_17rocblas_diagonal_iiT3_T4_lilT5_lili.kd
    .uniform_work_group_size: 1
    .uses_dynamic_stack: false
    .vgpr_count:     28
    .vgpr_spill_count: 0
    .wavefront_size: 32
  - .args:
      - .offset:         0
        .size:           4
        .value_kind:     by_value
      - .offset:         4
        .size:           4
        .value_kind:     by_value
      - .offset:         8
        .size:           4
        .value_kind:     by_value
      - .offset:         12
        .size:           4
        .value_kind:     by_value
      - .offset:         16
        .size:           4
        .value_kind:     by_value
      - .offset:         24
        .size:           16
        .value_kind:     by_value
      - .address_space:  global
        .offset:         40
        .size:           8
        .value_kind:     global_buffer
      - .offset:         48
        .size:           8
        .value_kind:     by_value
      - .offset:         56
        .size:           4
        .value_kind:     by_value
      - .offset:         64
        .size:           8
        .value_kind:     by_value
      - .address_space:  global
        .offset:         72
        .size:           8
        .value_kind:     global_buffer
      - .offset:         80
        .size:           8
        .value_kind:     by_value
      - .offset:         88
        .size:           4
        .value_kind:     by_value
      - .offset:         96
        .size:           8
        .value_kind:     by_value
      - .offset:         104
        .size:           4
        .value_kind:     by_value
      - .offset:         112
        .size:           4
        .value_kind:     hidden_block_count_x
      - .offset:         116
        .size:           4
        .value_kind:     hidden_block_count_y
      - .offset:         120
        .size:           4
        .value_kind:     hidden_block_count_z
      - .offset:         124
        .size:           2
        .value_kind:     hidden_group_size_x
      - .offset:         126
        .size:           2
        .value_kind:     hidden_group_size_y
      - .offset:         128
        .size:           2
        .value_kind:     hidden_group_size_z
      - .offset:         130
        .size:           2
        .value_kind:     hidden_remainder_x
      - .offset:         132
        .size:           2
        .value_kind:     hidden_remainder_y
      - .offset:         134
        .size:           2
        .value_kind:     hidden_remainder_z
      - .offset:         152
        .size:           8
        .value_kind:     hidden_global_offset_x
      - .offset:         160
        .size:           8
        .value_kind:     hidden_global_offset_y
      - .offset:         168
        .size:           8
        .value_kind:     hidden_global_offset_z
      - .offset:         176
        .size:           2
        .value_kind:     hidden_grid_dims
    .group_segment_fixed_size: 18432
    .kernarg_segment_align: 8
    .kernarg_segment_size: 368
    .language:       OpenCL C
    .language_version:
      - 2
      - 0
    .max_flat_workgroup_size: 24
    .name:           _ZL31rocblas_trsm_small_right_deviceI19rocblas_complex_numIdES1_PKS1_PS1_Li24EEv13rocblas_fill_18rocblas_operation_17rocblas_diagonal_iiT0_T1_lilT2_lili
    .private_segment_fixed_size: 0
    .sgpr_count:     42
    .sgpr_spill_count: 0
    .symbol:         _ZL31rocblas_trsm_small_right_deviceI19rocblas_complex_numIdES1_PKS1_PS1_Li24EEv13rocblas_fill_18rocblas_operation_17rocblas_diagonal_iiT0_T1_lilT2_lili.kd
    .uniform_work_group_size: 1
    .uses_dynamic_stack: false
    .vgpr_count:     64
    .vgpr_spill_count: 0
    .wavefront_size: 32
  - .args:
      - .offset:         0
        .size:           4
        .value_kind:     by_value
      - .offset:         4
        .size:           4
        .value_kind:     by_value
      - .offset:         8
        .size:           4
        .value_kind:     by_value
      - .offset:         12
        .size:           4
        .value_kind:     by_value
      - .offset:         16
        .size:           4
        .value_kind:     by_value
      - .offset:         24
        .size:           16
        .value_kind:     by_value
      - .address_space:  global
        .offset:         40
        .size:           8
        .value_kind:     global_buffer
      - .offset:         48
        .size:           8
        .value_kind:     by_value
      - .offset:         56
        .size:           4
        .value_kind:     by_value
      - .offset:         64
        .size:           8
        .value_kind:     by_value
      - .address_space:  global
        .offset:         72
        .size:           8
        .value_kind:     global_buffer
      - .offset:         80
        .size:           8
        .value_kind:     by_value
      - .offset:         88
        .size:           4
        .value_kind:     by_value
      - .offset:         96
        .size:           8
        .value_kind:     by_value
      - .offset:         104
        .size:           4
        .value_kind:     by_value
      - .offset:         112
        .size:           4
        .value_kind:     hidden_block_count_x
      - .offset:         116
        .size:           4
        .value_kind:     hidden_block_count_y
      - .offset:         120
        .size:           4
        .value_kind:     hidden_block_count_z
      - .offset:         124
        .size:           2
        .value_kind:     hidden_group_size_x
      - .offset:         126
        .size:           2
        .value_kind:     hidden_group_size_y
      - .offset:         128
        .size:           2
        .value_kind:     hidden_group_size_z
      - .offset:         130
        .size:           2
        .value_kind:     hidden_remainder_x
      - .offset:         132
        .size:           2
        .value_kind:     hidden_remainder_y
      - .offset:         134
        .size:           2
        .value_kind:     hidden_remainder_z
      - .offset:         152
        .size:           8
        .value_kind:     hidden_global_offset_x
      - .offset:         160
        .size:           8
        .value_kind:     hidden_global_offset_y
      - .offset:         168
        .size:           8
        .value_kind:     hidden_global_offset_z
      - .offset:         176
        .size:           2
        .value_kind:     hidden_grid_dims
    .group_segment_fixed_size: 25088
    .kernarg_segment_align: 8
    .kernarg_segment_size: 368
    .language:       OpenCL C
    .language_version:
      - 2
      - 0
    .max_flat_workgroup_size: 28
    .name:           _ZL38rocblas_trsm_small_left_device_sharedBILi28ELi28ELb0E19rocblas_complex_numIdES1_PKS1_PS1_Ev13rocblas_fill_18rocblas_operation_17rocblas_diagonal_iiT3_T4_lilT5_lili
    .private_segment_fixed_size: 464
    .sgpr_count:     47
    .sgpr_spill_count: 0
    .symbol:         _ZL38rocblas_trsm_small_left_device_sharedBILi28ELi28ELb0E19rocblas_complex_numIdES1_PKS1_PS1_Ev13rocblas_fill_18rocblas_operation_17rocblas_diagonal_iiT3_T4_lilT5_lili.kd
    .uniform_work_group_size: 1
    .uses_dynamic_stack: false
    .vgpr_count:     26
    .vgpr_spill_count: 0
    .wavefront_size: 32
  - .args:
      - .offset:         0
        .size:           4
        .value_kind:     by_value
      - .offset:         4
        .size:           4
        .value_kind:     by_value
      - .offset:         8
        .size:           4
        .value_kind:     by_value
      - .offset:         12
        .size:           4
        .value_kind:     by_value
      - .offset:         16
        .size:           4
        .value_kind:     by_value
      - .offset:         24
        .size:           16
        .value_kind:     by_value
      - .address_space:  global
        .offset:         40
        .size:           8
        .value_kind:     global_buffer
      - .offset:         48
        .size:           8
        .value_kind:     by_value
      - .offset:         56
        .size:           4
        .value_kind:     by_value
      - .offset:         64
        .size:           8
        .value_kind:     by_value
      - .address_space:  global
        .offset:         72
        .size:           8
        .value_kind:     global_buffer
      - .offset:         80
        .size:           8
        .value_kind:     by_value
      - .offset:         88
        .size:           4
        .value_kind:     by_value
      - .offset:         96
        .size:           8
        .value_kind:     by_value
      - .offset:         104
        .size:           4
        .value_kind:     by_value
      - .offset:         112
        .size:           4
        .value_kind:     hidden_block_count_x
      - .offset:         116
        .size:           4
        .value_kind:     hidden_block_count_y
      - .offset:         120
        .size:           4
        .value_kind:     hidden_block_count_z
      - .offset:         124
        .size:           2
        .value_kind:     hidden_group_size_x
      - .offset:         126
        .size:           2
        .value_kind:     hidden_group_size_y
      - .offset:         128
        .size:           2
        .value_kind:     hidden_group_size_z
      - .offset:         130
        .size:           2
        .value_kind:     hidden_remainder_x
      - .offset:         132
        .size:           2
        .value_kind:     hidden_remainder_y
      - .offset:         134
        .size:           2
        .value_kind:     hidden_remainder_z
      - .offset:         152
        .size:           8
        .value_kind:     hidden_global_offset_x
      - .offset:         160
        .size:           8
        .value_kind:     hidden_global_offset_y
      - .offset:         168
        .size:           8
        .value_kind:     hidden_global_offset_z
      - .offset:         176
        .size:           2
        .value_kind:     hidden_grid_dims
    .group_segment_fixed_size: 12544
    .kernarg_segment_align: 8
    .kernarg_segment_size: 368
    .language:       OpenCL C
    .language_version:
      - 2
      - 0
    .max_flat_workgroup_size: 28
    .name:           _ZL30rocblas_trsm_small_left_deviceILi28ELi28ELb0E19rocblas_complex_numIdES1_PKS1_PS1_Ev13rocblas_fill_18rocblas_operation_17rocblas_diagonal_iiT3_T4_lilT5_lili
    .private_segment_fixed_size: 464
    .sgpr_count:     53
    .sgpr_spill_count: 0
    .symbol:         _ZL30rocblas_trsm_small_left_deviceILi28ELi28ELb0E19rocblas_complex_numIdES1_PKS1_PS1_Ev13rocblas_fill_18rocblas_operation_17rocblas_diagonal_iiT3_T4_lilT5_lili.kd
    .uniform_work_group_size: 1
    .uses_dynamic_stack: false
    .vgpr_count:     28
    .vgpr_spill_count: 0
    .wavefront_size: 32
  - .args:
      - .offset:         0
        .size:           4
        .value_kind:     by_value
      - .offset:         4
        .size:           4
        .value_kind:     by_value
      - .offset:         8
        .size:           4
        .value_kind:     by_value
      - .offset:         12
        .size:           4
        .value_kind:     by_value
      - .offset:         16
        .size:           4
        .value_kind:     by_value
      - .offset:         24
        .size:           16
        .value_kind:     by_value
      - .address_space:  global
        .offset:         40
        .size:           8
        .value_kind:     global_buffer
      - .offset:         48
        .size:           8
        .value_kind:     by_value
      - .offset:         56
        .size:           4
        .value_kind:     by_value
      - .offset:         64
        .size:           8
        .value_kind:     by_value
      - .address_space:  global
        .offset:         72
        .size:           8
        .value_kind:     global_buffer
      - .offset:         80
        .size:           8
        .value_kind:     by_value
      - .offset:         88
        .size:           4
        .value_kind:     by_value
      - .offset:         96
        .size:           8
        .value_kind:     by_value
      - .offset:         104
        .size:           4
        .value_kind:     by_value
      - .offset:         112
        .size:           4
        .value_kind:     hidden_block_count_x
      - .offset:         116
        .size:           4
        .value_kind:     hidden_block_count_y
      - .offset:         120
        .size:           4
        .value_kind:     hidden_block_count_z
      - .offset:         124
        .size:           2
        .value_kind:     hidden_group_size_x
      - .offset:         126
        .size:           2
        .value_kind:     hidden_group_size_y
      - .offset:         128
        .size:           2
        .value_kind:     hidden_group_size_z
      - .offset:         130
        .size:           2
        .value_kind:     hidden_remainder_x
      - .offset:         132
        .size:           2
        .value_kind:     hidden_remainder_y
      - .offset:         134
        .size:           2
        .value_kind:     hidden_remainder_z
      - .offset:         152
        .size:           8
        .value_kind:     hidden_global_offset_x
      - .offset:         160
        .size:           8
        .value_kind:     hidden_global_offset_y
      - .offset:         168
        .size:           8
        .value_kind:     hidden_global_offset_z
      - .offset:         176
        .size:           2
        .value_kind:     hidden_grid_dims
    .group_segment_fixed_size: 25088
    .kernarg_segment_align: 8
    .kernarg_segment_size: 368
    .language:       OpenCL C
    .language_version:
      - 2
      - 0
    .max_flat_workgroup_size: 28
    .name:           _ZL38rocblas_trsm_small_left_device_sharedBILi28ELi28ELb1E19rocblas_complex_numIdES1_PKS1_PS1_Ev13rocblas_fill_18rocblas_operation_17rocblas_diagonal_iiT3_T4_lilT5_lili
    .private_segment_fixed_size: 464
    .sgpr_count:     47
    .sgpr_spill_count: 0
    .symbol:         _ZL38rocblas_trsm_small_left_device_sharedBILi28ELi28ELb1E19rocblas_complex_numIdES1_PKS1_PS1_Ev13rocblas_fill_18rocblas_operation_17rocblas_diagonal_iiT3_T4_lilT5_lili.kd
    .uniform_work_group_size: 1
    .uses_dynamic_stack: false
    .vgpr_count:     26
    .vgpr_spill_count: 0
    .wavefront_size: 32
  - .args:
      - .offset:         0
        .size:           4
        .value_kind:     by_value
      - .offset:         4
        .size:           4
        .value_kind:     by_value
      - .offset:         8
        .size:           4
        .value_kind:     by_value
      - .offset:         12
        .size:           4
        .value_kind:     by_value
      - .offset:         16
        .size:           4
        .value_kind:     by_value
      - .offset:         24
        .size:           16
        .value_kind:     by_value
      - .address_space:  global
        .offset:         40
        .size:           8
        .value_kind:     global_buffer
      - .offset:         48
        .size:           8
        .value_kind:     by_value
      - .offset:         56
        .size:           4
        .value_kind:     by_value
      - .offset:         64
        .size:           8
        .value_kind:     by_value
      - .address_space:  global
        .offset:         72
        .size:           8
        .value_kind:     global_buffer
      - .offset:         80
        .size:           8
        .value_kind:     by_value
      - .offset:         88
        .size:           4
        .value_kind:     by_value
      - .offset:         96
        .size:           8
        .value_kind:     by_value
      - .offset:         104
        .size:           4
        .value_kind:     by_value
      - .offset:         112
        .size:           4
        .value_kind:     hidden_block_count_x
      - .offset:         116
        .size:           4
        .value_kind:     hidden_block_count_y
      - .offset:         120
        .size:           4
        .value_kind:     hidden_block_count_z
      - .offset:         124
        .size:           2
        .value_kind:     hidden_group_size_x
      - .offset:         126
        .size:           2
        .value_kind:     hidden_group_size_y
      - .offset:         128
        .size:           2
        .value_kind:     hidden_group_size_z
      - .offset:         130
        .size:           2
        .value_kind:     hidden_remainder_x
      - .offset:         132
        .size:           2
        .value_kind:     hidden_remainder_y
      - .offset:         134
        .size:           2
        .value_kind:     hidden_remainder_z
      - .offset:         152
        .size:           8
        .value_kind:     hidden_global_offset_x
      - .offset:         160
        .size:           8
        .value_kind:     hidden_global_offset_y
      - .offset:         168
        .size:           8
        .value_kind:     hidden_global_offset_z
      - .offset:         176
        .size:           2
        .value_kind:     hidden_grid_dims
    .group_segment_fixed_size: 12544
    .kernarg_segment_align: 8
    .kernarg_segment_size: 368
    .language:       OpenCL C
    .language_version:
      - 2
      - 0
    .max_flat_workgroup_size: 28
    .name:           _ZL30rocblas_trsm_small_left_deviceILi28ELi28ELb1E19rocblas_complex_numIdES1_PKS1_PS1_Ev13rocblas_fill_18rocblas_operation_17rocblas_diagonal_iiT3_T4_lilT5_lili
    .private_segment_fixed_size: 464
    .sgpr_count:     51
    .sgpr_spill_count: 0
    .symbol:         _ZL30rocblas_trsm_small_left_deviceILi28ELi28ELb1E19rocblas_complex_numIdES1_PKS1_PS1_Ev13rocblas_fill_18rocblas_operation_17rocblas_diagonal_iiT3_T4_lilT5_lili.kd
    .uniform_work_group_size: 1
    .uses_dynamic_stack: false
    .vgpr_count:     28
    .vgpr_spill_count: 0
    .wavefront_size: 32
  - .args:
      - .offset:         0
        .size:           4
        .value_kind:     by_value
      - .offset:         4
        .size:           4
        .value_kind:     by_value
      - .offset:         8
        .size:           4
        .value_kind:     by_value
      - .offset:         12
        .size:           4
        .value_kind:     by_value
      - .offset:         16
        .size:           4
        .value_kind:     by_value
      - .offset:         24
        .size:           16
        .value_kind:     by_value
      - .address_space:  global
        .offset:         40
        .size:           8
        .value_kind:     global_buffer
      - .offset:         48
        .size:           8
        .value_kind:     by_value
      - .offset:         56
        .size:           4
        .value_kind:     by_value
      - .offset:         64
        .size:           8
        .value_kind:     by_value
      - .address_space:  global
        .offset:         72
        .size:           8
        .value_kind:     global_buffer
      - .offset:         80
        .size:           8
        .value_kind:     by_value
      - .offset:         88
        .size:           4
        .value_kind:     by_value
      - .offset:         96
        .size:           8
        .value_kind:     by_value
      - .offset:         104
        .size:           4
        .value_kind:     by_value
      - .offset:         112
        .size:           4
        .value_kind:     hidden_block_count_x
      - .offset:         116
        .size:           4
        .value_kind:     hidden_block_count_y
      - .offset:         120
        .size:           4
        .value_kind:     hidden_block_count_z
      - .offset:         124
        .size:           2
        .value_kind:     hidden_group_size_x
      - .offset:         126
        .size:           2
        .value_kind:     hidden_group_size_y
      - .offset:         128
        .size:           2
        .value_kind:     hidden_group_size_z
      - .offset:         130
        .size:           2
        .value_kind:     hidden_remainder_x
      - .offset:         132
        .size:           2
        .value_kind:     hidden_remainder_y
      - .offset:         134
        .size:           2
        .value_kind:     hidden_remainder_z
      - .offset:         152
        .size:           8
        .value_kind:     hidden_global_offset_x
      - .offset:         160
        .size:           8
        .value_kind:     hidden_global_offset_y
      - .offset:         168
        .size:           8
        .value_kind:     hidden_global_offset_z
      - .offset:         176
        .size:           2
        .value_kind:     hidden_grid_dims
    .group_segment_fixed_size: 25088
    .kernarg_segment_align: 8
    .kernarg_segment_size: 368
    .language:       OpenCL C
    .language_version:
      - 2
      - 0
    .max_flat_workgroup_size: 28
    .name:           _ZL31rocblas_trsm_small_right_deviceI19rocblas_complex_numIdES1_PKS1_PS1_Li28EEv13rocblas_fill_18rocblas_operation_17rocblas_diagonal_iiT0_T1_lilT2_lili
    .private_segment_fixed_size: 0
    .sgpr_count:     42
    .sgpr_spill_count: 0
    .symbol:         _ZL31rocblas_trsm_small_right_deviceI19rocblas_complex_numIdES1_PKS1_PS1_Li28EEv13rocblas_fill_18rocblas_operation_17rocblas_diagonal_iiT0_T1_lilT2_lili.kd
    .uniform_work_group_size: 1
    .uses_dynamic_stack: false
    .vgpr_count:     64
    .vgpr_spill_count: 0
    .wavefront_size: 32
  - .args:
      - .offset:         0
        .size:           4
        .value_kind:     by_value
      - .offset:         4
        .size:           4
        .value_kind:     by_value
      - .offset:         8
        .size:           4
        .value_kind:     by_value
      - .offset:         12
        .size:           4
        .value_kind:     by_value
      - .offset:         16
        .size:           4
        .value_kind:     by_value
      - .offset:         24
        .size:           16
        .value_kind:     by_value
      - .address_space:  global
        .offset:         40
        .size:           8
        .value_kind:     global_buffer
      - .offset:         48
        .size:           8
        .value_kind:     by_value
      - .offset:         56
        .size:           4
        .value_kind:     by_value
      - .offset:         64
        .size:           8
        .value_kind:     by_value
      - .address_space:  global
        .offset:         72
        .size:           8
        .value_kind:     global_buffer
      - .offset:         80
        .size:           8
        .value_kind:     by_value
      - .offset:         88
        .size:           4
        .value_kind:     by_value
      - .offset:         96
        .size:           8
        .value_kind:     by_value
      - .offset:         104
        .size:           4
        .value_kind:     by_value
      - .offset:         112
        .size:           4
        .value_kind:     hidden_block_count_x
      - .offset:         116
        .size:           4
        .value_kind:     hidden_block_count_y
      - .offset:         120
        .size:           4
        .value_kind:     hidden_block_count_z
      - .offset:         124
        .size:           2
        .value_kind:     hidden_group_size_x
      - .offset:         126
        .size:           2
        .value_kind:     hidden_group_size_y
      - .offset:         128
        .size:           2
        .value_kind:     hidden_group_size_z
      - .offset:         130
        .size:           2
        .value_kind:     hidden_remainder_x
      - .offset:         132
        .size:           2
        .value_kind:     hidden_remainder_y
      - .offset:         134
        .size:           2
        .value_kind:     hidden_remainder_z
      - .offset:         152
        .size:           8
        .value_kind:     hidden_global_offset_x
      - .offset:         160
        .size:           8
        .value_kind:     hidden_global_offset_y
      - .offset:         168
        .size:           8
        .value_kind:     hidden_global_offset_z
      - .offset:         176
        .size:           2
        .value_kind:     hidden_grid_dims
    .group_segment_fixed_size: 32768
    .kernarg_segment_align: 8
    .kernarg_segment_size: 368
    .language:       OpenCL C
    .language_version:
      - 2
      - 0
    .max_flat_workgroup_size: 32
    .name:           _ZL38rocblas_trsm_small_left_device_sharedBILi32ELi32ELb0E19rocblas_complex_numIdES1_PKS1_PS1_Ev13rocblas_fill_18rocblas_operation_17rocblas_diagonal_iiT3_T4_lilT5_lili
    .private_segment_fixed_size: 528
    .sgpr_count:     47
    .sgpr_spill_count: 0
    .symbol:         _ZL38rocblas_trsm_small_left_device_sharedBILi32ELi32ELb0E19rocblas_complex_numIdES1_PKS1_PS1_Ev13rocblas_fill_18rocblas_operation_17rocblas_diagonal_iiT3_T4_lilT5_lili.kd
    .uniform_work_group_size: 1
    .uses_dynamic_stack: false
    .vgpr_count:     26
    .vgpr_spill_count: 0
    .wavefront_size: 32
  - .args:
      - .offset:         0
        .size:           4
        .value_kind:     by_value
      - .offset:         4
        .size:           4
        .value_kind:     by_value
      - .offset:         8
        .size:           4
        .value_kind:     by_value
      - .offset:         12
        .size:           4
        .value_kind:     by_value
      - .offset:         16
        .size:           4
        .value_kind:     by_value
      - .offset:         24
        .size:           16
        .value_kind:     by_value
      - .address_space:  global
        .offset:         40
        .size:           8
        .value_kind:     global_buffer
      - .offset:         48
        .size:           8
        .value_kind:     by_value
      - .offset:         56
        .size:           4
        .value_kind:     by_value
      - .offset:         64
        .size:           8
        .value_kind:     by_value
      - .address_space:  global
        .offset:         72
        .size:           8
        .value_kind:     global_buffer
      - .offset:         80
        .size:           8
        .value_kind:     by_value
      - .offset:         88
        .size:           4
        .value_kind:     by_value
      - .offset:         96
        .size:           8
        .value_kind:     by_value
      - .offset:         104
        .size:           4
        .value_kind:     by_value
      - .offset:         112
        .size:           4
        .value_kind:     hidden_block_count_x
      - .offset:         116
        .size:           4
        .value_kind:     hidden_block_count_y
      - .offset:         120
        .size:           4
        .value_kind:     hidden_block_count_z
      - .offset:         124
        .size:           2
        .value_kind:     hidden_group_size_x
      - .offset:         126
        .size:           2
        .value_kind:     hidden_group_size_y
      - .offset:         128
        .size:           2
        .value_kind:     hidden_group_size_z
      - .offset:         130
        .size:           2
        .value_kind:     hidden_remainder_x
      - .offset:         132
        .size:           2
        .value_kind:     hidden_remainder_y
      - .offset:         134
        .size:           2
        .value_kind:     hidden_remainder_z
      - .offset:         152
        .size:           8
        .value_kind:     hidden_global_offset_x
      - .offset:         160
        .size:           8
        .value_kind:     hidden_global_offset_y
      - .offset:         168
        .size:           8
        .value_kind:     hidden_global_offset_z
      - .offset:         176
        .size:           2
        .value_kind:     hidden_grid_dims
    .group_segment_fixed_size: 16384
    .kernarg_segment_align: 8
    .kernarg_segment_size: 368
    .language:       OpenCL C
    .language_version:
      - 2
      - 0
    .max_flat_workgroup_size: 32
    .name:           _ZL30rocblas_trsm_small_left_deviceILi32ELi32ELb0E19rocblas_complex_numIdES1_PKS1_PS1_Ev13rocblas_fill_18rocblas_operation_17rocblas_diagonal_iiT3_T4_lilT5_lili
    .private_segment_fixed_size: 528
    .sgpr_count:     53
    .sgpr_spill_count: 0
    .symbol:         _ZL30rocblas_trsm_small_left_deviceILi32ELi32ELb0E19rocblas_complex_numIdES1_PKS1_PS1_Ev13rocblas_fill_18rocblas_operation_17rocblas_diagonal_iiT3_T4_lilT5_lili.kd
    .uniform_work_group_size: 1
    .uses_dynamic_stack: false
    .vgpr_count:     28
    .vgpr_spill_count: 0
    .wavefront_size: 32
  - .args:
      - .offset:         0
        .size:           4
        .value_kind:     by_value
      - .offset:         4
        .size:           4
        .value_kind:     by_value
      - .offset:         8
        .size:           4
        .value_kind:     by_value
      - .offset:         12
        .size:           4
        .value_kind:     by_value
      - .offset:         16
        .size:           4
        .value_kind:     by_value
      - .offset:         24
        .size:           16
        .value_kind:     by_value
      - .address_space:  global
        .offset:         40
        .size:           8
        .value_kind:     global_buffer
      - .offset:         48
        .size:           8
        .value_kind:     by_value
      - .offset:         56
        .size:           4
        .value_kind:     by_value
      - .offset:         64
        .size:           8
        .value_kind:     by_value
      - .address_space:  global
        .offset:         72
        .size:           8
        .value_kind:     global_buffer
      - .offset:         80
        .size:           8
        .value_kind:     by_value
      - .offset:         88
        .size:           4
        .value_kind:     by_value
      - .offset:         96
        .size:           8
        .value_kind:     by_value
      - .offset:         104
        .size:           4
        .value_kind:     by_value
      - .offset:         112
        .size:           4
        .value_kind:     hidden_block_count_x
      - .offset:         116
        .size:           4
        .value_kind:     hidden_block_count_y
      - .offset:         120
        .size:           4
        .value_kind:     hidden_block_count_z
      - .offset:         124
        .size:           2
        .value_kind:     hidden_group_size_x
      - .offset:         126
        .size:           2
        .value_kind:     hidden_group_size_y
      - .offset:         128
        .size:           2
        .value_kind:     hidden_group_size_z
      - .offset:         130
        .size:           2
        .value_kind:     hidden_remainder_x
      - .offset:         132
        .size:           2
        .value_kind:     hidden_remainder_y
      - .offset:         134
        .size:           2
        .value_kind:     hidden_remainder_z
      - .offset:         152
        .size:           8
        .value_kind:     hidden_global_offset_x
      - .offset:         160
        .size:           8
        .value_kind:     hidden_global_offset_y
      - .offset:         168
        .size:           8
        .value_kind:     hidden_global_offset_z
      - .offset:         176
        .size:           2
        .value_kind:     hidden_grid_dims
    .group_segment_fixed_size: 32768
    .kernarg_segment_align: 8
    .kernarg_segment_size: 368
    .language:       OpenCL C
    .language_version:
      - 2
      - 0
    .max_flat_workgroup_size: 32
    .name:           _ZL38rocblas_trsm_small_left_device_sharedBILi32ELi32ELb1E19rocblas_complex_numIdES1_PKS1_PS1_Ev13rocblas_fill_18rocblas_operation_17rocblas_diagonal_iiT3_T4_lilT5_lili
    .private_segment_fixed_size: 528
    .sgpr_count:     47
    .sgpr_spill_count: 0
    .symbol:         _ZL38rocblas_trsm_small_left_device_sharedBILi32ELi32ELb1E19rocblas_complex_numIdES1_PKS1_PS1_Ev13rocblas_fill_18rocblas_operation_17rocblas_diagonal_iiT3_T4_lilT5_lili.kd
    .uniform_work_group_size: 1
    .uses_dynamic_stack: false
    .vgpr_count:     26
    .vgpr_spill_count: 0
    .wavefront_size: 32
  - .args:
      - .offset:         0
        .size:           4
        .value_kind:     by_value
      - .offset:         4
        .size:           4
        .value_kind:     by_value
      - .offset:         8
        .size:           4
        .value_kind:     by_value
      - .offset:         12
        .size:           4
        .value_kind:     by_value
      - .offset:         16
        .size:           4
        .value_kind:     by_value
      - .offset:         24
        .size:           16
        .value_kind:     by_value
      - .address_space:  global
        .offset:         40
        .size:           8
        .value_kind:     global_buffer
      - .offset:         48
        .size:           8
        .value_kind:     by_value
      - .offset:         56
        .size:           4
        .value_kind:     by_value
      - .offset:         64
        .size:           8
        .value_kind:     by_value
      - .address_space:  global
        .offset:         72
        .size:           8
        .value_kind:     global_buffer
      - .offset:         80
        .size:           8
        .value_kind:     by_value
      - .offset:         88
        .size:           4
        .value_kind:     by_value
      - .offset:         96
        .size:           8
        .value_kind:     by_value
      - .offset:         104
        .size:           4
        .value_kind:     by_value
      - .offset:         112
        .size:           4
        .value_kind:     hidden_block_count_x
      - .offset:         116
        .size:           4
        .value_kind:     hidden_block_count_y
      - .offset:         120
        .size:           4
        .value_kind:     hidden_block_count_z
      - .offset:         124
        .size:           2
        .value_kind:     hidden_group_size_x
      - .offset:         126
        .size:           2
        .value_kind:     hidden_group_size_y
      - .offset:         128
        .size:           2
        .value_kind:     hidden_group_size_z
      - .offset:         130
        .size:           2
        .value_kind:     hidden_remainder_x
      - .offset:         132
        .size:           2
        .value_kind:     hidden_remainder_y
      - .offset:         134
        .size:           2
        .value_kind:     hidden_remainder_z
      - .offset:         152
        .size:           8
        .value_kind:     hidden_global_offset_x
      - .offset:         160
        .size:           8
        .value_kind:     hidden_global_offset_y
      - .offset:         168
        .size:           8
        .value_kind:     hidden_global_offset_z
      - .offset:         176
        .size:           2
        .value_kind:     hidden_grid_dims
    .group_segment_fixed_size: 16384
    .kernarg_segment_align: 8
    .kernarg_segment_size: 368
    .language:       OpenCL C
    .language_version:
      - 2
      - 0
    .max_flat_workgroup_size: 32
    .name:           _ZL30rocblas_trsm_small_left_deviceILi32ELi32ELb1E19rocblas_complex_numIdES1_PKS1_PS1_Ev13rocblas_fill_18rocblas_operation_17rocblas_diagonal_iiT3_T4_lilT5_lili
    .private_segment_fixed_size: 528
    .sgpr_count:     51
    .sgpr_spill_count: 0
    .symbol:         _ZL30rocblas_trsm_small_left_deviceILi32ELi32ELb1E19rocblas_complex_numIdES1_PKS1_PS1_Ev13rocblas_fill_18rocblas_operation_17rocblas_diagonal_iiT3_T4_lilT5_lili.kd
    .uniform_work_group_size: 1
    .uses_dynamic_stack: false
    .vgpr_count:     28
    .vgpr_spill_count: 0
    .wavefront_size: 32
  - .args:
      - .offset:         0
        .size:           4
        .value_kind:     by_value
      - .offset:         4
        .size:           4
        .value_kind:     by_value
      - .offset:         8
        .size:           4
        .value_kind:     by_value
      - .offset:         12
        .size:           4
        .value_kind:     by_value
      - .offset:         16
        .size:           4
        .value_kind:     by_value
      - .offset:         24
        .size:           16
        .value_kind:     by_value
      - .address_space:  global
        .offset:         40
        .size:           8
        .value_kind:     global_buffer
      - .offset:         48
        .size:           8
        .value_kind:     by_value
      - .offset:         56
        .size:           4
        .value_kind:     by_value
      - .offset:         64
        .size:           8
        .value_kind:     by_value
      - .address_space:  global
        .offset:         72
        .size:           8
        .value_kind:     global_buffer
      - .offset:         80
        .size:           8
        .value_kind:     by_value
      - .offset:         88
        .size:           4
        .value_kind:     by_value
      - .offset:         96
        .size:           8
        .value_kind:     by_value
      - .offset:         104
        .size:           4
        .value_kind:     by_value
      - .offset:         112
        .size:           4
        .value_kind:     hidden_block_count_x
      - .offset:         116
        .size:           4
        .value_kind:     hidden_block_count_y
      - .offset:         120
        .size:           4
        .value_kind:     hidden_block_count_z
      - .offset:         124
        .size:           2
        .value_kind:     hidden_group_size_x
      - .offset:         126
        .size:           2
        .value_kind:     hidden_group_size_y
      - .offset:         128
        .size:           2
        .value_kind:     hidden_group_size_z
      - .offset:         130
        .size:           2
        .value_kind:     hidden_remainder_x
      - .offset:         132
        .size:           2
        .value_kind:     hidden_remainder_y
      - .offset:         134
        .size:           2
        .value_kind:     hidden_remainder_z
      - .offset:         152
        .size:           8
        .value_kind:     hidden_global_offset_x
      - .offset:         160
        .size:           8
        .value_kind:     hidden_global_offset_y
      - .offset:         168
        .size:           8
        .value_kind:     hidden_global_offset_z
      - .offset:         176
        .size:           2
        .value_kind:     hidden_grid_dims
    .group_segment_fixed_size: 32768
    .kernarg_segment_align: 8
    .kernarg_segment_size: 368
    .language:       OpenCL C
    .language_version:
      - 2
      - 0
    .max_flat_workgroup_size: 32
    .name:           _ZL31rocblas_trsm_small_right_deviceI19rocblas_complex_numIdES1_PKS1_PS1_Li32EEv13rocblas_fill_18rocblas_operation_17rocblas_diagonal_iiT0_T1_lilT2_lili
    .private_segment_fixed_size: 0
    .sgpr_count:     44
    .sgpr_spill_count: 0
    .symbol:         _ZL31rocblas_trsm_small_right_deviceI19rocblas_complex_numIdES1_PKS1_PS1_Li32EEv13rocblas_fill_18rocblas_operation_17rocblas_diagonal_iiT0_T1_lilT2_lili.kd
    .uniform_work_group_size: 1
    .uses_dynamic_stack: false
    .vgpr_count:     64
    .vgpr_spill_count: 0
    .wavefront_size: 32
  - .args:
      - .offset:         0
        .size:           4
        .value_kind:     by_value
      - .offset:         4
        .size:           4
        .value_kind:     by_value
      - .offset:         8
        .size:           4
        .value_kind:     by_value
      - .offset:         12
        .size:           4
        .value_kind:     by_value
      - .offset:         16
        .size:           4
        .value_kind:     by_value
      - .offset:         24
        .size:           16
        .value_kind:     by_value
      - .address_space:  global
        .offset:         40
        .size:           8
        .value_kind:     global_buffer
      - .offset:         48
        .size:           8
        .value_kind:     by_value
      - .offset:         56
        .size:           4
        .value_kind:     by_value
      - .offset:         64
        .size:           8
        .value_kind:     by_value
      - .address_space:  global
        .offset:         72
        .size:           8
        .value_kind:     global_buffer
      - .offset:         80
        .size:           8
        .value_kind:     by_value
      - .offset:         88
        .size:           4
        .value_kind:     by_value
      - .offset:         96
        .size:           8
        .value_kind:     by_value
      - .offset:         104
        .size:           4
        .value_kind:     by_value
      - .offset:         112
        .size:           4
        .value_kind:     hidden_block_count_x
      - .offset:         116
        .size:           4
        .value_kind:     hidden_block_count_y
      - .offset:         120
        .size:           4
        .value_kind:     hidden_block_count_z
      - .offset:         124
        .size:           2
        .value_kind:     hidden_group_size_x
      - .offset:         126
        .size:           2
        .value_kind:     hidden_group_size_y
      - .offset:         128
        .size:           2
        .value_kind:     hidden_group_size_z
      - .offset:         130
        .size:           2
        .value_kind:     hidden_remainder_x
      - .offset:         132
        .size:           2
        .value_kind:     hidden_remainder_y
      - .offset:         134
        .size:           2
        .value_kind:     hidden_remainder_z
      - .offset:         152
        .size:           8
        .value_kind:     hidden_global_offset_x
      - .offset:         160
        .size:           8
        .value_kind:     hidden_global_offset_y
      - .offset:         168
        .size:           8
        .value_kind:     hidden_global_offset_z
      - .offset:         176
        .size:           2
        .value_kind:     hidden_grid_dims
    .group_segment_fixed_size: 65536
    .kernarg_segment_align: 8
    .kernarg_segment_size: 368
    .language:       OpenCL C
    .language_version:
      - 2
      - 0
    .max_flat_workgroup_size: 64
    .name:           _ZL33rocblas_trsm_small_64_left_deviceI19rocblas_complex_numIdES1_PKS1_PS1_Li64EEv13rocblas_fill_18rocblas_operation_17rocblas_diagonal_iiT0_T1_lilT2_lili
    .private_segment_fixed_size: 0
    .sgpr_count:     52
    .sgpr_spill_count: 0
    .symbol:         _ZL33rocblas_trsm_small_64_left_deviceI19rocblas_complex_numIdES1_PKS1_PS1_Li64EEv13rocblas_fill_18rocblas_operation_17rocblas_diagonal_iiT0_T1_lilT2_lili.kd
    .uniform_work_group_size: 1
    .uses_dynamic_stack: false
    .vgpr_count:     30
    .vgpr_spill_count: 0
    .wavefront_size: 32
  - .args:
      - .offset:         0
        .size:           4
        .value_kind:     by_value
      - .offset:         4
        .size:           4
        .value_kind:     by_value
      - .offset:         8
        .size:           4
        .value_kind:     by_value
      - .offset:         12
        .size:           4
        .value_kind:     by_value
      - .offset:         16
        .size:           4
        .value_kind:     by_value
      - .offset:         24
        .size:           16
        .value_kind:     by_value
      - .address_space:  global
        .offset:         40
        .size:           8
        .value_kind:     global_buffer
      - .offset:         48
        .size:           8
        .value_kind:     by_value
      - .offset:         56
        .size:           4
        .value_kind:     by_value
      - .offset:         64
        .size:           8
        .value_kind:     by_value
      - .address_space:  global
        .offset:         72
        .size:           8
        .value_kind:     global_buffer
      - .offset:         80
        .size:           8
        .value_kind:     by_value
      - .offset:         88
        .size:           4
        .value_kind:     by_value
      - .offset:         96
        .size:           8
        .value_kind:     by_value
      - .offset:         104
        .size:           4
        .value_kind:     by_value
      - .offset:         112
        .size:           4
        .value_kind:     hidden_block_count_x
      - .offset:         116
        .size:           4
        .value_kind:     hidden_block_count_y
      - .offset:         120
        .size:           4
        .value_kind:     hidden_block_count_z
      - .offset:         124
        .size:           2
        .value_kind:     hidden_group_size_x
      - .offset:         126
        .size:           2
        .value_kind:     hidden_group_size_y
      - .offset:         128
        .size:           2
        .value_kind:     hidden_group_size_z
      - .offset:         130
        .size:           2
        .value_kind:     hidden_remainder_x
      - .offset:         132
        .size:           2
        .value_kind:     hidden_remainder_y
      - .offset:         134
        .size:           2
        .value_kind:     hidden_remainder_z
      - .offset:         152
        .size:           8
        .value_kind:     hidden_global_offset_x
      - .offset:         160
        .size:           8
        .value_kind:     hidden_global_offset_y
      - .offset:         168
        .size:           8
        .value_kind:     hidden_global_offset_z
      - .offset:         176
        .size:           2
        .value_kind:     hidden_grid_dims
    .group_segment_fixed_size: 65536
    .kernarg_segment_align: 8
    .kernarg_segment_size: 368
    .language:       OpenCL C
    .language_version:
      - 2
      - 0
    .max_flat_workgroup_size: 64
    .name:           _ZL34rocblas_trsm_small_64_right_deviceI19rocblas_complex_numIdES1_PKS1_PS1_Li64EEv13rocblas_fill_18rocblas_operation_17rocblas_diagonal_iiT0_T1_lilT2_lili
    .private_segment_fixed_size: 0
    .sgpr_count:     50
    .sgpr_spill_count: 0
    .symbol:         _ZL34rocblas_trsm_small_64_right_deviceI19rocblas_complex_numIdES1_PKS1_PS1_Li64EEv13rocblas_fill_18rocblas_operation_17rocblas_diagonal_iiT0_T1_lilT2_lili.kd
    .uniform_work_group_size: 1
    .uses_dynamic_stack: false
    .vgpr_count:     30
    .vgpr_spill_count: 0
    .wavefront_size: 32
  - .args:
      - .offset:         0
        .size:           4
        .value_kind:     by_value
      - .offset:         8
        .size:           8
        .value_kind:     by_value
      - .offset:         16
        .size:           8
        .value_kind:     by_value
      - .offset:         24
        .size:           16
        .value_kind:     by_value
      - .address_space:  global
        .offset:         40
        .size:           8
        .value_kind:     global_buffer
      - .offset:         48
        .size:           8
        .value_kind:     by_value
      - .offset:         56
        .size:           8
        .value_kind:     by_value
      - .offset:         64
        .size:           8
        .value_kind:     by_value
      - .address_space:  global
        .offset:         72
        .size:           8
        .value_kind:     global_buffer
      - .offset:         80
        .size:           8
        .value_kind:     by_value
      - .offset:         88
        .size:           8
        .value_kind:     by_value
      - .offset:         96
        .size:           8
        .value_kind:     by_value
      - .offset:         104
        .size:           4
        .value_kind:     by_value
      - .offset:         108
        .size:           1
        .value_kind:     by_value
      - .offset:         112
        .size:           4
        .value_kind:     hidden_block_count_x
      - .offset:         116
        .size:           4
        .value_kind:     hidden_block_count_y
      - .offset:         120
        .size:           4
        .value_kind:     hidden_block_count_z
      - .offset:         124
        .size:           2
        .value_kind:     hidden_group_size_x
      - .offset:         126
        .size:           2
        .value_kind:     hidden_group_size_y
      - .offset:         128
        .size:           2
        .value_kind:     hidden_group_size_z
      - .offset:         130
        .size:           2
        .value_kind:     hidden_remainder_x
      - .offset:         132
        .size:           2
        .value_kind:     hidden_remainder_y
      - .offset:         134
        .size:           2
        .value_kind:     hidden_remainder_z
      - .offset:         152
        .size:           8
        .value_kind:     hidden_global_offset_x
      - .offset:         160
        .size:           8
        .value_kind:     hidden_global_offset_y
      - .offset:         168
        .size:           8
        .value_kind:     hidden_global_offset_z
      - .offset:         176
        .size:           2
        .value_kind:     hidden_grid_dims
      - .offset:         232
        .size:           4
        .value_kind:     hidden_dynamic_lds_size
    .group_segment_fixed_size: 0
    .kernarg_segment_align: 8
    .kernarg_segment_size: 368
    .language:       OpenCL C
    .language_version:
      - 2
      - 0
    .max_flat_workgroup_size: 1024
    .name:           _ZL39rocblas_trsm_block_forward_substitutionI19rocblas_complex_numIdES1_PKS1_PS1_Lb0ELb0ELb0EEv18rocblas_operation_llT0_T1_lllT2_lllib
    .private_segment_fixed_size: 0
    .sgpr_count:     44
    .sgpr_spill_count: 0
    .symbol:         _ZL39rocblas_trsm_block_forward_substitutionI19rocblas_complex_numIdES1_PKS1_PS1_Lb0ELb0ELb0EEv18rocblas_operation_llT0_T1_lllT2_lllib.kd
    .uniform_work_group_size: 1
    .uses_dynamic_stack: false
    .vgpr_count:     34
    .vgpr_spill_count: 0
    .wavefront_size: 32
  - .args:
      - .offset:         0
        .size:           4
        .value_kind:     by_value
      - .offset:         8
        .size:           8
        .value_kind:     by_value
      - .offset:         16
        .size:           8
        .value_kind:     by_value
      - .offset:         24
        .size:           16
        .value_kind:     by_value
      - .address_space:  global
        .offset:         40
        .size:           8
        .value_kind:     global_buffer
      - .offset:         48
        .size:           8
        .value_kind:     by_value
      - .offset:         56
        .size:           8
        .value_kind:     by_value
      - .offset:         64
        .size:           8
        .value_kind:     by_value
      - .address_space:  global
        .offset:         72
        .size:           8
        .value_kind:     global_buffer
      - .offset:         80
        .size:           8
        .value_kind:     by_value
      - .offset:         88
        .size:           8
        .value_kind:     by_value
      - .offset:         96
        .size:           8
        .value_kind:     by_value
      - .offset:         104
        .size:           4
        .value_kind:     by_value
      - .offset:         108
        .size:           1
        .value_kind:     by_value
      - .offset:         112
        .size:           4
        .value_kind:     hidden_block_count_x
      - .offset:         116
        .size:           4
        .value_kind:     hidden_block_count_y
      - .offset:         120
        .size:           4
        .value_kind:     hidden_block_count_z
      - .offset:         124
        .size:           2
        .value_kind:     hidden_group_size_x
      - .offset:         126
        .size:           2
        .value_kind:     hidden_group_size_y
      - .offset:         128
        .size:           2
        .value_kind:     hidden_group_size_z
      - .offset:         130
        .size:           2
        .value_kind:     hidden_remainder_x
      - .offset:         132
        .size:           2
        .value_kind:     hidden_remainder_y
      - .offset:         134
        .size:           2
        .value_kind:     hidden_remainder_z
      - .offset:         152
        .size:           8
        .value_kind:     hidden_global_offset_x
      - .offset:         160
        .size:           8
        .value_kind:     hidden_global_offset_y
      - .offset:         168
        .size:           8
        .value_kind:     hidden_global_offset_z
      - .offset:         176
        .size:           2
        .value_kind:     hidden_grid_dims
      - .offset:         232
        .size:           4
        .value_kind:     hidden_dynamic_lds_size
    .group_segment_fixed_size: 0
    .kernarg_segment_align: 8
    .kernarg_segment_size: 368
    .language:       OpenCL C
    .language_version:
      - 2
      - 0
    .max_flat_workgroup_size: 1024
    .name:           _ZL40rocblas_trsm_block_backward_substitutionI19rocblas_complex_numIdES1_PKS1_PS1_Lb0ELb0ELb0EEv18rocblas_operation_llT0_T1_lllT2_lllib
    .private_segment_fixed_size: 0
    .sgpr_count:     52
    .sgpr_spill_count: 0
    .symbol:         _ZL40rocblas_trsm_block_backward_substitutionI19rocblas_complex_numIdES1_PKS1_PS1_Lb0ELb0ELb0EEv18rocblas_operation_llT0_T1_lllT2_lllib.kd
    .uniform_work_group_size: 1
    .uses_dynamic_stack: false
    .vgpr_count:     36
    .vgpr_spill_count: 0
    .wavefront_size: 32
  - .args:
      - .offset:         0
        .size:           4
        .value_kind:     by_value
      - .offset:         8
        .size:           8
        .value_kind:     by_value
      - .offset:         16
        .size:           8
        .value_kind:     by_value
      - .offset:         24
        .size:           16
        .value_kind:     by_value
      - .address_space:  global
        .offset:         40
        .size:           8
        .value_kind:     global_buffer
      - .offset:         48
        .size:           8
        .value_kind:     by_value
      - .offset:         56
        .size:           8
        .value_kind:     by_value
      - .offset:         64
        .size:           8
        .value_kind:     by_value
      - .address_space:  global
        .offset:         72
        .size:           8
        .value_kind:     global_buffer
      - .offset:         80
        .size:           8
        .value_kind:     by_value
      - .offset:         88
        .size:           8
        .value_kind:     by_value
      - .offset:         96
        .size:           8
        .value_kind:     by_value
      - .offset:         104
        .size:           4
        .value_kind:     by_value
      - .offset:         108
        .size:           1
        .value_kind:     by_value
      - .offset:         112
        .size:           4
        .value_kind:     hidden_block_count_x
      - .offset:         116
        .size:           4
        .value_kind:     hidden_block_count_y
      - .offset:         120
        .size:           4
        .value_kind:     hidden_block_count_z
      - .offset:         124
        .size:           2
        .value_kind:     hidden_group_size_x
      - .offset:         126
        .size:           2
        .value_kind:     hidden_group_size_y
      - .offset:         128
        .size:           2
        .value_kind:     hidden_group_size_z
      - .offset:         130
        .size:           2
        .value_kind:     hidden_remainder_x
      - .offset:         132
        .size:           2
        .value_kind:     hidden_remainder_y
      - .offset:         134
        .size:           2
        .value_kind:     hidden_remainder_z
      - .offset:         152
        .size:           8
        .value_kind:     hidden_global_offset_x
      - .offset:         160
        .size:           8
        .value_kind:     hidden_global_offset_y
      - .offset:         168
        .size:           8
        .value_kind:     hidden_global_offset_z
      - .offset:         176
        .size:           2
        .value_kind:     hidden_grid_dims
      - .offset:         232
        .size:           4
        .value_kind:     hidden_dynamic_lds_size
    .group_segment_fixed_size: 0
    .kernarg_segment_align: 8
    .kernarg_segment_size: 368
    .language:       OpenCL C
    .language_version:
      - 2
      - 0
    .max_flat_workgroup_size: 1024
    .name:           _ZL39rocblas_trsm_block_forward_substitutionI19rocblas_complex_numIdES1_PKS1_PS1_Lb0ELb0ELb1EEv18rocblas_operation_llT0_T1_lllT2_lllib
    .private_segment_fixed_size: 0
    .sgpr_count:     40
    .sgpr_spill_count: 0
    .symbol:         _ZL39rocblas_trsm_block_forward_substitutionI19rocblas_complex_numIdES1_PKS1_PS1_Lb0ELb0ELb1EEv18rocblas_operation_llT0_T1_lllT2_lllib.kd
    .uniform_work_group_size: 1
    .uses_dynamic_stack: false
    .vgpr_count:     30
    .vgpr_spill_count: 0
    .wavefront_size: 32
  - .args:
      - .offset:         0
        .size:           4
        .value_kind:     by_value
      - .offset:         8
        .size:           8
        .value_kind:     by_value
      - .offset:         16
        .size:           8
        .value_kind:     by_value
      - .offset:         24
        .size:           16
        .value_kind:     by_value
      - .address_space:  global
        .offset:         40
        .size:           8
        .value_kind:     global_buffer
      - .offset:         48
        .size:           8
        .value_kind:     by_value
      - .offset:         56
        .size:           8
        .value_kind:     by_value
      - .offset:         64
        .size:           8
        .value_kind:     by_value
      - .address_space:  global
        .offset:         72
        .size:           8
        .value_kind:     global_buffer
      - .offset:         80
        .size:           8
        .value_kind:     by_value
      - .offset:         88
        .size:           8
        .value_kind:     by_value
      - .offset:         96
        .size:           8
        .value_kind:     by_value
      - .offset:         104
        .size:           4
        .value_kind:     by_value
      - .offset:         108
        .size:           1
        .value_kind:     by_value
      - .offset:         112
        .size:           4
        .value_kind:     hidden_block_count_x
      - .offset:         116
        .size:           4
        .value_kind:     hidden_block_count_y
      - .offset:         120
        .size:           4
        .value_kind:     hidden_block_count_z
      - .offset:         124
        .size:           2
        .value_kind:     hidden_group_size_x
      - .offset:         126
        .size:           2
        .value_kind:     hidden_group_size_y
      - .offset:         128
        .size:           2
        .value_kind:     hidden_group_size_z
      - .offset:         130
        .size:           2
        .value_kind:     hidden_remainder_x
      - .offset:         132
        .size:           2
        .value_kind:     hidden_remainder_y
      - .offset:         134
        .size:           2
        .value_kind:     hidden_remainder_z
      - .offset:         152
        .size:           8
        .value_kind:     hidden_global_offset_x
      - .offset:         160
        .size:           8
        .value_kind:     hidden_global_offset_y
      - .offset:         168
        .size:           8
        .value_kind:     hidden_global_offset_z
      - .offset:         176
        .size:           2
        .value_kind:     hidden_grid_dims
      - .offset:         232
        .size:           4
        .value_kind:     hidden_dynamic_lds_size
    .group_segment_fixed_size: 0
    .kernarg_segment_align: 8
    .kernarg_segment_size: 368
    .language:       OpenCL C
    .language_version:
      - 2
      - 0
    .max_flat_workgroup_size: 1024
    .name:           _ZL40rocblas_trsm_block_backward_substitutionI19rocblas_complex_numIdES1_PKS1_PS1_Lb0ELb0ELb1EEv18rocblas_operation_llT0_T1_lllT2_lllib
    .private_segment_fixed_size: 0
    .sgpr_count:     44
    .sgpr_spill_count: 0
    .symbol:         _ZL40rocblas_trsm_block_backward_substitutionI19rocblas_complex_numIdES1_PKS1_PS1_Lb0ELb0ELb1EEv18rocblas_operation_llT0_T1_lllT2_lllib.kd
    .uniform_work_group_size: 1
    .uses_dynamic_stack: false
    .vgpr_count:     28
    .vgpr_spill_count: 0
    .wavefront_size: 32
  - .args:
      - .offset:         0
        .size:           4
        .value_kind:     by_value
      - .offset:         8
        .size:           8
        .value_kind:     by_value
      - .offset:         16
        .size:           8
        .value_kind:     by_value
      - .offset:         24
        .size:           16
        .value_kind:     by_value
      - .address_space:  global
        .offset:         40
        .size:           8
        .value_kind:     global_buffer
      - .offset:         48
        .size:           8
        .value_kind:     by_value
      - .offset:         56
        .size:           8
        .value_kind:     by_value
      - .offset:         64
        .size:           8
        .value_kind:     by_value
      - .address_space:  global
        .offset:         72
        .size:           8
        .value_kind:     global_buffer
      - .offset:         80
        .size:           8
        .value_kind:     by_value
      - .offset:         88
        .size:           8
        .value_kind:     by_value
      - .offset:         96
        .size:           8
        .value_kind:     by_value
      - .offset:         104
        .size:           4
        .value_kind:     by_value
      - .offset:         108
        .size:           1
        .value_kind:     by_value
      - .offset:         112
        .size:           4
        .value_kind:     hidden_block_count_x
      - .offset:         116
        .size:           4
        .value_kind:     hidden_block_count_y
      - .offset:         120
        .size:           4
        .value_kind:     hidden_block_count_z
      - .offset:         124
        .size:           2
        .value_kind:     hidden_group_size_x
      - .offset:         126
        .size:           2
        .value_kind:     hidden_group_size_y
      - .offset:         128
        .size:           2
        .value_kind:     hidden_group_size_z
      - .offset:         130
        .size:           2
        .value_kind:     hidden_remainder_x
      - .offset:         132
        .size:           2
        .value_kind:     hidden_remainder_y
      - .offset:         134
        .size:           2
        .value_kind:     hidden_remainder_z
      - .offset:         152
        .size:           8
        .value_kind:     hidden_global_offset_x
      - .offset:         160
        .size:           8
        .value_kind:     hidden_global_offset_y
      - .offset:         168
        .size:           8
        .value_kind:     hidden_global_offset_z
      - .offset:         176
        .size:           2
        .value_kind:     hidden_grid_dims
      - .offset:         232
        .size:           4
        .value_kind:     hidden_dynamic_lds_size
    .group_segment_fixed_size: 0
    .kernarg_segment_align: 8
    .kernarg_segment_size: 368
    .language:       OpenCL C
    .language_version:
      - 2
      - 0
    .max_flat_workgroup_size: 1024
    .name:           _ZL39rocblas_trsm_block_forward_substitutionI19rocblas_complex_numIdES1_PKS1_PS1_Lb0ELb1ELb0EEv18rocblas_operation_llT0_T1_lllT2_lllib
    .private_segment_fixed_size: 0
    .sgpr_count:     44
    .sgpr_spill_count: 0
    .symbol:         _ZL39rocblas_trsm_block_forward_substitutionI19rocblas_complex_numIdES1_PKS1_PS1_Lb0ELb1ELb0EEv18rocblas_operation_llT0_T1_lllT2_lllib.kd
    .uniform_work_group_size: 1
    .uses_dynamic_stack: false
    .vgpr_count:     34
    .vgpr_spill_count: 0
    .wavefront_size: 32
  - .args:
      - .offset:         0
        .size:           4
        .value_kind:     by_value
      - .offset:         8
        .size:           8
        .value_kind:     by_value
      - .offset:         16
        .size:           8
        .value_kind:     by_value
      - .offset:         24
        .size:           16
        .value_kind:     by_value
      - .address_space:  global
        .offset:         40
        .size:           8
        .value_kind:     global_buffer
      - .offset:         48
        .size:           8
        .value_kind:     by_value
      - .offset:         56
        .size:           8
        .value_kind:     by_value
      - .offset:         64
        .size:           8
        .value_kind:     by_value
      - .address_space:  global
        .offset:         72
        .size:           8
        .value_kind:     global_buffer
      - .offset:         80
        .size:           8
        .value_kind:     by_value
      - .offset:         88
        .size:           8
        .value_kind:     by_value
      - .offset:         96
        .size:           8
        .value_kind:     by_value
      - .offset:         104
        .size:           4
        .value_kind:     by_value
      - .offset:         108
        .size:           1
        .value_kind:     by_value
      - .offset:         112
        .size:           4
        .value_kind:     hidden_block_count_x
      - .offset:         116
        .size:           4
        .value_kind:     hidden_block_count_y
      - .offset:         120
        .size:           4
        .value_kind:     hidden_block_count_z
      - .offset:         124
        .size:           2
        .value_kind:     hidden_group_size_x
      - .offset:         126
        .size:           2
        .value_kind:     hidden_group_size_y
      - .offset:         128
        .size:           2
        .value_kind:     hidden_group_size_z
      - .offset:         130
        .size:           2
        .value_kind:     hidden_remainder_x
      - .offset:         132
        .size:           2
        .value_kind:     hidden_remainder_y
      - .offset:         134
        .size:           2
        .value_kind:     hidden_remainder_z
      - .offset:         152
        .size:           8
        .value_kind:     hidden_global_offset_x
      - .offset:         160
        .size:           8
        .value_kind:     hidden_global_offset_y
      - .offset:         168
        .size:           8
        .value_kind:     hidden_global_offset_z
      - .offset:         176
        .size:           2
        .value_kind:     hidden_grid_dims
      - .offset:         232
        .size:           4
        .value_kind:     hidden_dynamic_lds_size
    .group_segment_fixed_size: 0
    .kernarg_segment_align: 8
    .kernarg_segment_size: 368
    .language:       OpenCL C
    .language_version:
      - 2
      - 0
    .max_flat_workgroup_size: 1024
    .name:           _ZL40rocblas_trsm_block_backward_substitutionI19rocblas_complex_numIdES1_PKS1_PS1_Lb0ELb1ELb0EEv18rocblas_operation_llT0_T1_lllT2_lllib
    .private_segment_fixed_size: 0
    .sgpr_count:     52
    .sgpr_spill_count: 0
    .symbol:         _ZL40rocblas_trsm_block_backward_substitutionI19rocblas_complex_numIdES1_PKS1_PS1_Lb0ELb1ELb0EEv18rocblas_operation_llT0_T1_lllT2_lllib.kd
    .uniform_work_group_size: 1
    .uses_dynamic_stack: false
    .vgpr_count:     36
    .vgpr_spill_count: 0
    .wavefront_size: 32
  - .args:
      - .offset:         0
        .size:           4
        .value_kind:     by_value
      - .offset:         8
        .size:           8
        .value_kind:     by_value
      - .offset:         16
        .size:           8
        .value_kind:     by_value
      - .offset:         24
        .size:           16
        .value_kind:     by_value
      - .address_space:  global
        .offset:         40
        .size:           8
        .value_kind:     global_buffer
      - .offset:         48
        .size:           8
        .value_kind:     by_value
      - .offset:         56
        .size:           8
        .value_kind:     by_value
      - .offset:         64
        .size:           8
        .value_kind:     by_value
      - .address_space:  global
        .offset:         72
        .size:           8
        .value_kind:     global_buffer
      - .offset:         80
        .size:           8
        .value_kind:     by_value
      - .offset:         88
        .size:           8
        .value_kind:     by_value
      - .offset:         96
        .size:           8
        .value_kind:     by_value
      - .offset:         104
        .size:           4
        .value_kind:     by_value
      - .offset:         108
        .size:           1
        .value_kind:     by_value
      - .offset:         112
        .size:           4
        .value_kind:     hidden_block_count_x
      - .offset:         116
        .size:           4
        .value_kind:     hidden_block_count_y
      - .offset:         120
        .size:           4
        .value_kind:     hidden_block_count_z
      - .offset:         124
        .size:           2
        .value_kind:     hidden_group_size_x
      - .offset:         126
        .size:           2
        .value_kind:     hidden_group_size_y
      - .offset:         128
        .size:           2
        .value_kind:     hidden_group_size_z
      - .offset:         130
        .size:           2
        .value_kind:     hidden_remainder_x
      - .offset:         132
        .size:           2
        .value_kind:     hidden_remainder_y
      - .offset:         134
        .size:           2
        .value_kind:     hidden_remainder_z
      - .offset:         152
        .size:           8
        .value_kind:     hidden_global_offset_x
      - .offset:         160
        .size:           8
        .value_kind:     hidden_global_offset_y
      - .offset:         168
        .size:           8
        .value_kind:     hidden_global_offset_z
      - .offset:         176
        .size:           2
        .value_kind:     hidden_grid_dims
      - .offset:         232
        .size:           4
        .value_kind:     hidden_dynamic_lds_size
    .group_segment_fixed_size: 0
    .kernarg_segment_align: 8
    .kernarg_segment_size: 368
    .language:       OpenCL C
    .language_version:
      - 2
      - 0
    .max_flat_workgroup_size: 1024
    .name:           _ZL39rocblas_trsm_block_forward_substitutionI19rocblas_complex_numIdES1_PKS1_PS1_Lb0ELb1ELb1EEv18rocblas_operation_llT0_T1_lllT2_lllib
    .private_segment_fixed_size: 0
    .sgpr_count:     39
    .sgpr_spill_count: 0
    .symbol:         _ZL39rocblas_trsm_block_forward_substitutionI19rocblas_complex_numIdES1_PKS1_PS1_Lb0ELb1ELb1EEv18rocblas_operation_llT0_T1_lllT2_lllib.kd
    .uniform_work_group_size: 1
    .uses_dynamic_stack: false
    .vgpr_count:     30
    .vgpr_spill_count: 0
    .wavefront_size: 32
  - .args:
      - .offset:         0
        .size:           4
        .value_kind:     by_value
      - .offset:         8
        .size:           8
        .value_kind:     by_value
      - .offset:         16
        .size:           8
        .value_kind:     by_value
      - .offset:         24
        .size:           16
        .value_kind:     by_value
      - .address_space:  global
        .offset:         40
        .size:           8
        .value_kind:     global_buffer
      - .offset:         48
        .size:           8
        .value_kind:     by_value
      - .offset:         56
        .size:           8
        .value_kind:     by_value
      - .offset:         64
        .size:           8
        .value_kind:     by_value
      - .address_space:  global
        .offset:         72
        .size:           8
        .value_kind:     global_buffer
      - .offset:         80
        .size:           8
        .value_kind:     by_value
      - .offset:         88
        .size:           8
        .value_kind:     by_value
      - .offset:         96
        .size:           8
        .value_kind:     by_value
      - .offset:         104
        .size:           4
        .value_kind:     by_value
      - .offset:         108
        .size:           1
        .value_kind:     by_value
      - .offset:         112
        .size:           4
        .value_kind:     hidden_block_count_x
      - .offset:         116
        .size:           4
        .value_kind:     hidden_block_count_y
      - .offset:         120
        .size:           4
        .value_kind:     hidden_block_count_z
      - .offset:         124
        .size:           2
        .value_kind:     hidden_group_size_x
      - .offset:         126
        .size:           2
        .value_kind:     hidden_group_size_y
      - .offset:         128
        .size:           2
        .value_kind:     hidden_group_size_z
      - .offset:         130
        .size:           2
        .value_kind:     hidden_remainder_x
      - .offset:         132
        .size:           2
        .value_kind:     hidden_remainder_y
      - .offset:         134
        .size:           2
        .value_kind:     hidden_remainder_z
      - .offset:         152
        .size:           8
        .value_kind:     hidden_global_offset_x
      - .offset:         160
        .size:           8
        .value_kind:     hidden_global_offset_y
      - .offset:         168
        .size:           8
        .value_kind:     hidden_global_offset_z
      - .offset:         176
        .size:           2
        .value_kind:     hidden_grid_dims
      - .offset:         232
        .size:           4
        .value_kind:     hidden_dynamic_lds_size
    .group_segment_fixed_size: 0
    .kernarg_segment_align: 8
    .kernarg_segment_size: 368
    .language:       OpenCL C
    .language_version:
      - 2
      - 0
    .max_flat_workgroup_size: 1024
    .name:           _ZL40rocblas_trsm_block_backward_substitutionI19rocblas_complex_numIdES1_PKS1_PS1_Lb0ELb1ELb1EEv18rocblas_operation_llT0_T1_lllT2_lllib
    .private_segment_fixed_size: 0
    .sgpr_count:     44
    .sgpr_spill_count: 0
    .symbol:         _ZL40rocblas_trsm_block_backward_substitutionI19rocblas_complex_numIdES1_PKS1_PS1_Lb0ELb1ELb1EEv18rocblas_operation_llT0_T1_lllT2_lllib.kd
    .uniform_work_group_size: 1
    .uses_dynamic_stack: false
    .vgpr_count:     30
    .vgpr_spill_count: 0
    .wavefront_size: 32
  - .args:
      - .offset:         0
        .size:           4
        .value_kind:     by_value
      - .offset:         8
        .size:           8
        .value_kind:     by_value
      - .offset:         16
        .size:           8
        .value_kind:     by_value
      - .offset:         24
        .size:           16
        .value_kind:     by_value
      - .address_space:  global
        .offset:         40
        .size:           8
        .value_kind:     global_buffer
      - .offset:         48
        .size:           8
        .value_kind:     by_value
      - .offset:         56
        .size:           8
        .value_kind:     by_value
      - .offset:         64
        .size:           8
        .value_kind:     by_value
      - .address_space:  global
        .offset:         72
        .size:           8
        .value_kind:     global_buffer
      - .offset:         80
        .size:           8
        .value_kind:     by_value
      - .offset:         88
        .size:           8
        .value_kind:     by_value
      - .offset:         96
        .size:           8
        .value_kind:     by_value
      - .offset:         104
        .size:           4
        .value_kind:     by_value
      - .offset:         108
        .size:           1
        .value_kind:     by_value
      - .offset:         112
        .size:           4
        .value_kind:     hidden_block_count_x
      - .offset:         116
        .size:           4
        .value_kind:     hidden_block_count_y
      - .offset:         120
        .size:           4
        .value_kind:     hidden_block_count_z
      - .offset:         124
        .size:           2
        .value_kind:     hidden_group_size_x
      - .offset:         126
        .size:           2
        .value_kind:     hidden_group_size_y
      - .offset:         128
        .size:           2
        .value_kind:     hidden_group_size_z
      - .offset:         130
        .size:           2
        .value_kind:     hidden_remainder_x
      - .offset:         132
        .size:           2
        .value_kind:     hidden_remainder_y
      - .offset:         134
        .size:           2
        .value_kind:     hidden_remainder_z
      - .offset:         152
        .size:           8
        .value_kind:     hidden_global_offset_x
      - .offset:         160
        .size:           8
        .value_kind:     hidden_global_offset_y
      - .offset:         168
        .size:           8
        .value_kind:     hidden_global_offset_z
      - .offset:         176
        .size:           2
        .value_kind:     hidden_grid_dims
      - .offset:         232
        .size:           4
        .value_kind:     hidden_dynamic_lds_size
    .group_segment_fixed_size: 0
    .kernarg_segment_align: 8
    .kernarg_segment_size: 368
    .language:       OpenCL C
    .language_version:
      - 2
      - 0
    .max_flat_workgroup_size: 1024
    .name:           _ZL39rocblas_trsm_block_forward_substitutionI19rocblas_complex_numIdES1_PKS1_PS1_Lb1ELb1ELb0EEv18rocblas_operation_llT0_T1_lllT2_lllib
    .private_segment_fixed_size: 0
    .sgpr_count:     46
    .sgpr_spill_count: 0
    .symbol:         _ZL39rocblas_trsm_block_forward_substitutionI19rocblas_complex_numIdES1_PKS1_PS1_Lb1ELb1ELb0EEv18rocblas_operation_llT0_T1_lllT2_lllib.kd
    .uniform_work_group_size: 1
    .uses_dynamic_stack: false
    .vgpr_count:     32
    .vgpr_spill_count: 0
    .wavefront_size: 32
  - .args:
      - .offset:         0
        .size:           4
        .value_kind:     by_value
      - .offset:         8
        .size:           8
        .value_kind:     by_value
      - .offset:         16
        .size:           8
        .value_kind:     by_value
      - .offset:         24
        .size:           16
        .value_kind:     by_value
      - .address_space:  global
        .offset:         40
        .size:           8
        .value_kind:     global_buffer
      - .offset:         48
        .size:           8
        .value_kind:     by_value
      - .offset:         56
        .size:           8
        .value_kind:     by_value
      - .offset:         64
        .size:           8
        .value_kind:     by_value
      - .address_space:  global
        .offset:         72
        .size:           8
        .value_kind:     global_buffer
      - .offset:         80
        .size:           8
        .value_kind:     by_value
      - .offset:         88
        .size:           8
        .value_kind:     by_value
      - .offset:         96
        .size:           8
        .value_kind:     by_value
      - .offset:         104
        .size:           4
        .value_kind:     by_value
      - .offset:         108
        .size:           1
        .value_kind:     by_value
      - .offset:         112
        .size:           4
        .value_kind:     hidden_block_count_x
      - .offset:         116
        .size:           4
        .value_kind:     hidden_block_count_y
      - .offset:         120
        .size:           4
        .value_kind:     hidden_block_count_z
      - .offset:         124
        .size:           2
        .value_kind:     hidden_group_size_x
      - .offset:         126
        .size:           2
        .value_kind:     hidden_group_size_y
      - .offset:         128
        .size:           2
        .value_kind:     hidden_group_size_z
      - .offset:         130
        .size:           2
        .value_kind:     hidden_remainder_x
      - .offset:         132
        .size:           2
        .value_kind:     hidden_remainder_y
      - .offset:         134
        .size:           2
        .value_kind:     hidden_remainder_z
      - .offset:         152
        .size:           8
        .value_kind:     hidden_global_offset_x
      - .offset:         160
        .size:           8
        .value_kind:     hidden_global_offset_y
      - .offset:         168
        .size:           8
        .value_kind:     hidden_global_offset_z
      - .offset:         176
        .size:           2
        .value_kind:     hidden_grid_dims
      - .offset:         232
        .size:           4
        .value_kind:     hidden_dynamic_lds_size
    .group_segment_fixed_size: 0
    .kernarg_segment_align: 8
    .kernarg_segment_size: 368
    .language:       OpenCL C
    .language_version:
      - 2
      - 0
    .max_flat_workgroup_size: 1024
    .name:           _ZL40rocblas_trsm_block_backward_substitutionI19rocblas_complex_numIdES1_PKS1_PS1_Lb1ELb1ELb0EEv18rocblas_operation_llT0_T1_lllT2_lllib
    .private_segment_fixed_size: 0
    .sgpr_count:     50
    .sgpr_spill_count: 0
    .symbol:         _ZL40rocblas_trsm_block_backward_substitutionI19rocblas_complex_numIdES1_PKS1_PS1_Lb1ELb1ELb0EEv18rocblas_operation_llT0_T1_lllT2_lllib.kd
    .uniform_work_group_size: 1
    .uses_dynamic_stack: false
    .vgpr_count:     36
    .vgpr_spill_count: 0
    .wavefront_size: 32
  - .args:
      - .offset:         0
        .size:           4
        .value_kind:     by_value
      - .offset:         8
        .size:           8
        .value_kind:     by_value
      - .offset:         16
        .size:           8
        .value_kind:     by_value
      - .offset:         24
        .size:           16
        .value_kind:     by_value
      - .address_space:  global
        .offset:         40
        .size:           8
        .value_kind:     global_buffer
      - .offset:         48
        .size:           8
        .value_kind:     by_value
      - .offset:         56
        .size:           8
        .value_kind:     by_value
      - .offset:         64
        .size:           8
        .value_kind:     by_value
      - .address_space:  global
        .offset:         72
        .size:           8
        .value_kind:     global_buffer
      - .offset:         80
        .size:           8
        .value_kind:     by_value
      - .offset:         88
        .size:           8
        .value_kind:     by_value
      - .offset:         96
        .size:           8
        .value_kind:     by_value
      - .offset:         104
        .size:           4
        .value_kind:     by_value
      - .offset:         108
        .size:           1
        .value_kind:     by_value
      - .offset:         112
        .size:           4
        .value_kind:     hidden_block_count_x
      - .offset:         116
        .size:           4
        .value_kind:     hidden_block_count_y
      - .offset:         120
        .size:           4
        .value_kind:     hidden_block_count_z
      - .offset:         124
        .size:           2
        .value_kind:     hidden_group_size_x
      - .offset:         126
        .size:           2
        .value_kind:     hidden_group_size_y
      - .offset:         128
        .size:           2
        .value_kind:     hidden_group_size_z
      - .offset:         130
        .size:           2
        .value_kind:     hidden_remainder_x
      - .offset:         132
        .size:           2
        .value_kind:     hidden_remainder_y
      - .offset:         134
        .size:           2
        .value_kind:     hidden_remainder_z
      - .offset:         152
        .size:           8
        .value_kind:     hidden_global_offset_x
      - .offset:         160
        .size:           8
        .value_kind:     hidden_global_offset_y
      - .offset:         168
        .size:           8
        .value_kind:     hidden_global_offset_z
      - .offset:         176
        .size:           2
        .value_kind:     hidden_grid_dims
      - .offset:         232
        .size:           4
        .value_kind:     hidden_dynamic_lds_size
    .group_segment_fixed_size: 0
    .kernarg_segment_align: 8
    .kernarg_segment_size: 368
    .language:       OpenCL C
    .language_version:
      - 2
      - 0
    .max_flat_workgroup_size: 1024
    .name:           _ZL39rocblas_trsm_block_forward_substitutionI19rocblas_complex_numIdES1_PKS1_PS1_Lb1ELb1ELb1EEv18rocblas_operation_llT0_T1_lllT2_lllib
    .private_segment_fixed_size: 0
    .sgpr_count:     41
    .sgpr_spill_count: 0
    .symbol:         _ZL39rocblas_trsm_block_forward_substitutionI19rocblas_complex_numIdES1_PKS1_PS1_Lb1ELb1ELb1EEv18rocblas_operation_llT0_T1_lllT2_lllib.kd
    .uniform_work_group_size: 1
    .uses_dynamic_stack: false
    .vgpr_count:     26
    .vgpr_spill_count: 0
    .wavefront_size: 32
  - .args:
      - .offset:         0
        .size:           4
        .value_kind:     by_value
      - .offset:         8
        .size:           8
        .value_kind:     by_value
      - .offset:         16
        .size:           8
        .value_kind:     by_value
      - .offset:         24
        .size:           16
        .value_kind:     by_value
      - .address_space:  global
        .offset:         40
        .size:           8
        .value_kind:     global_buffer
      - .offset:         48
        .size:           8
        .value_kind:     by_value
      - .offset:         56
        .size:           8
        .value_kind:     by_value
      - .offset:         64
        .size:           8
        .value_kind:     by_value
      - .address_space:  global
        .offset:         72
        .size:           8
        .value_kind:     global_buffer
      - .offset:         80
        .size:           8
        .value_kind:     by_value
      - .offset:         88
        .size:           8
        .value_kind:     by_value
      - .offset:         96
        .size:           8
        .value_kind:     by_value
      - .offset:         104
        .size:           4
        .value_kind:     by_value
      - .offset:         108
        .size:           1
        .value_kind:     by_value
      - .offset:         112
        .size:           4
        .value_kind:     hidden_block_count_x
      - .offset:         116
        .size:           4
        .value_kind:     hidden_block_count_y
      - .offset:         120
        .size:           4
        .value_kind:     hidden_block_count_z
      - .offset:         124
        .size:           2
        .value_kind:     hidden_group_size_x
      - .offset:         126
        .size:           2
        .value_kind:     hidden_group_size_y
      - .offset:         128
        .size:           2
        .value_kind:     hidden_group_size_z
      - .offset:         130
        .size:           2
        .value_kind:     hidden_remainder_x
      - .offset:         132
        .size:           2
        .value_kind:     hidden_remainder_y
      - .offset:         134
        .size:           2
        .value_kind:     hidden_remainder_z
      - .offset:         152
        .size:           8
        .value_kind:     hidden_global_offset_x
      - .offset:         160
        .size:           8
        .value_kind:     hidden_global_offset_y
      - .offset:         168
        .size:           8
        .value_kind:     hidden_global_offset_z
      - .offset:         176
        .size:           2
        .value_kind:     hidden_grid_dims
      - .offset:         232
        .size:           4
        .value_kind:     hidden_dynamic_lds_size
    .group_segment_fixed_size: 0
    .kernarg_segment_align: 8
    .kernarg_segment_size: 368
    .language:       OpenCL C
    .language_version:
      - 2
      - 0
    .max_flat_workgroup_size: 1024
    .name:           _ZL40rocblas_trsm_block_backward_substitutionI19rocblas_complex_numIdES1_PKS1_PS1_Lb1ELb1ELb1EEv18rocblas_operation_llT0_T1_lllT2_lllib
    .private_segment_fixed_size: 0
    .sgpr_count:     42
    .sgpr_spill_count: 0
    .symbol:         _ZL40rocblas_trsm_block_backward_substitutionI19rocblas_complex_numIdES1_PKS1_PS1_Lb1ELb1ELb1EEv18rocblas_operation_llT0_T1_lllT2_lllib.kd
    .uniform_work_group_size: 1
    .uses_dynamic_stack: false
    .vgpr_count:     30
    .vgpr_spill_count: 0
    .wavefront_size: 32
  - .args:
      - .offset:         0
        .size:           4
        .value_kind:     by_value
      - .offset:         8
        .size:           8
        .value_kind:     by_value
      - .offset:         16
        .size:           8
        .value_kind:     by_value
      - .offset:         24
        .size:           16
        .value_kind:     by_value
      - .address_space:  global
        .offset:         40
        .size:           8
        .value_kind:     global_buffer
      - .offset:         48
        .size:           8
        .value_kind:     by_value
      - .offset:         56
        .size:           8
        .value_kind:     by_value
      - .offset:         64
        .size:           8
        .value_kind:     by_value
      - .address_space:  global
        .offset:         72
        .size:           8
        .value_kind:     global_buffer
      - .offset:         80
        .size:           8
        .value_kind:     by_value
      - .offset:         88
        .size:           8
        .value_kind:     by_value
      - .offset:         96
        .size:           8
        .value_kind:     by_value
      - .offset:         104
        .size:           4
        .value_kind:     by_value
      - .offset:         108
        .size:           1
        .value_kind:     by_value
      - .offset:         112
        .size:           4
        .value_kind:     hidden_block_count_x
      - .offset:         116
        .size:           4
        .value_kind:     hidden_block_count_y
      - .offset:         120
        .size:           4
        .value_kind:     hidden_block_count_z
      - .offset:         124
        .size:           2
        .value_kind:     hidden_group_size_x
      - .offset:         126
        .size:           2
        .value_kind:     hidden_group_size_y
      - .offset:         128
        .size:           2
        .value_kind:     hidden_group_size_z
      - .offset:         130
        .size:           2
        .value_kind:     hidden_remainder_x
      - .offset:         132
        .size:           2
        .value_kind:     hidden_remainder_y
      - .offset:         134
        .size:           2
        .value_kind:     hidden_remainder_z
      - .offset:         152
        .size:           8
        .value_kind:     hidden_global_offset_x
      - .offset:         160
        .size:           8
        .value_kind:     hidden_global_offset_y
      - .offset:         168
        .size:           8
        .value_kind:     hidden_global_offset_z
      - .offset:         176
        .size:           2
        .value_kind:     hidden_grid_dims
      - .offset:         232
        .size:           4
        .value_kind:     hidden_dynamic_lds_size
    .group_segment_fixed_size: 0
    .kernarg_segment_align: 8
    .kernarg_segment_size: 368
    .language:       OpenCL C
    .language_version:
      - 2
      - 0
    .max_flat_workgroup_size: 1024
    .name:           _ZL39rocblas_trsm_block_forward_substitutionI19rocblas_complex_numIdES1_PKS1_PS1_Lb1ELb0ELb0EEv18rocblas_operation_llT0_T1_lllT2_lllib
    .private_segment_fixed_size: 0
    .sgpr_count:     46
    .sgpr_spill_count: 0
    .symbol:         _ZL39rocblas_trsm_block_forward_substitutionI19rocblas_complex_numIdES1_PKS1_PS1_Lb1ELb0ELb0EEv18rocblas_operation_llT0_T1_lllT2_lllib.kd
    .uniform_work_group_size: 1
    .uses_dynamic_stack: false
    .vgpr_count:     32
    .vgpr_spill_count: 0
    .wavefront_size: 32
  - .args:
      - .offset:         0
        .size:           4
        .value_kind:     by_value
      - .offset:         8
        .size:           8
        .value_kind:     by_value
      - .offset:         16
        .size:           8
        .value_kind:     by_value
      - .offset:         24
        .size:           16
        .value_kind:     by_value
      - .address_space:  global
        .offset:         40
        .size:           8
        .value_kind:     global_buffer
      - .offset:         48
        .size:           8
        .value_kind:     by_value
      - .offset:         56
        .size:           8
        .value_kind:     by_value
      - .offset:         64
        .size:           8
        .value_kind:     by_value
      - .address_space:  global
        .offset:         72
        .size:           8
        .value_kind:     global_buffer
      - .offset:         80
        .size:           8
        .value_kind:     by_value
      - .offset:         88
        .size:           8
        .value_kind:     by_value
      - .offset:         96
        .size:           8
        .value_kind:     by_value
      - .offset:         104
        .size:           4
        .value_kind:     by_value
      - .offset:         108
        .size:           1
        .value_kind:     by_value
      - .offset:         112
        .size:           4
        .value_kind:     hidden_block_count_x
      - .offset:         116
        .size:           4
        .value_kind:     hidden_block_count_y
      - .offset:         120
        .size:           4
        .value_kind:     hidden_block_count_z
      - .offset:         124
        .size:           2
        .value_kind:     hidden_group_size_x
      - .offset:         126
        .size:           2
        .value_kind:     hidden_group_size_y
      - .offset:         128
        .size:           2
        .value_kind:     hidden_group_size_z
      - .offset:         130
        .size:           2
        .value_kind:     hidden_remainder_x
      - .offset:         132
        .size:           2
        .value_kind:     hidden_remainder_y
      - .offset:         134
        .size:           2
        .value_kind:     hidden_remainder_z
      - .offset:         152
        .size:           8
        .value_kind:     hidden_global_offset_x
      - .offset:         160
        .size:           8
        .value_kind:     hidden_global_offset_y
      - .offset:         168
        .size:           8
        .value_kind:     hidden_global_offset_z
      - .offset:         176
        .size:           2
        .value_kind:     hidden_grid_dims
      - .offset:         232
        .size:           4
        .value_kind:     hidden_dynamic_lds_size
    .group_segment_fixed_size: 0
    .kernarg_segment_align: 8
    .kernarg_segment_size: 368
    .language:       OpenCL C
    .language_version:
      - 2
      - 0
    .max_flat_workgroup_size: 1024
    .name:           _ZL40rocblas_trsm_block_backward_substitutionI19rocblas_complex_numIdES1_PKS1_PS1_Lb1ELb0ELb0EEv18rocblas_operation_llT0_T1_lllT2_lllib
    .private_segment_fixed_size: 0
    .sgpr_count:     50
    .sgpr_spill_count: 0
    .symbol:         _ZL40rocblas_trsm_block_backward_substitutionI19rocblas_complex_numIdES1_PKS1_PS1_Lb1ELb0ELb0EEv18rocblas_operation_llT0_T1_lllT2_lllib.kd
    .uniform_work_group_size: 1
    .uses_dynamic_stack: false
    .vgpr_count:     36
    .vgpr_spill_count: 0
    .wavefront_size: 32
  - .args:
      - .offset:         0
        .size:           4
        .value_kind:     by_value
      - .offset:         8
        .size:           8
        .value_kind:     by_value
      - .offset:         16
        .size:           8
        .value_kind:     by_value
      - .offset:         24
        .size:           16
        .value_kind:     by_value
      - .address_space:  global
        .offset:         40
        .size:           8
        .value_kind:     global_buffer
      - .offset:         48
        .size:           8
        .value_kind:     by_value
      - .offset:         56
        .size:           8
        .value_kind:     by_value
      - .offset:         64
        .size:           8
        .value_kind:     by_value
      - .address_space:  global
        .offset:         72
        .size:           8
        .value_kind:     global_buffer
      - .offset:         80
        .size:           8
        .value_kind:     by_value
      - .offset:         88
        .size:           8
        .value_kind:     by_value
      - .offset:         96
        .size:           8
        .value_kind:     by_value
      - .offset:         104
        .size:           4
        .value_kind:     by_value
      - .offset:         108
        .size:           1
        .value_kind:     by_value
      - .offset:         112
        .size:           4
        .value_kind:     hidden_block_count_x
      - .offset:         116
        .size:           4
        .value_kind:     hidden_block_count_y
      - .offset:         120
        .size:           4
        .value_kind:     hidden_block_count_z
      - .offset:         124
        .size:           2
        .value_kind:     hidden_group_size_x
      - .offset:         126
        .size:           2
        .value_kind:     hidden_group_size_y
      - .offset:         128
        .size:           2
        .value_kind:     hidden_group_size_z
      - .offset:         130
        .size:           2
        .value_kind:     hidden_remainder_x
      - .offset:         132
        .size:           2
        .value_kind:     hidden_remainder_y
      - .offset:         134
        .size:           2
        .value_kind:     hidden_remainder_z
      - .offset:         152
        .size:           8
        .value_kind:     hidden_global_offset_x
      - .offset:         160
        .size:           8
        .value_kind:     hidden_global_offset_y
      - .offset:         168
        .size:           8
        .value_kind:     hidden_global_offset_z
      - .offset:         176
        .size:           2
        .value_kind:     hidden_grid_dims
      - .offset:         232
        .size:           4
        .value_kind:     hidden_dynamic_lds_size
    .group_segment_fixed_size: 0
    .kernarg_segment_align: 8
    .kernarg_segment_size: 368
    .language:       OpenCL C
    .language_version:
      - 2
      - 0
    .max_flat_workgroup_size: 1024
    .name:           _ZL39rocblas_trsm_block_forward_substitutionI19rocblas_complex_numIdES1_PKS1_PS1_Lb1ELb0ELb1EEv18rocblas_operation_llT0_T1_lllT2_lllib
    .private_segment_fixed_size: 0
    .sgpr_count:     42
    .sgpr_spill_count: 0
    .symbol:         _ZL39rocblas_trsm_block_forward_substitutionI19rocblas_complex_numIdES1_PKS1_PS1_Lb1ELb0ELb1EEv18rocblas_operation_llT0_T1_lllT2_lllib.kd
    .uniform_work_group_size: 1
    .uses_dynamic_stack: false
    .vgpr_count:     28
    .vgpr_spill_count: 0
    .wavefront_size: 32
  - .args:
      - .offset:         0
        .size:           4
        .value_kind:     by_value
      - .offset:         8
        .size:           8
        .value_kind:     by_value
      - .offset:         16
        .size:           8
        .value_kind:     by_value
      - .offset:         24
        .size:           16
        .value_kind:     by_value
      - .address_space:  global
        .offset:         40
        .size:           8
        .value_kind:     global_buffer
      - .offset:         48
        .size:           8
        .value_kind:     by_value
      - .offset:         56
        .size:           8
        .value_kind:     by_value
      - .offset:         64
        .size:           8
        .value_kind:     by_value
      - .address_space:  global
        .offset:         72
        .size:           8
        .value_kind:     global_buffer
      - .offset:         80
        .size:           8
        .value_kind:     by_value
      - .offset:         88
        .size:           8
        .value_kind:     by_value
      - .offset:         96
        .size:           8
        .value_kind:     by_value
      - .offset:         104
        .size:           4
        .value_kind:     by_value
      - .offset:         108
        .size:           1
        .value_kind:     by_value
      - .offset:         112
        .size:           4
        .value_kind:     hidden_block_count_x
      - .offset:         116
        .size:           4
        .value_kind:     hidden_block_count_y
      - .offset:         120
        .size:           4
        .value_kind:     hidden_block_count_z
      - .offset:         124
        .size:           2
        .value_kind:     hidden_group_size_x
      - .offset:         126
        .size:           2
        .value_kind:     hidden_group_size_y
      - .offset:         128
        .size:           2
        .value_kind:     hidden_group_size_z
      - .offset:         130
        .size:           2
        .value_kind:     hidden_remainder_x
      - .offset:         132
        .size:           2
        .value_kind:     hidden_remainder_y
      - .offset:         134
        .size:           2
        .value_kind:     hidden_remainder_z
      - .offset:         152
        .size:           8
        .value_kind:     hidden_global_offset_x
      - .offset:         160
        .size:           8
        .value_kind:     hidden_global_offset_y
      - .offset:         168
        .size:           8
        .value_kind:     hidden_global_offset_z
      - .offset:         176
        .size:           2
        .value_kind:     hidden_grid_dims
      - .offset:         232
        .size:           4
        .value_kind:     hidden_dynamic_lds_size
    .group_segment_fixed_size: 0
    .kernarg_segment_align: 8
    .kernarg_segment_size: 368
    .language:       OpenCL C
    .language_version:
      - 2
      - 0
    .max_flat_workgroup_size: 1024
    .name:           _ZL40rocblas_trsm_block_backward_substitutionI19rocblas_complex_numIdES1_PKS1_PS1_Lb1ELb0ELb1EEv18rocblas_operation_llT0_T1_lllT2_lllib
    .private_segment_fixed_size: 0
    .sgpr_count:     42
    .sgpr_spill_count: 0
    .symbol:         _ZL40rocblas_trsm_block_backward_substitutionI19rocblas_complex_numIdES1_PKS1_PS1_Lb1ELb0ELb1EEv18rocblas_operation_llT0_T1_lllT2_lllib.kd
    .uniform_work_group_size: 1
    .uses_dynamic_stack: false
    .vgpr_count:     30
    .vgpr_spill_count: 0
    .wavefront_size: 32
  - .args:
      - .address_space:  global
        .offset:         0
        .size:           8
        .value_kind:     global_buffer
      - .offset:         8
        .size:           8
        .value_kind:     by_value
      - .address_space:  global
        .offset:         16
        .size:           8
        .value_kind:     global_buffer
    .group_segment_fixed_size: 0
    .kernarg_segment_align: 8
    .kernarg_segment_size: 24
    .language:       OpenCL C
    .language_version:
      - 2
      - 0
    .max_flat_workgroup_size: 128
    .name:           _ZL26setup_batched_array_kernelILi128E19rocblas_complex_numIdEEvPT0_lPS3_
    .private_segment_fixed_size: 0
    .sgpr_count:     9
    .sgpr_spill_count: 0
    .symbol:         _ZL26setup_batched_array_kernelILi128E19rocblas_complex_numIdEEvPT0_lPS3_.kd
    .uniform_work_group_size: 1
    .uses_dynamic_stack: false
    .vgpr_count:     3
    .vgpr_spill_count: 0
    .wavefront_size: 32
  - .args:
      - .offset:         0
        .size:           4
        .value_kind:     by_value
      - .offset:         4
        .size:           4
        .value_kind:     by_value
      - .address_space:  global
        .offset:         8
        .size:           8
        .value_kind:     global_buffer
      - .offset:         16
        .size:           8
        .value_kind:     by_value
      - .offset:         24
        .size:           4
        .value_kind:     by_value
      - .offset:         32
        .size:           8
        .value_kind:     by_value
      - .address_space:  global
        .offset:         40
        .size:           8
        .value_kind:     global_buffer
      - .offset:         48
        .size:           8
        .value_kind:     by_value
      - .offset:         56
        .size:           8
        .value_kind:     by_value
      - .offset:         64
        .size:           4
        .value_kind:     by_value
    .group_segment_fixed_size: 16384
    .kernarg_segment_align: 8
    .kernarg_segment_size: 68
    .language:       OpenCL C
    .language_version:
      - 2
      - 0
    .max_flat_workgroup_size: 256
    .name:           _ZL25rocblas_trtri_trsm_kernelILi128ELi16ELi8E19rocblas_complex_numIdEPKS1_PS1_Ev13rocblas_fill_17rocblas_diagonal_T3_lilT4_lli
    .private_segment_fixed_size: 0
    .sgpr_count:     99
    .sgpr_spill_count: 0
    .symbol:         _ZL25rocblas_trtri_trsm_kernelILi128ELi16ELi8E19rocblas_complex_numIdEPKS1_PS1_Ev13rocblas_fill_17rocblas_diagonal_T3_lilT4_lli.kd
    .uniform_work_group_size: 1
    .uses_dynamic_stack: false
    .vgpr_count:     128
    .vgpr_spill_count: 0
    .wavefront_size: 32
  - .args:
      - .address_space:  global
        .offset:         0
        .size:           8
        .value_kind:     global_buffer
      - .offset:         8
        .size:           4
        .value_kind:     by_value
      - .offset:         12
        .size:           4
        .value_kind:     by_value
      - .offset:         16
        .size:           8
        .value_kind:     by_value
      - .offset:         24
        .size:           4
        .value_kind:     by_value
      - .offset:         32
        .size:           8
        .value_kind:     by_value
      - .address_space:  global
        .offset:         40
        .size:           8
        .value_kind:     global_buffer
      - .offset:         48
        .size:           8
        .value_kind:     by_value
      - .offset:         56
        .size:           8
        .value_kind:     by_value
      - .offset:         64
        .size:           4
        .value_kind:     by_value
      - .offset:         68
        .size:           4
        .value_kind:     by_value
      - .offset:         72
        .size:           4
        .value_kind:     hidden_block_count_x
      - .offset:         76
        .size:           4
        .value_kind:     hidden_block_count_y
      - .offset:         80
        .size:           4
        .value_kind:     hidden_block_count_z
      - .offset:         84
        .size:           2
        .value_kind:     hidden_group_size_x
      - .offset:         86
        .size:           2
        .value_kind:     hidden_group_size_y
      - .offset:         88
        .size:           2
        .value_kind:     hidden_group_size_z
      - .offset:         90
        .size:           2
        .value_kind:     hidden_remainder_x
      - .offset:         92
        .size:           2
        .value_kind:     hidden_remainder_y
      - .offset:         94
        .size:           2
        .value_kind:     hidden_remainder_z
      - .offset:         112
        .size:           8
        .value_kind:     hidden_global_offset_x
      - .offset:         120
        .size:           8
        .value_kind:     hidden_global_offset_y
      - .offset:         128
        .size:           8
        .value_kind:     hidden_global_offset_z
      - .offset:         136
        .size:           2
        .value_kind:     hidden_grid_dims
    .group_segment_fixed_size: 0
    .kernarg_segment_align: 8
    .kernarg_segment_size: 328
    .language:       OpenCL C
    .language_version:
      - 2
      - 0
    .max_flat_workgroup_size: 128
    .name:           _ZL18rocblas_trtri_fillILi128E19rocblas_complex_numIdEPS1_EvP15_rocblas_handle13rocblas_fill_ililT1_llii
    .private_segment_fixed_size: 0
    .sgpr_count:     51
    .sgpr_spill_count: 0
    .symbol:         _ZL18rocblas_trtri_fillILi128E19rocblas_complex_numIdEPS1_EvP15_rocblas_handle13rocblas_fill_ililT1_llii.kd
    .uniform_work_group_size: 1
    .uses_dynamic_stack: false
    .vgpr_count:     26
    .vgpr_spill_count: 0
    .wavefront_size: 32
  - .args:
      - .offset:         0
        .size:           4
        .value_kind:     by_value
      - .offset:         4
        .size:           4
        .value_kind:     by_value
      - .offset:         8
        .size:           4
        .value_kind:     by_value
      - .address_space:  global
        .offset:         16
        .size:           8
        .value_kind:     global_buffer
      - .offset:         24
        .size:           4
        .value_kind:     by_value
      - .offset:         32
        .size:           8
        .value_kind:     by_value
      - .address_space:  global
        .offset:         40
        .size:           8
        .value_kind:     global_buffer
      - .offset:         48
        .size:           4
        .value_kind:     by_value
      - .offset:         56
        .size:           8
        .value_kind:     by_value
      - .offset:         64
        .size:           8
        .value_kind:     by_value
      - .offset:         72
        .size:           8
        .value_kind:     by_value
      - .offset:         80
        .size:           4
        .value_kind:     by_value
      - .offset:         88
        .size:           4
        .value_kind:     hidden_block_count_x
      - .offset:         92
        .size:           4
        .value_kind:     hidden_block_count_y
      - .offset:         96
        .size:           4
        .value_kind:     hidden_block_count_z
      - .offset:         100
        .size:           2
        .value_kind:     hidden_group_size_x
      - .offset:         102
        .size:           2
        .value_kind:     hidden_group_size_y
      - .offset:         104
        .size:           2
        .value_kind:     hidden_group_size_z
      - .offset:         106
        .size:           2
        .value_kind:     hidden_remainder_x
      - .offset:         108
        .size:           2
        .value_kind:     hidden_remainder_y
      - .offset:         110
        .size:           2
        .value_kind:     hidden_remainder_z
      - .offset:         128
        .size:           8
        .value_kind:     hidden_global_offset_x
      - .offset:         136
        .size:           8
        .value_kind:     hidden_global_offset_y
      - .offset:         144
        .size:           8
        .value_kind:     hidden_global_offset_z
      - .offset:         152
        .size:           2
        .value_kind:     hidden_grid_dims
    .group_segment_fixed_size: 0
    .kernarg_segment_align: 8
    .kernarg_segment_size: 344
    .language:       OpenCL C
    .language_version:
      - 2
      - 0
    .max_flat_workgroup_size: 1024
    .name:           _ZL24rocblas_copy_matrix_trsmILi128ELi8E19rocblas_complex_numIdEPKS1_PS1_EviiiT2_ilT3_illli
    .private_segment_fixed_size: 0
    .sgpr_count:     28
    .sgpr_spill_count: 0
    .symbol:         _ZL24rocblas_copy_matrix_trsmILi128ELi8E19rocblas_complex_numIdEPKS1_PS1_EviiiT2_ilT3_illli.kd
    .uniform_work_group_size: 1
    .uses_dynamic_stack: false
    .vgpr_count:     16
    .vgpr_spill_count: 0
    .wavefront_size: 32
amdhsa.target:   amdgcn-amd-amdhsa--gfx1250
amdhsa.version:
  - 1
  - 2
...

	.end_amdgpu_metadata
